;; amdgpu-corpus repo=ROCm/aiter kind=compiled arch=gfx1100 opt=O3
	.text
	.amdgcn_target "amdgcn-amd-amdhsa--gfx1100"
	.amdhsa_code_object_version 6
	.section	.text._ZN7ck_tileL11flush_cacheEv,"axG",@progbits,_ZN7ck_tileL11flush_cacheEv,comdat
	.globl	_ZN7ck_tileL11flush_cacheEv     ; -- Begin function _ZN7ck_tileL11flush_cacheEv
	.p2align	8
	.type	_ZN7ck_tileL11flush_cacheEv,@function
_ZN7ck_tileL11flush_cacheEv:            ; @_ZN7ck_tileL11flush_cacheEv
; %bb.0:
	;;#ASMSTART
	s_icache_inv 
	s_nop 0 
	s_nop 0 
	;; [unrolled: 1-line block ×16, first 2 shown]
	
	;;#ASMEND
	s_endpgm
	.section	.rodata,"a",@progbits
	.p2align	6, 0x0
	.amdhsa_kernel _ZN7ck_tileL11flush_cacheEv
		.amdhsa_group_segment_fixed_size 0
		.amdhsa_private_segment_fixed_size 0
		.amdhsa_kernarg_size 0
		.amdhsa_user_sgpr_count 15
		.amdhsa_user_sgpr_dispatch_ptr 0
		.amdhsa_user_sgpr_queue_ptr 0
		.amdhsa_user_sgpr_kernarg_segment_ptr 0
		.amdhsa_user_sgpr_dispatch_id 0
		.amdhsa_user_sgpr_private_segment_size 0
		.amdhsa_wavefront_size32 1
		.amdhsa_uses_dynamic_stack 0
		.amdhsa_enable_private_segment 0
		.amdhsa_system_sgpr_workgroup_id_x 1
		.amdhsa_system_sgpr_workgroup_id_y 0
		.amdhsa_system_sgpr_workgroup_id_z 0
		.amdhsa_system_sgpr_workgroup_info 0
		.amdhsa_system_vgpr_workitem_id 0
		.amdhsa_next_free_vgpr 1
		.amdhsa_next_free_sgpr 1
		.amdhsa_reserve_vcc 0
		.amdhsa_float_round_mode_32 0
		.amdhsa_float_round_mode_16_64 0
		.amdhsa_float_denorm_mode_32 3
		.amdhsa_float_denorm_mode_16_64 3
		.amdhsa_dx10_clamp 1
		.amdhsa_ieee_mode 1
		.amdhsa_fp16_overflow 0
		.amdhsa_workgroup_processor_mode 1
		.amdhsa_memory_ordered 1
		.amdhsa_forward_progress 0
		.amdhsa_shared_vgpr_count 0
		.amdhsa_exception_fp_ieee_invalid_op 0
		.amdhsa_exception_fp_denorm_src 0
		.amdhsa_exception_fp_ieee_div_zero 0
		.amdhsa_exception_fp_ieee_overflow 0
		.amdhsa_exception_fp_ieee_underflow 0
		.amdhsa_exception_fp_ieee_inexact 0
		.amdhsa_exception_int_div_zero 0
	.end_amdhsa_kernel
	.section	.text._ZN7ck_tileL11flush_cacheEv,"axG",@progbits,_ZN7ck_tileL11flush_cacheEv,comdat
.Lfunc_end0:
	.size	_ZN7ck_tileL11flush_cacheEv, .Lfunc_end0-_ZN7ck_tileL11flush_cacheEv
                                        ; -- End function
	.section	.AMDGPU.csdata,"",@progbits
; Kernel info:
; codeLenInByte = 344
; NumSgprs: 0
; NumVgprs: 0
; ScratchSize: 0
; MemoryBound: 0
; FloatMode: 240
; IeeeMode: 1
; LDSByteSize: 0 bytes/workgroup (compile time only)
; SGPRBlocks: 0
; VGPRBlocks: 0
; NumSGPRsForWavesPerEU: 1
; NumVGPRsForWavesPerEU: 1
; Occupancy: 16
; WaveLimiterHint : 0
; COMPUTE_PGM_RSRC2:SCRATCH_EN: 0
; COMPUTE_PGM_RSRC2:USER_SGPR: 15
; COMPUTE_PGM_RSRC2:TRAP_HANDLER: 0
; COMPUTE_PGM_RSRC2:TGID_X_EN: 1
; COMPUTE_PGM_RSRC2:TGID_Y_EN: 0
; COMPUTE_PGM_RSRC2:TGID_Z_EN: 0
; COMPUTE_PGM_RSRC2:TIDIG_COMP_CNT: 0
	.text
	.protected	_ZN5aiter15initializeScaleEPfif ; -- Begin function _ZN5aiter15initializeScaleEPfif
	.globl	_ZN5aiter15initializeScaleEPfif
	.p2align	8
	.type	_ZN5aiter15initializeScaleEPfif,@function
_ZN5aiter15initializeScaleEPfif:        ; @_ZN5aiter15initializeScaleEPfif
; %bb.0:
	s_clause 0x1
	s_load_b32 s4, s[0:1], 0x1c
	s_load_b64 s[2:3], s[0:1], 0x8
	s_waitcnt lgkmcnt(0)
	s_and_b32 s4, s4, 0xffff
	s_delay_alu instid0(SALU_CYCLE_1) | instskip(NEXT) | instid1(VALU_DEP_1)
	v_mad_u64_u32 v[1:2], null, s15, s4, v[0:1]
	v_cmp_gt_i32_e32 vcc_lo, s2, v1
	s_and_saveexec_b32 s2, vcc_lo
	s_cbranch_execz .LBB1_2
; %bb.1:
	s_load_b64 s[0:1], s[0:1], 0x0
	v_ashrrev_i32_e32 v2, 31, v1
	s_delay_alu instid0(VALU_DEP_1) | instskip(SKIP_2) | instid1(VALU_DEP_2)
	v_lshlrev_b64 v[0:1], 2, v[1:2]
	v_mov_b32_e32 v2, s3
	s_waitcnt lgkmcnt(0)
	v_add_co_u32 v0, vcc_lo, s0, v0
	s_delay_alu instid0(VALU_DEP_3)
	v_add_co_ci_u32_e32 v1, vcc_lo, s1, v1, vcc_lo
	global_store_b32 v[0:1], v2, off
.LBB1_2:
	s_nop 0
	s_sendmsg sendmsg(MSG_DEALLOC_VGPRS)
	s_endpgm
	.section	.rodata,"a",@progbits
	.p2align	6, 0x0
	.amdhsa_kernel _ZN5aiter15initializeScaleEPfif
		.amdhsa_group_segment_fixed_size 0
		.amdhsa_private_segment_fixed_size 0
		.amdhsa_kernarg_size 272
		.amdhsa_user_sgpr_count 15
		.amdhsa_user_sgpr_dispatch_ptr 0
		.amdhsa_user_sgpr_queue_ptr 0
		.amdhsa_user_sgpr_kernarg_segment_ptr 1
		.amdhsa_user_sgpr_dispatch_id 0
		.amdhsa_user_sgpr_private_segment_size 0
		.amdhsa_wavefront_size32 1
		.amdhsa_uses_dynamic_stack 0
		.amdhsa_enable_private_segment 0
		.amdhsa_system_sgpr_workgroup_id_x 1
		.amdhsa_system_sgpr_workgroup_id_y 0
		.amdhsa_system_sgpr_workgroup_id_z 0
		.amdhsa_system_sgpr_workgroup_info 0
		.amdhsa_system_vgpr_workitem_id 0
		.amdhsa_next_free_vgpr 3
		.amdhsa_next_free_sgpr 16
		.amdhsa_reserve_vcc 1
		.amdhsa_float_round_mode_32 0
		.amdhsa_float_round_mode_16_64 0
		.amdhsa_float_denorm_mode_32 3
		.amdhsa_float_denorm_mode_16_64 3
		.amdhsa_dx10_clamp 1
		.amdhsa_ieee_mode 1
		.amdhsa_fp16_overflow 0
		.amdhsa_workgroup_processor_mode 1
		.amdhsa_memory_ordered 1
		.amdhsa_forward_progress 0
		.amdhsa_shared_vgpr_count 0
		.amdhsa_exception_fp_ieee_invalid_op 0
		.amdhsa_exception_fp_denorm_src 0
		.amdhsa_exception_fp_ieee_div_zero 0
		.amdhsa_exception_fp_ieee_overflow 0
		.amdhsa_exception_fp_ieee_underflow 0
		.amdhsa_exception_fp_ieee_inexact 0
		.amdhsa_exception_int_div_zero 0
	.end_amdhsa_kernel
	.text
.Lfunc_end1:
	.size	_ZN5aiter15initializeScaleEPfif, .Lfunc_end1-_ZN5aiter15initializeScaleEPfif
                                        ; -- End function
	.section	.AMDGPU.csdata,"",@progbits
; Kernel info:
; codeLenInByte = 124
; NumSgprs: 18
; NumVgprs: 3
; ScratchSize: 0
; MemoryBound: 0
; FloatMode: 240
; IeeeMode: 1
; LDSByteSize: 0 bytes/workgroup (compile time only)
; SGPRBlocks: 2
; VGPRBlocks: 0
; NumSGPRsForWavesPerEU: 18
; NumVGPRsForWavesPerEU: 3
; Occupancy: 16
; WaveLimiterHint : 0
; COMPUTE_PGM_RSRC2:SCRATCH_EN: 0
; COMPUTE_PGM_RSRC2:USER_SGPR: 15
; COMPUTE_PGM_RSRC2:TRAP_HANDLER: 0
; COMPUTE_PGM_RSRC2:TGID_X_EN: 1
; COMPUTE_PGM_RSRC2:TGID_Y_EN: 0
; COMPUTE_PGM_RSRC2:TGID_Z_EN: 0
; COMPUTE_PGM_RSRC2:TIDIG_COMP_CNT: 0
	.section	.text._ZN5aiter19scaled_quant_kernelIDF16_DB8_EEvPT0_PKT_PKfi,"axG",@progbits,_ZN5aiter19scaled_quant_kernelIDF16_DB8_EEvPT0_PKT_PKfi,comdat
	.protected	_ZN5aiter19scaled_quant_kernelIDF16_DB8_EEvPT0_PKT_PKfi ; -- Begin function _ZN5aiter19scaled_quant_kernelIDF16_DB8_EEvPT0_PKT_PKfi
	.globl	_ZN5aiter19scaled_quant_kernelIDF16_DB8_EEvPT0_PKT_PKfi
	.p2align	8
	.type	_ZN5aiter19scaled_quant_kernelIDF16_DB8_EEvPT0_PKT_PKfi,@function
_ZN5aiter19scaled_quant_kernelIDF16_DB8_EEvPT0_PKT_PKfi: ; @_ZN5aiter19scaled_quant_kernelIDF16_DB8_EEvPT0_PKT_PKfi
; %bb.0:
	s_clause 0x2
	s_load_b32 s9, s[0:1], 0x18
	s_load_b64 s[4:5], s[0:1], 0x10
	s_load_b128 s[0:3], s[0:1], 0x0
	s_mov_b32 s11, 0
                                        ; implicit-def: $vgpr1_vgpr2_vgpr3_vgpr4_vgpr5_vgpr6_vgpr7_vgpr8
	s_waitcnt lgkmcnt(0)
	s_mul_i32 s10, s15, s9
	s_load_b32 s12, s[4:5], 0x0
	s_lshl_b64 s[4:5], s[10:11], 1
	s_delay_alu instid0(SALU_CYCLE_1)
	s_add_u32 s4, s2, s4
	s_addc_u32 s2, s3, s5
	s_add_i32 s3, s9, 15
	s_add_i32 s6, s9, 1
	s_ashr_i32 s5, s3, 31
	s_lshr_b32 s7, s6, 31
	s_lshr_b32 s5, s5, 28
	s_add_i32 s6, s6, s7
	s_add_i32 s3, s3, s5
	s_and_b32 s5, s2, 0xffff
	s_ashr_i32 s8, s3, 4
	s_lshl_b32 s3, s6, 1
	s_mov_b32 s2, exec_lo
	s_and_b32 s6, s3, -4
	v_cmpx_gt_u32_e64 s8, v0
; %bb.1:
	v_lshlrev_b32_e32 v5, 5, v0
	s_mov_b32 s7, -1
	s_clause 0x1
	buffer_load_b128 v[1:4], v5, s[4:7], 0 offen
	buffer_load_b128 v[5:8], v5, s[4:7], 16 offen
; %bb.2:
	s_or_b32 exec_lo, exec_lo, s2
	s_add_u32 s0, s0, s10
	s_addc_u32 s1, s1, 0
	s_add_i32 s2, s9, 3
	s_waitcnt lgkmcnt(0)
	v_rcp_f32_e32 v19, s12
	s_ashr_i32 s3, s2, 31
	v_dual_mov_b32 v18, 0 :: v_dual_add_nc_u32 v17, 0x100, v0
	s_lshr_b32 s3, s3, 30
	s_and_b32 s1, s1, 0xffff
	s_add_i32 s2, s2, s3
	s_ashr_i32 s9, s8, 31
	s_and_b32 s2, s2, -4
	s_mov_b32 s10, exec_lo
	v_cmpx_gt_u32_e64 s8, v17
	s_cbranch_execz .LBB2_6
; %bb.3:
	v_dual_mov_b32 v21, 0xc3e00000 :: v_dual_lshlrev_b32 v20, 4, v0
	v_lshl_add_u32 v0, v0, 5, 0x2000
	v_mov_b32_e32 v22, 0x43e00000
	s_mov_b32 s7, -1
	s_delay_alu instid0(SALU_CYCLE_1)
	s_mov_b32 s3, s7
.LBB2_4:                                ; =>This Inner Loop Header: Depth=1
	s_clause 0x1
	buffer_load_b128 v[9:12], v0, s[4:7], 0 offen
	buffer_load_b128 v[13:16], v0, s[4:7], 16 offen
	s_waitcnt vmcnt(3)
	v_cvt_f32_f16_e32 v23, v1
	v_lshrrev_b32_e32 v1, 16, v1
	v_cvt_f32_f16_e32 v24, v2
	v_lshrrev_b32_e32 v2, 16, v2
	v_cvt_f32_f16_e32 v25, v3
	v_lshrrev_b32_e32 v3, 16, v3
	v_cvt_f32_f16_e32 v26, v4
	v_lshrrev_b32_e32 v4, 16, v4
	s_waitcnt vmcnt(2)
	v_cvt_f32_f16_e32 v27, v5
	v_lshrrev_b32_e32 v5, 16, v5
	v_cvt_f32_f16_e32 v28, v6
	v_lshrrev_b32_e32 v6, 16, v6
	v_cvt_f32_f16_e32 v1, v1
	v_cvt_f32_f16_e32 v29, v7
	v_lshrrev_b32_e32 v7, 16, v7
	v_cvt_f32_f16_e32 v2, v2
	;; [unrolled: 3-line block ×3, first 2 shown]
	v_cvt_f32_f16_e32 v4, v4
	v_cvt_f32_f16_e32 v5, v5
	;; [unrolled: 1-line block ×3, first 2 shown]
	v_dual_mul_f32 v23, v19, v23 :: v_dual_add_nc_u32 v0, 0x2000, v0
	v_mul_f32_e32 v1, v19, v1
	v_cvt_f32_f16_e32 v7, v7
	v_mul_f32_e32 v24, v19, v24
	v_mul_f32_e32 v2, v19, v2
	;;#ASMSTART
	v_med3_f32 v23, v23, v21, v22
v_med3_f32 v1, v1, v21, v22
v_cvt_pk_fp8_f32 v31, v23, v1
	;;#ASMEND
	v_cvt_f32_f16_e32 v8, v8
	v_mul_f32_e32 v25, v19, v25
	v_mul_f32_e32 v3, v19, v3
	;;#ASMSTART
	v_med3_f32 v24, v24, v21, v22
v_med3_f32 v2, v2, v21, v22
v_cvt_pk_fp8_f32 v1, v24, v2
	;;#ASMEND
	v_mul_f32_e32 v26, v19, v26
	v_mul_f32_e32 v4, v19, v4
	;;#ASMSTART
	v_med3_f32 v25, v25, v21, v22
v_med3_f32 v3, v3, v21, v22
v_cvt_pk_fp8_f32 v2, v25, v3
	;;#ASMEND
	;; [unrolled: 7-line block ×6, first 2 shown]
	;;#ASMSTART
	v_med3_f32 v30, v30, v21, v22
v_med3_f32 v8, v8, v21, v22
v_cvt_pk_fp8_f32 v7, v30, v8
	;;#ASMEND
	v_perm_b32 v8, v1, v31, 0x5040100
	v_add_co_u32 v17, vcc_lo, 0x100, v17
	v_add_co_ci_u32_e32 v18, vcc_lo, 0, v18, vcc_lo
	v_perm_b32 v2, v2, v3, 0x1000504
	v_perm_b32 v3, v4, v5, 0x1000504
	;; [unrolled: 1-line block ×4, first 2 shown]
	v_cmp_le_u64_e32 vcc_lo, s[8:9], v[17:18]
	buffer_store_b128 v[1:4], v20, s[0:3], 0 offen
	v_add_nc_u32_e32 v20, 0x1000, v20
	s_or_b32 s11, vcc_lo, s11
	;;#ASMSTART
	s_nop 0
	;;#ASMEND
	s_waitcnt vmcnt(0)
	v_dual_mov_b32 v1, v9 :: v_dual_mov_b32 v4, v12
	v_dual_mov_b32 v2, v10 :: v_dual_mov_b32 v3, v11
	v_dual_mov_b32 v5, v13 :: v_dual_mov_b32 v6, v14
	v_dual_mov_b32 v7, v15 :: v_dual_mov_b32 v8, v16
	s_and_not1_b32 exec_lo, exec_lo, s11
	s_cbranch_execnz .LBB2_4
; %bb.5:
	s_or_b32 exec_lo, exec_lo, s11
	v_dual_mov_b32 v1, v9 :: v_dual_mov_b32 v2, v10
	v_dual_mov_b32 v3, v11 :: v_dual_mov_b32 v4, v12
	v_dual_mov_b32 v5, v13 :: v_dual_mov_b32 v6, v14
	v_dual_mov_b32 v7, v15 :: v_dual_mov_b32 v8, v16
.LBB2_6:
	s_or_b32 exec_lo, exec_lo, s10
	v_add_co_u32 v9, vcc_lo, 0xffffff00, v17
	v_add_co_ci_u32_e32 v10, vcc_lo, -1, v18, vcc_lo
	s_mov_b32 s3, exec_lo
	s_delay_alu instid0(VALU_DEP_1)
	v_cmpx_gt_u64_e64 s[8:9], v[9:10]
	s_cbranch_execz .LBB2_8
; %bb.7:
	s_waitcnt vmcnt(1)
	v_lshrrev_b32_e32 v0, 16, v1
	v_lshrrev_b32_e32 v10, 16, v2
	v_cvt_f32_f16_e32 v1, v1
	v_lshrrev_b32_e32 v11, 16, v3
	v_cvt_f32_f16_e32 v2, v2
	v_cvt_f32_f16_e32 v0, v0
	;; [unrolled: 1-line block ×3, first 2 shown]
	v_lshrrev_b32_e32 v12, 16, v4
	s_waitcnt vmcnt(0)
	v_lshrrev_b32_e32 v13, 16, v5
	v_dual_mul_f32 v0, v19, v0 :: v_dual_lshlrev_b32 v9, 4, v9
	v_cvt_f32_f16_e32 v3, v3
	v_cvt_f32_f16_e32 v11, v11
	v_lshrrev_b32_e32 v14, 16, v6
	v_lshrrev_b32_e32 v15, 16, v7
	v_dual_mul_f32 v1, v19, v1 :: v_dual_mov_b32 v16, 0xc3e00000
	v_lshrrev_b32_e32 v18, 16, v8
	v_dual_mov_b32 v17, 0x43e00000 :: v_dual_mul_f32 v2, v19, v2
	v_mul_f32_e32 v10, v19, v10
	;;#ASMSTART
	v_med3_f32 v1, v1, v16, v17
v_med3_f32 v0, v0, v16, v17
v_cvt_pk_fp8_f32 v20, v1, v0
	;;#ASMEND
	v_cvt_f32_f16_e32 v4, v4
	v_cvt_f32_f16_e32 v12, v12
	;;#ASMSTART
	v_med3_f32 v2, v2, v16, v17
v_med3_f32 v10, v10, v16, v17
v_cvt_pk_fp8_f32 v0, v2, v10
	;;#ASMEND
	v_perm_b32 v1, v0, v20, 0x5040100
	v_cvt_f32_f16_e32 v5, v5
	v_cvt_f32_f16_e32 v13, v13
	v_cvt_f32_f16_e32 v6, v6
	v_cvt_f32_f16_e32 v14, v14
	v_cvt_f32_f16_e32 v7, v7
	v_cvt_f32_f16_e32 v15, v15
	v_mul_f32_e32 v2, v19, v3
	v_mul_f32_e32 v3, v19, v11
	v_cvt_f32_f16_e32 v11, v18
	v_cvt_f32_f16_e32 v8, v8
	v_mul_f32_e32 v4, v19, v4
	v_mul_f32_e32 v10, v19, v12
	v_perm_b32 v0, v1, v0, 0x1060504
	;;#ASMSTART
	v_med3_f32 v2, v2, v16, v17
v_med3_f32 v3, v3, v16, v17
v_cvt_pk_fp8_f32 v1, v2, v3
	;;#ASMEND
	;;#ASMSTART
	v_med3_f32 v4, v4, v16, v17
v_med3_f32 v10, v10, v16, v17
v_cvt_pk_fp8_f32 v2, v4, v10
	;;#ASMEND
	v_perm_b32 v1, v1, v2, 0x1000504
	v_mul_f32_e32 v2, v19, v5
	v_mul_f32_e32 v3, v19, v13
	;; [unrolled: 1-line block ×7, first 2 shown]
	;;#ASMSTART
	v_med3_f32 v2, v2, v16, v17
v_med3_f32 v3, v3, v16, v17
v_cvt_pk_fp8_f32 v11, v2, v3
	;;#ASMEND
	v_mul_f32_e32 v8, v19, v8
	;;#ASMSTART
	v_med3_f32 v4, v4, v16, v17
v_med3_f32 v5, v5, v16, v17
v_cvt_pk_fp8_f32 v2, v4, v5
	;;#ASMEND
	;;#ASMSTART
	v_med3_f32 v6, v6, v16, v17
v_med3_f32 v7, v7, v16, v17
v_cvt_pk_fp8_f32 v3, v6, v7
	;;#ASMEND
	v_perm_b32 v2, v11, v2, 0x1000504
	;;#ASMSTART
	v_med3_f32 v8, v8, v16, v17
v_med3_f32 v10, v10, v16, v17
v_cvt_pk_fp8_f32 v4, v8, v10
	;;#ASMEND
	v_perm_b32 v3, v3, v4, 0x1000504
	s_mov_b32 s3, -1
	buffer_store_b128 v[0:3], v9, s[0:3], 0 offen
	;;#ASMSTART
	s_nop 0
	;;#ASMEND
.LBB2_8:
	s_nop 0
	s_sendmsg sendmsg(MSG_DEALLOC_VGPRS)
	s_endpgm
	.section	.rodata,"a",@progbits
	.p2align	6, 0x0
	.amdhsa_kernel _ZN5aiter19scaled_quant_kernelIDF16_DB8_EEvPT0_PKT_PKfi
		.amdhsa_group_segment_fixed_size 0
		.amdhsa_private_segment_fixed_size 0
		.amdhsa_kernarg_size 28
		.amdhsa_user_sgpr_count 15
		.amdhsa_user_sgpr_dispatch_ptr 0
		.amdhsa_user_sgpr_queue_ptr 0
		.amdhsa_user_sgpr_kernarg_segment_ptr 1
		.amdhsa_user_sgpr_dispatch_id 0
		.amdhsa_user_sgpr_private_segment_size 0
		.amdhsa_wavefront_size32 1
		.amdhsa_uses_dynamic_stack 0
		.amdhsa_enable_private_segment 0
		.amdhsa_system_sgpr_workgroup_id_x 1
		.amdhsa_system_sgpr_workgroup_id_y 0
		.amdhsa_system_sgpr_workgroup_id_z 0
		.amdhsa_system_sgpr_workgroup_info 0
		.amdhsa_system_vgpr_workitem_id 0
		.amdhsa_next_free_vgpr 32
		.amdhsa_next_free_sgpr 16
		.amdhsa_reserve_vcc 1
		.amdhsa_float_round_mode_32 0
		.amdhsa_float_round_mode_16_64 0
		.amdhsa_float_denorm_mode_32 3
		.amdhsa_float_denorm_mode_16_64 3
		.amdhsa_dx10_clamp 1
		.amdhsa_ieee_mode 1
		.amdhsa_fp16_overflow 0
		.amdhsa_workgroup_processor_mode 1
		.amdhsa_memory_ordered 1
		.amdhsa_forward_progress 0
		.amdhsa_shared_vgpr_count 0
		.amdhsa_exception_fp_ieee_invalid_op 0
		.amdhsa_exception_fp_denorm_src 0
		.amdhsa_exception_fp_ieee_div_zero 0
		.amdhsa_exception_fp_ieee_overflow 0
		.amdhsa_exception_fp_ieee_underflow 0
		.amdhsa_exception_fp_ieee_inexact 0
		.amdhsa_exception_int_div_zero 0
	.end_amdhsa_kernel
	.section	.text._ZN5aiter19scaled_quant_kernelIDF16_DB8_EEvPT0_PKT_PKfi,"axG",@progbits,_ZN5aiter19scaled_quant_kernelIDF16_DB8_EEvPT0_PKT_PKfi,comdat
.Lfunc_end2:
	.size	_ZN5aiter19scaled_quant_kernelIDF16_DB8_EEvPT0_PKT_PKfi, .Lfunc_end2-_ZN5aiter19scaled_quant_kernelIDF16_DB8_EEvPT0_PKT_PKfi
                                        ; -- End function
	.section	.AMDGPU.csdata,"",@progbits
; Kernel info:
; codeLenInByte = 1964
; NumSgprs: 18
; NumVgprs: 32
; ScratchSize: 0
; MemoryBound: 0
; FloatMode: 240
; IeeeMode: 1
; LDSByteSize: 0 bytes/workgroup (compile time only)
; SGPRBlocks: 2
; VGPRBlocks: 3
; NumSGPRsForWavesPerEU: 18
; NumVGPRsForWavesPerEU: 32
; Occupancy: 16
; WaveLimiterHint : 0
; COMPUTE_PGM_RSRC2:SCRATCH_EN: 0
; COMPUTE_PGM_RSRC2:USER_SGPR: 15
; COMPUTE_PGM_RSRC2:TRAP_HANDLER: 0
; COMPUTE_PGM_RSRC2:TGID_X_EN: 1
; COMPUTE_PGM_RSRC2:TGID_Y_EN: 0
; COMPUTE_PGM_RSRC2:TGID_Z_EN: 0
; COMPUTE_PGM_RSRC2:TIDIG_COMP_CNT: 0
	.section	.text._ZN5aiter19scaled_quant_kernelItDB8_EEvPT0_PKT_PKfi,"axG",@progbits,_ZN5aiter19scaled_quant_kernelItDB8_EEvPT0_PKT_PKfi,comdat
	.protected	_ZN5aiter19scaled_quant_kernelItDB8_EEvPT0_PKT_PKfi ; -- Begin function _ZN5aiter19scaled_quant_kernelItDB8_EEvPT0_PKT_PKfi
	.globl	_ZN5aiter19scaled_quant_kernelItDB8_EEvPT0_PKT_PKfi
	.p2align	8
	.type	_ZN5aiter19scaled_quant_kernelItDB8_EEvPT0_PKT_PKfi,@function
_ZN5aiter19scaled_quant_kernelItDB8_EEvPT0_PKT_PKfi: ; @_ZN5aiter19scaled_quant_kernelItDB8_EEvPT0_PKT_PKfi
; %bb.0:
	s_clause 0x2
	s_load_b32 s9, s[0:1], 0x18
	s_load_b64 s[4:5], s[0:1], 0x10
	s_load_b128 s[0:3], s[0:1], 0x0
	s_mov_b32 s11, 0
                                        ; implicit-def: $vgpr1_vgpr2_vgpr3_vgpr4_vgpr5_vgpr6_vgpr7_vgpr8
	s_waitcnt lgkmcnt(0)
	s_mul_i32 s10, s15, s9
	s_load_b32 s12, s[4:5], 0x0
	s_lshl_b64 s[4:5], s[10:11], 1
	s_delay_alu instid0(SALU_CYCLE_1)
	s_add_u32 s4, s2, s4
	s_addc_u32 s2, s3, s5
	s_add_i32 s3, s9, 15
	s_add_i32 s6, s9, 1
	s_ashr_i32 s5, s3, 31
	s_lshr_b32 s7, s6, 31
	s_lshr_b32 s5, s5, 28
	s_add_i32 s6, s6, s7
	s_add_i32 s3, s3, s5
	s_and_b32 s5, s2, 0xffff
	s_ashr_i32 s8, s3, 4
	s_lshl_b32 s3, s6, 1
	s_mov_b32 s2, exec_lo
	s_and_b32 s6, s3, -4
	v_cmpx_gt_u32_e64 s8, v0
; %bb.1:
	v_lshlrev_b32_e32 v5, 5, v0
	s_mov_b32 s7, -1
	s_clause 0x1
	buffer_load_b128 v[1:4], v5, s[4:7], 0 offen
	buffer_load_b128 v[5:8], v5, s[4:7], 16 offen
; %bb.2:
	s_or_b32 exec_lo, exec_lo, s2
	s_add_u32 s0, s0, s10
	s_addc_u32 s1, s1, 0
	s_add_i32 s2, s9, 3
	s_waitcnt lgkmcnt(0)
	v_rcp_f32_e32 v19, s12
	s_ashr_i32 s3, s2, 31
	v_dual_mov_b32 v18, 0 :: v_dual_add_nc_u32 v17, 0x100, v0
	s_lshr_b32 s3, s3, 30
	s_and_b32 s1, s1, 0xffff
	s_add_i32 s2, s2, s3
	s_ashr_i32 s9, s8, 31
	s_and_b32 s2, s2, -4
	s_mov_b32 s10, exec_lo
	v_cmpx_gt_u32_e64 s8, v17
	s_cbranch_execz .LBB3_6
; %bb.3:
	v_dual_mov_b32 v21, 0xc3e00000 :: v_dual_lshlrev_b32 v20, 4, v0
	v_lshl_add_u32 v0, v0, 5, 0x2000
	v_mov_b32_e32 v22, 0x43e00000
	s_mov_b32 s7, -1
	s_delay_alu instid0(SALU_CYCLE_1)
	s_mov_b32 s3, s7
.LBB3_4:                                ; =>This Inner Loop Header: Depth=1
	s_clause 0x1
	buffer_load_b128 v[9:12], v0, s[4:7], 0 offen
	buffer_load_b128 v[13:16], v0, s[4:7], 16 offen
	s_waitcnt vmcnt(3)
	v_and_b32_e32 v24, 0xffff, v2
	v_lshrrev_b32_e32 v2, 16, v2
	v_add_co_u32 v17, vcc_lo, 0x100, v17
	v_add_co_ci_u32_e32 v18, vcc_lo, 0, v18, vcc_lo
	s_delay_alu instid0(VALU_DEP_4)
	v_cvt_f32_u32_e32 v24, v24
	v_and_b32_e32 v23, 0xffff, v1
	v_lshrrev_b32_e32 v1, 16, v1
	v_cvt_f32_u32_e32 v2, v2
	v_and_b32_e32 v25, 0xffff, v3
	v_lshrrev_b32_e32 v3, 16, v3
	v_mul_f32_e32 v24, v19, v24
	v_cvt_f32_u32_e32 v1, v1
	v_mul_f32_e32 v2, v19, v2
	v_and_b32_e32 v26, 0xffff, v4
	v_lshrrev_b32_e32 v4, 16, v4
	v_cvt_f32_u32_e32 v23, v23
	v_mul_f32_e32 v1, v19, v1
	v_cvt_f32_u32_e32 v25, v25
	v_cvt_f32_u32_e32 v26, v26
	s_waitcnt vmcnt(2)
	v_and_b32_e32 v27, 0xffff, v5
	v_lshrrev_b32_e32 v5, 16, v5
	v_dual_mul_f32 v25, v19, v25 :: v_dual_and_b32 v28, 0xffff, v6
	v_lshrrev_b32_e32 v6, 16, v6
	v_cvt_f32_u32_e32 v4, v4
	v_and_b32_e32 v29, 0xffff, v7
	v_lshrrev_b32_e32 v7, 16, v7
	v_cvt_f32_u32_e32 v3, v3
	v_and_b32_e32 v30, 0xffff, v8
	v_lshrrev_b32_e32 v8, 16, v8
	v_cvt_f32_u32_e32 v5, v5
	v_mul_f32_e32 v26, v19, v26
	v_mul_f32_e32 v3, v19, v3
	v_cvt_f32_u32_e32 v27, v27
	v_cvt_f32_u32_e32 v28, v28
	;; [unrolled: 1-line block ×3, first 2 shown]
	v_mul_f32_e32 v23, v19, v23
	v_cvt_f32_u32_e32 v7, v7
	v_mul_f32_e32 v4, v19, v4
	v_cvt_f32_u32_e32 v29, v29
	;;#ASMSTART
	v_med3_f32 v23, v23, v21, v22
v_med3_f32 v1, v1, v21, v22
v_cvt_pk_fp8_f32 v31, v23, v1
	;;#ASMEND
	v_cvt_f32_u32_e32 v30, v30
	v_cvt_f32_u32_e32 v8, v8
	;;#ASMSTART
	v_med3_f32 v24, v24, v21, v22
v_med3_f32 v2, v2, v21, v22
v_cvt_pk_fp8_f32 v1, v24, v2
	;;#ASMEND
	;;#ASMSTART
	v_med3_f32 v25, v25, v21, v22
v_med3_f32 v3, v3, v21, v22
v_cvt_pk_fp8_f32 v2, v25, v3
	;;#ASMEND
	v_dual_mul_f32 v27, v19, v27 :: v_dual_add_nc_u32 v0, 0x2000, v0
	v_mul_f32_e32 v5, v19, v5
	;;#ASMSTART
	v_med3_f32 v26, v26, v21, v22
v_med3_f32 v4, v4, v21, v22
v_cvt_pk_fp8_f32 v3, v26, v4
	;;#ASMEND
	v_mul_f32_e32 v28, v19, v28
	v_mul_f32_e32 v6, v19, v6
	;;#ASMSTART
	v_med3_f32 v27, v27, v21, v22
v_med3_f32 v5, v5, v21, v22
v_cvt_pk_fp8_f32 v4, v27, v5
	;;#ASMEND
	v_mul_f32_e32 v29, v19, v29
	;; [unrolled: 7-line block ×3, first 2 shown]
	v_mul_f32_e32 v8, v19, v8
	;;#ASMSTART
	v_med3_f32 v29, v29, v21, v22
v_med3_f32 v7, v7, v21, v22
v_cvt_pk_fp8_f32 v6, v29, v7
	;;#ASMEND
	;;#ASMSTART
	v_med3_f32 v30, v30, v21, v22
v_med3_f32 v8, v8, v21, v22
v_cvt_pk_fp8_f32 v7, v30, v8
	;;#ASMEND
	v_perm_b32 v8, v1, v31, 0x5040100
	v_perm_b32 v2, v2, v3, 0x1000504
	;; [unrolled: 1-line block ×4, first 2 shown]
	v_cmp_le_u64_e32 vcc_lo, s[8:9], v[17:18]
	v_perm_b32 v1, v8, v1, 0x1060504
	buffer_store_b128 v[1:4], v20, s[0:3], 0 offen
	v_add_nc_u32_e32 v20, 0x1000, v20
	s_or_b32 s11, vcc_lo, s11
	;;#ASMSTART
	s_nop 0
	;;#ASMEND
	s_waitcnt vmcnt(0)
	v_dual_mov_b32 v1, v9 :: v_dual_mov_b32 v4, v12
	v_dual_mov_b32 v2, v10 :: v_dual_mov_b32 v3, v11
	;; [unrolled: 1-line block ×4, first 2 shown]
	s_and_not1_b32 exec_lo, exec_lo, s11
	s_cbranch_execnz .LBB3_4
; %bb.5:
	s_or_b32 exec_lo, exec_lo, s11
	v_dual_mov_b32 v1, v9 :: v_dual_mov_b32 v2, v10
	v_dual_mov_b32 v3, v11 :: v_dual_mov_b32 v4, v12
	;; [unrolled: 1-line block ×4, first 2 shown]
.LBB3_6:
	s_or_b32 exec_lo, exec_lo, s10
	v_add_co_u32 v9, vcc_lo, 0xffffff00, v17
	v_add_co_ci_u32_e32 v10, vcc_lo, -1, v18, vcc_lo
	s_mov_b32 s3, exec_lo
	s_delay_alu instid0(VALU_DEP_1)
	v_cmpx_gt_u64_e64 s[8:9], v[9:10]
	s_cbranch_execz .LBB3_8
; %bb.7:
	s_waitcnt vmcnt(1)
	v_and_b32_e32 v11, 0xffff, v3
	v_lshrrev_b32_e32 v3, 16, v3
	v_mov_b32_e32 v16, 0xc3e00000
	s_waitcnt vmcnt(0)
	v_and_b32_e32 v18, 0xffff, v8
	v_lshrrev_b32_e32 v8, 16, v8
	s_mov_b32 s3, -1
	v_cvt_f32_u32_e32 v3, v3
	v_and_b32_e32 v0, 0xffff, v1
	v_lshrrev_b32_e32 v1, 16, v1
	v_cvt_f32_u32_e32 v8, v8
	s_delay_alu instid0(VALU_DEP_4) | instskip(NEXT) | instid1(VALU_DEP_4)
	v_mul_f32_e32 v3, v19, v3
	v_cvt_f32_u32_e32 v0, v0
	s_delay_alu instid0(VALU_DEP_4) | instskip(SKIP_2) | instid1(VALU_DEP_4)
	v_cvt_f32_u32_e32 v1, v1
	v_and_b32_e32 v10, 0xffff, v2
	v_lshrrev_b32_e32 v2, 16, v2
	v_dual_mul_f32 v0, v19, v0 :: v_dual_lshlrev_b32 v9, 4, v9
	s_delay_alu instid0(VALU_DEP_4) | instskip(NEXT) | instid1(VALU_DEP_4)
	v_mul_f32_e32 v1, v19, v1
	v_cvt_f32_u32_e32 v10, v10
	s_delay_alu instid0(VALU_DEP_4)
	v_cvt_f32_u32_e32 v2, v2
	v_and_b32_e32 v13, 0xffff, v5
	v_lshrrev_b32_e32 v5, 16, v5
	v_mul_f32_e32 v8, v19, v8
	v_mul_f32_e32 v10, v19, v10
	;; [unrolled: 1-line block ×3, first 2 shown]
	v_cvt_f32_u32_e32 v11, v11
	v_mov_b32_e32 v17, 0x43e00000
	;;#ASMSTART
	v_med3_f32 v0, v0, v16, v17
v_med3_f32 v1, v1, v16, v17
v_cvt_pk_fp8_f32 v20, v0, v1
	;;#ASMEND
	;;#ASMSTART
	v_med3_f32 v10, v10, v16, v17
v_med3_f32 v2, v2, v16, v17
v_cvt_pk_fp8_f32 v0, v10, v2
	;;#ASMEND
	v_perm_b32 v1, v0, v20, 0x5040100
	v_mul_f32_e32 v2, v19, v11
	v_cvt_f32_u32_e32 v5, v5
	v_and_b32_e32 v12, 0xffff, v4
	v_lshrrev_b32_e32 v4, 16, v4
	v_perm_b32 v0, v1, v0, 0x1060504
	;;#ASMSTART
	v_med3_f32 v2, v2, v16, v17
v_med3_f32 v3, v3, v16, v17
v_cvt_pk_fp8_f32 v1, v2, v3
	;;#ASMEND
	v_mul_f32_e32 v3, v19, v5
	v_cvt_f32_u32_e32 v12, v12
	v_and_b32_e32 v15, 0xffff, v7
	v_lshrrev_b32_e32 v7, 16, v7
	v_cvt_f32_u32_e32 v4, v4
	v_cvt_f32_u32_e32 v13, v13
	v_mul_f32_e32 v10, v19, v12
	v_cvt_f32_u32_e32 v15, v15
	v_cvt_f32_u32_e32 v7, v7
	v_and_b32_e32 v14, 0xffff, v6
	v_lshrrev_b32_e32 v6, 16, v6
	v_cvt_f32_u32_e32 v11, v18
	v_mul_f32_e32 v4, v19, v4
	v_mul_f32_e32 v7, v19, v7
	v_cvt_f32_u32_e32 v14, v14
	v_cvt_f32_u32_e32 v6, v6
	s_delay_alu instid0(VALU_DEP_1)
	v_mul_f32_e32 v5, v19, v6
	;;#ASMSTART
	v_med3_f32 v10, v10, v16, v17
v_med3_f32 v4, v4, v16, v17
v_cvt_pk_fp8_f32 v2, v10, v4
	;;#ASMEND
	v_perm_b32 v1, v1, v2, 0x1000504
	v_mul_f32_e32 v2, v19, v13
	v_mul_f32_e32 v4, v19, v14
	;; [unrolled: 1-line block ×4, first 2 shown]
	;;#ASMSTART
	v_med3_f32 v2, v2, v16, v17
v_med3_f32 v3, v3, v16, v17
v_cvt_pk_fp8_f32 v11, v2, v3
	;;#ASMEND
	;;#ASMSTART
	v_med3_f32 v4, v4, v16, v17
v_med3_f32 v5, v5, v16, v17
v_cvt_pk_fp8_f32 v2, v4, v5
	;;#ASMEND
	;; [unrolled: 5-line block ×3, first 2 shown]
	v_perm_b32 v2, v11, v2, 0x1000504
	;;#ASMSTART
	v_med3_f32 v10, v10, v16, v17
v_med3_f32 v8, v8, v16, v17
v_cvt_pk_fp8_f32 v4, v10, v8
	;;#ASMEND
	v_perm_b32 v3, v3, v4, 0x1000504
	buffer_store_b128 v[0:3], v9, s[0:3], 0 offen
	;;#ASMSTART
	s_nop 0
	;;#ASMEND
.LBB3_8:
	s_nop 0
	s_sendmsg sendmsg(MSG_DEALLOC_VGPRS)
	s_endpgm
	.section	.rodata,"a",@progbits
	.p2align	6, 0x0
	.amdhsa_kernel _ZN5aiter19scaled_quant_kernelItDB8_EEvPT0_PKT_PKfi
		.amdhsa_group_segment_fixed_size 0
		.amdhsa_private_segment_fixed_size 0
		.amdhsa_kernarg_size 28
		.amdhsa_user_sgpr_count 15
		.amdhsa_user_sgpr_dispatch_ptr 0
		.amdhsa_user_sgpr_queue_ptr 0
		.amdhsa_user_sgpr_kernarg_segment_ptr 1
		.amdhsa_user_sgpr_dispatch_id 0
		.amdhsa_user_sgpr_private_segment_size 0
		.amdhsa_wavefront_size32 1
		.amdhsa_uses_dynamic_stack 0
		.amdhsa_enable_private_segment 0
		.amdhsa_system_sgpr_workgroup_id_x 1
		.amdhsa_system_sgpr_workgroup_id_y 0
		.amdhsa_system_sgpr_workgroup_id_z 0
		.amdhsa_system_sgpr_workgroup_info 0
		.amdhsa_system_vgpr_workitem_id 0
		.amdhsa_next_free_vgpr 32
		.amdhsa_next_free_sgpr 16
		.amdhsa_reserve_vcc 1
		.amdhsa_float_round_mode_32 0
		.amdhsa_float_round_mode_16_64 0
		.amdhsa_float_denorm_mode_32 3
		.amdhsa_float_denorm_mode_16_64 3
		.amdhsa_dx10_clamp 1
		.amdhsa_ieee_mode 1
		.amdhsa_fp16_overflow 0
		.amdhsa_workgroup_processor_mode 1
		.amdhsa_memory_ordered 1
		.amdhsa_forward_progress 0
		.amdhsa_shared_vgpr_count 0
		.amdhsa_exception_fp_ieee_invalid_op 0
		.amdhsa_exception_fp_denorm_src 0
		.amdhsa_exception_fp_ieee_div_zero 0
		.amdhsa_exception_fp_ieee_overflow 0
		.amdhsa_exception_fp_ieee_underflow 0
		.amdhsa_exception_fp_ieee_inexact 0
		.amdhsa_exception_int_div_zero 0
	.end_amdhsa_kernel
	.section	.text._ZN5aiter19scaled_quant_kernelItDB8_EEvPT0_PKT_PKfi,"axG",@progbits,_ZN5aiter19scaled_quant_kernelItDB8_EEvPT0_PKT_PKfi,comdat
.Lfunc_end3:
	.size	_ZN5aiter19scaled_quant_kernelItDB8_EEvPT0_PKT_PKfi, .Lfunc_end3-_ZN5aiter19scaled_quant_kernelItDB8_EEvPT0_PKT_PKfi
                                        ; -- End function
	.section	.AMDGPU.csdata,"",@progbits
; Kernel info:
; codeLenInByte = 2116
; NumSgprs: 18
; NumVgprs: 32
; ScratchSize: 0
; MemoryBound: 0
; FloatMode: 240
; IeeeMode: 1
; LDSByteSize: 0 bytes/workgroup (compile time only)
; SGPRBlocks: 2
; VGPRBlocks: 3
; NumSGPRsForWavesPerEU: 18
; NumVGPRsForWavesPerEU: 32
; Occupancy: 16
; WaveLimiterHint : 0
; COMPUTE_PGM_RSRC2:SCRATCH_EN: 0
; COMPUTE_PGM_RSRC2:USER_SGPR: 15
; COMPUTE_PGM_RSRC2:TRAP_HANDLER: 0
; COMPUTE_PGM_RSRC2:TGID_X_EN: 1
; COMPUTE_PGM_RSRC2:TGID_Y_EN: 0
; COMPUTE_PGM_RSRC2:TGID_Z_EN: 0
; COMPUTE_PGM_RSRC2:TIDIG_COMP_CNT: 0
	.section	.text._ZN5aiter19scaled_quant_kernelIDF16_aEEvPT0_PKT_PKfi,"axG",@progbits,_ZN5aiter19scaled_quant_kernelIDF16_aEEvPT0_PKT_PKfi,comdat
	.protected	_ZN5aiter19scaled_quant_kernelIDF16_aEEvPT0_PKT_PKfi ; -- Begin function _ZN5aiter19scaled_quant_kernelIDF16_aEEvPT0_PKT_PKfi
	.globl	_ZN5aiter19scaled_quant_kernelIDF16_aEEvPT0_PKT_PKfi
	.p2align	8
	.type	_ZN5aiter19scaled_quant_kernelIDF16_aEEvPT0_PKT_PKfi,@function
_ZN5aiter19scaled_quant_kernelIDF16_aEEvPT0_PKT_PKfi: ; @_ZN5aiter19scaled_quant_kernelIDF16_aEEvPT0_PKT_PKfi
; %bb.0:
	s_clause 0x2
	s_load_b32 s9, s[0:1], 0x18
	s_load_b64 s[4:5], s[0:1], 0x10
	s_load_b128 s[0:3], s[0:1], 0x0
	s_mov_b32 s11, 0
                                        ; implicit-def: $vgpr8_vgpr9_vgpr10_vgpr11_vgpr12_vgpr13_vgpr14_vgpr15
	s_waitcnt lgkmcnt(0)
	s_mul_i32 s10, s15, s9
	s_load_b32 s12, s[4:5], 0x0
	s_lshl_b64 s[4:5], s[10:11], 1
	s_delay_alu instid0(SALU_CYCLE_1)
	s_add_u32 s4, s2, s4
	s_addc_u32 s2, s3, s5
	s_add_i32 s3, s9, 15
	s_add_i32 s6, s9, 1
	s_ashr_i32 s5, s3, 31
	s_lshr_b32 s7, s6, 31
	s_lshr_b32 s5, s5, 28
	s_add_i32 s6, s6, s7
	s_add_i32 s3, s3, s5
	s_and_b32 s5, s2, 0xffff
	s_ashr_i32 s8, s3, 4
	s_lshl_b32 s3, s6, 1
	s_mov_b32 s2, exec_lo
	s_and_b32 s6, s3, -4
	v_cmpx_gt_u32_e64 s8, v0
; %bb.1:
	v_lshlrev_b32_e32 v1, 5, v0
	s_mov_b32 s7, -1
	s_clause 0x1
	buffer_load_b128 v[8:11], v1, s[4:7], 0 offen
	buffer_load_b128 v[12:15], v1, s[4:7], 16 offen
; %bb.2:
	s_or_b32 exec_lo, exec_lo, s2
	s_add_u32 s0, s0, s10
	s_addc_u32 s1, s1, 0
	s_add_i32 s2, s9, 3
	s_waitcnt lgkmcnt(0)
	v_rcp_f32_e32 v18, s12
	s_ashr_i32 s3, s2, 31
	v_dual_mov_b32 v17, 0 :: v_dual_add_nc_u32 v16, 0x100, v0
	s_lshr_b32 s3, s3, 30
	s_and_b32 s1, s1, 0xffff
	s_add_i32 s2, s2, s3
	s_ashr_i32 s9, s8, 31
	s_and_b32 s2, s2, -4
	s_mov_b32 s10, exec_lo
	v_cmpx_gt_u32_e64 s8, v16
	s_cbranch_execz .LBB4_6
; %bb.3:
	v_lshlrev_b32_e32 v19, 4, v0
	v_lshl_add_u32 v20, v0, 5, 0x2000
	s_mov_b32 s7, -1
	s_delay_alu instid0(SALU_CYCLE_1)
	s_mov_b32 s3, s7
.LBB4_4:                                ; =>This Inner Loop Header: Depth=1
	s_clause 0x1
	buffer_load_b128 v[0:3], v20, s[4:7], 0 offen
	buffer_load_b128 v[4:7], v20, s[4:7], 16 offen
	s_waitcnt vmcnt(2)
	v_cvt_f32_f16_e32 v26, v13
	v_lshrrev_b32_e32 v13, 16, v13
	v_cvt_f32_f16_e32 v28, v15
	v_lshrrev_b32_e32 v15, 16, v15
	v_cvt_f32_f16_e32 v23, v10
	v_mul_f32_e32 v26, v18, v26
	v_cvt_f32_f16_e32 v13, v13
	v_lshrrev_b32_e32 v10, 16, v10
	v_cvt_f32_f16_e32 v15, v15
	v_mul_f32_e32 v28, v18, v28
	v_cvt_i32_f32_e32 v26, v26
	v_mul_f32_e32 v13, v18, v13
	v_cvt_f32_f16_e32 v21, v8
	v_mul_f32_e32 v15, v18, v15
	v_lshrrev_b32_e32 v8, 16, v8
	v_cvt_f32_f16_e32 v10, v10
	v_cvt_i32_f32_e32 v13, v13
	v_dual_mul_f32 v23, v18, v23 :: v_dual_and_b32 v26, 0xff, v26
	v_cvt_i32_f32_e32 v28, v28
	v_cvt_i32_f32_e32 v15, v15
	s_delay_alu instid0(VALU_DEP_4) | instskip(SKIP_1) | instid1(VALU_DEP_4)
	v_lshlrev_b16 v13, 8, v13
	v_cvt_f32_f16_e32 v8, v8
	v_dual_mul_f32 v21, v18, v21 :: v_dual_and_b32 v28, 0xff, v28
	s_delay_alu instid0(VALU_DEP_4) | instskip(NEXT) | instid1(VALU_DEP_4)
	v_lshlrev_b16 v15, 8, v15
	v_or_b32_e32 v13, v26, v13
	v_mul_f32_e32 v10, v18, v10
	v_cvt_f32_f16_e32 v25, v12
	v_lshrrev_b32_e32 v12, 16, v12
	v_cvt_f32_f16_e32 v27, v14
	v_lshlrev_b32_e32 v13, 16, v13
	v_lshrrev_b32_e32 v14, 16, v14
	v_cvt_i32_f32_e32 v23, v23
	v_cvt_i32_f32_e32 v10, v10
	v_or_b32_e32 v15, v28, v15
	v_mul_f32_e32 v8, v18, v8
	v_cvt_f32_f16_e32 v12, v12
	v_cvt_f32_f16_e32 v14, v14
	v_cvt_i32_f32_e32 v21, v21
	v_lshlrev_b32_e32 v15, 16, v15
	v_cvt_i32_f32_e32 v8, v8
	v_and_b32_e32 v23, 0xff, v23
	v_lshlrev_b16 v10, 8, v10
	v_mul_f32_e32 v25, v18, v25
	v_mul_f32_e32 v27, v18, v27
	v_dual_mul_f32 v14, v18, v14 :: v_dual_and_b32 v21, 0xff, v21
	v_lshlrev_b16 v8, 8, v8
	v_or_b32_e32 v10, v23, v10
	v_mul_f32_e32 v12, v18, v12
	v_cvt_f32_f16_e32 v22, v9
	v_lshrrev_b32_e32 v9, 16, v9
	v_cvt_f32_f16_e32 v24, v11
	v_lshrrev_b32_e32 v11, 16, v11
	v_cvt_i32_f32_e32 v25, v25
	v_cvt_i32_f32_e32 v27, v27
	;; [unrolled: 1-line block ×3, first 2 shown]
	v_or_b32_e32 v8, v21, v8
	v_and_b32_e32 v21, 0xffff, v10
	v_cvt_i32_f32_e32 v12, v12
	v_cvt_f32_f16_e32 v9, v9
	v_cvt_f32_f16_e32 v11, v11
	v_dual_mul_f32 v22, v18, v22 :: v_dual_and_b32 v27, 0xff, v27
	v_dual_mul_f32 v24, v18, v24 :: v_dual_and_b32 v25, 0xff, v25
	v_lshlrev_b16 v14, 8, v14
	v_lshlrev_b16 v12, 8, v12
	s_delay_alu instid0(VALU_DEP_4) | instskip(NEXT) | instid1(VALU_DEP_4)
	v_cvt_i32_f32_e32 v22, v22
	v_cvt_i32_f32_e32 v24, v24
	v_and_b32_e32 v8, 0xffff, v8
	v_or_b32_e32 v14, v27, v14
	v_mul_f32_e32 v9, v18, v9
	v_or_b32_e32 v12, v25, v12
	v_dual_mul_f32 v11, v18, v11 :: v_dual_and_b32 v24, 0xff, v24
	s_delay_alu instid0(VALU_DEP_4) | instskip(NEXT) | instid1(VALU_DEP_4)
	v_and_b32_e32 v14, 0xffff, v14
	v_cvt_i32_f32_e32 v9, v9
	s_delay_alu instid0(VALU_DEP_4) | instskip(NEXT) | instid1(VALU_DEP_4)
	v_and_b32_e32 v12, 0xffff, v12
	v_cvt_i32_f32_e32 v11, v11
	v_and_b32_e32 v22, 0xff, v22
	v_add_co_u32 v16, vcc_lo, 0x100, v16
	v_lshlrev_b16 v9, 8, v9
	s_delay_alu instid0(VALU_DEP_4) | instskip(SKIP_2) | instid1(VALU_DEP_4)
	v_lshlrev_b16 v11, 8, v11
	v_add_co_ci_u32_e32 v17, vcc_lo, 0, v17, vcc_lo
	v_or_b32_e32 v10, v12, v13
	v_or_b32_e32 v9, v22, v9
	s_delay_alu instid0(VALU_DEP_4) | instskip(NEXT) | instid1(VALU_DEP_4)
	v_or_b32_e32 v11, v24, v11
	v_cmp_le_u64_e32 vcc_lo, s[8:9], v[16:17]
	v_add_nc_u32_e32 v20, 0x2000, v20
	s_delay_alu instid0(VALU_DEP_4) | instskip(NEXT) | instid1(VALU_DEP_4)
	v_lshlrev_b32_e32 v23, 16, v9
	v_lshlrev_b32_e32 v22, 16, v11
	v_or_b32_e32 v11, v14, v15
	s_or_b32 s11, vcc_lo, s11
	s_delay_alu instid0(VALU_DEP_3) | instskip(NEXT) | instid1(VALU_DEP_3)
	v_or_b32_e32 v8, v8, v23
	v_or_b32_e32 v9, v21, v22
	buffer_store_b128 v[8:11], v19, s[0:3], 0 offen
	v_add_nc_u32_e32 v19, 0x1000, v19
	;;#ASMSTART
	s_nop 0
	;;#ASMEND
	s_waitcnt vmcnt(0)
	v_dual_mov_b32 v15, v7 :: v_dual_mov_b32 v14, v6
	v_dual_mov_b32 v13, v5 :: v_dual_mov_b32 v12, v4
	;; [unrolled: 1-line block ×4, first 2 shown]
	s_and_not1_b32 exec_lo, exec_lo, s11
	s_cbranch_execnz .LBB4_4
; %bb.5:
	s_or_b32 exec_lo, exec_lo, s11
	v_dual_mov_b32 v15, v7 :: v_dual_mov_b32 v14, v6
	v_dual_mov_b32 v13, v5 :: v_dual_mov_b32 v12, v4
	;; [unrolled: 1-line block ×4, first 2 shown]
.LBB4_6:
	s_or_b32 exec_lo, exec_lo, s10
	v_add_co_u32 v0, vcc_lo, 0xffffff00, v16
	v_add_co_ci_u32_e32 v1, vcc_lo, -1, v17, vcc_lo
	s_mov_b32 s3, exec_lo
	s_delay_alu instid0(VALU_DEP_1)
	v_cmpx_gt_u64_e64 s[8:9], v[0:1]
	s_cbranch_execz .LBB4_8
; %bb.7:
	s_waitcnt vmcnt(1)
	v_lshrrev_b32_e32 v2, 16, v9
	v_cvt_f32_f16_e32 v4, v9
	s_waitcnt vmcnt(0)
	v_lshrrev_b32_e32 v9, 16, v12
	v_lshrrev_b32_e32 v1, 16, v8
	v_cvt_f32_f16_e32 v3, v8
	v_lshrrev_b32_e32 v6, 16, v11
	v_cvt_f32_f16_e32 v8, v11
	v_cvt_f32_f16_e32 v11, v12
	;; [unrolled: 1-line block ×3, first 2 shown]
	v_lshrrev_b32_e32 v5, 16, v10
	v_cvt_f32_f16_e32 v2, v2
	v_cvt_f32_f16_e32 v7, v10
	v_mul_f32_e32 v11, v18, v11
	v_mul_f32_e32 v9, v18, v9
	v_lshrrev_b32_e32 v10, 16, v13
	v_cvt_f32_f16_e32 v13, v13
	v_lshrrev_b32_e32 v12, 16, v14
	v_cvt_i32_f32_e32 v11, v11
	v_cvt_i32_f32_e32 v9, v9
	v_cvt_f32_f16_e32 v14, v14
	v_mul_f32_e32 v2, v18, v2
	v_mul_f32_e32 v13, v18, v13
	v_and_b32_e32 v11, 0xff, v11
	v_lshlrev_b16 v9, 8, v9
	v_lshrrev_b32_e32 v16, 16, v15
	v_cvt_f32_f16_e32 v12, v12
	v_cvt_f32_f16_e32 v15, v15
	;; [unrolled: 1-line block ×3, first 2 shown]
	v_or_b32_e32 v9, v11, v9
	v_cvt_i32_f32_e32 v11, v13
	v_mul_f32_e32 v14, v18, v14
	v_cvt_f32_f16_e32 v16, v16
	v_mul_f32_e32 v12, v18, v12
	v_mul_f32_e32 v15, v18, v15
	v_and_b32_e32 v11, 0xff, v11
	v_cvt_i32_f32_e32 v14, v14
	v_mul_f32_e32 v3, v18, v3
	v_cvt_i32_f32_e32 v12, v12
	v_cvt_i32_f32_e32 v15, v15
	v_mul_f32_e32 v4, v18, v4
	v_and_b32_e32 v14, 0xff, v14
	v_cvt_i32_f32_e32 v3, v3
	v_mul_f32_e32 v16, v18, v16
	v_lshlrev_b16 v12, 8, v12
	v_and_b32_e32 v15, 0xff, v15
	v_cvt_i32_f32_e32 v4, v4
	v_and_b32_e32 v3, 0xff, v3
	v_cvt_i32_f32_e32 v16, v16
	v_or_b32_e32 v12, v14, v12
	s_delay_alu instid0(VALU_DEP_4) | instskip(SKIP_1) | instid1(VALU_DEP_4)
	v_dual_mul_f32 v5, v18, v5 :: v_dual_and_b32 v4, 0xff, v4
	v_cvt_f32_f16_e32 v1, v1
	v_lshlrev_b16 v16, 8, v16
	v_cvt_f32_f16_e32 v6, v6
	s_delay_alu instid0(VALU_DEP_4)
	v_cvt_i32_f32_e32 v5, v5
	v_cvt_f32_f16_e32 v10, v10
	v_dual_mul_f32 v1, v18, v1 :: v_dual_and_b32 v12, 0xffff, v12
	v_or_b32_e32 v14, v15, v16
	v_mul_f32_e32 v8, v18, v8
	v_lshlrev_b16 v5, 8, v5
	v_dual_mul_f32 v6, v18, v6 :: v_dual_and_b32 v9, 0xffff, v9
	s_delay_alu instid0(VALU_DEP_4) | instskip(NEXT) | instid1(VALU_DEP_4)
	v_lshlrev_b32_e32 v13, 16, v14
	v_cvt_i32_f32_e32 v8, v8
	v_mul_f32_e32 v7, v18, v7
	v_cvt_i32_f32_e32 v1, v1
	v_cvt_i32_f32_e32 v2, v2
	;; [unrolled: 1-line block ×3, first 2 shown]
	v_and_b32_e32 v8, 0xff, v8
	v_cvt_i32_f32_e32 v7, v7
	v_lshlrev_b16 v1, 8, v1
	v_lshlrev_b16 v2, 8, v2
	;; [unrolled: 1-line block ×3, first 2 shown]
	s_mov_b32 s3, -1
	v_and_b32_e32 v7, 0xff, v7
	v_or_b32_e32 v1, v3, v1
	v_or_b32_e32 v2, v4, v2
	;; [unrolled: 1-line block ×5, first 2 shown]
	v_dual_mul_f32 v10, v18, v10 :: v_dual_and_b32 v7, 0xffff, v1
	s_delay_alu instid0(VALU_DEP_4) | instskip(SKIP_1) | instid1(VALU_DEP_4)
	v_lshlrev_b32_e32 v6, 16, v6
	v_lshlrev_b32_e32 v8, 16, v2
	v_and_b32_e32 v5, 0xffff, v5
	s_delay_alu instid0(VALU_DEP_4) | instskip(NEXT) | instid1(VALU_DEP_2)
	v_cvt_i32_f32_e32 v10, v10
	v_or_b32_e32 v1, v5, v6
	s_delay_alu instid0(VALU_DEP_2) | instskip(NEXT) | instid1(VALU_DEP_1)
	v_lshlrev_b16 v10, 8, v10
	v_or_b32_e32 v10, v11, v10
	s_delay_alu instid0(VALU_DEP_1) | instskip(SKIP_2) | instid1(VALU_DEP_3)
	v_lshlrev_b32_e32 v4, 16, v10
	v_lshlrev_b32_e32 v10, 4, v0
	v_or_b32_e32 v0, v7, v8
	v_or_b32_e32 v2, v9, v4
	buffer_store_b128 v[0:3], v10, s[0:3], 0 offen
	;;#ASMSTART
	s_nop 0
	;;#ASMEND
.LBB4_8:
	s_nop 0
	s_sendmsg sendmsg(MSG_DEALLOC_VGPRS)
	s_endpgm
	.section	.rodata,"a",@progbits
	.p2align	6, 0x0
	.amdhsa_kernel _ZN5aiter19scaled_quant_kernelIDF16_aEEvPT0_PKT_PKfi
		.amdhsa_group_segment_fixed_size 0
		.amdhsa_private_segment_fixed_size 0
		.amdhsa_kernarg_size 28
		.amdhsa_user_sgpr_count 15
		.amdhsa_user_sgpr_dispatch_ptr 0
		.amdhsa_user_sgpr_queue_ptr 0
		.amdhsa_user_sgpr_kernarg_segment_ptr 1
		.amdhsa_user_sgpr_dispatch_id 0
		.amdhsa_user_sgpr_private_segment_size 0
		.amdhsa_wavefront_size32 1
		.amdhsa_uses_dynamic_stack 0
		.amdhsa_enable_private_segment 0
		.amdhsa_system_sgpr_workgroup_id_x 1
		.amdhsa_system_sgpr_workgroup_id_y 0
		.amdhsa_system_sgpr_workgroup_id_z 0
		.amdhsa_system_sgpr_workgroup_info 0
		.amdhsa_system_vgpr_workitem_id 0
		.amdhsa_next_free_vgpr 29
		.amdhsa_next_free_sgpr 16
		.amdhsa_reserve_vcc 1
		.amdhsa_float_round_mode_32 0
		.amdhsa_float_round_mode_16_64 0
		.amdhsa_float_denorm_mode_32 3
		.amdhsa_float_denorm_mode_16_64 3
		.amdhsa_dx10_clamp 1
		.amdhsa_ieee_mode 1
		.amdhsa_fp16_overflow 0
		.amdhsa_workgroup_processor_mode 1
		.amdhsa_memory_ordered 1
		.amdhsa_forward_progress 0
		.amdhsa_shared_vgpr_count 0
		.amdhsa_exception_fp_ieee_invalid_op 0
		.amdhsa_exception_fp_denorm_src 0
		.amdhsa_exception_fp_ieee_div_zero 0
		.amdhsa_exception_fp_ieee_overflow 0
		.amdhsa_exception_fp_ieee_underflow 0
		.amdhsa_exception_fp_ieee_inexact 0
		.amdhsa_exception_int_div_zero 0
	.end_amdhsa_kernel
	.section	.text._ZN5aiter19scaled_quant_kernelIDF16_aEEvPT0_PKT_PKfi,"axG",@progbits,_ZN5aiter19scaled_quant_kernelIDF16_aEEvPT0_PKT_PKfi,comdat
.Lfunc_end4:
	.size	_ZN5aiter19scaled_quant_kernelIDF16_aEEvPT0_PKT_PKfi, .Lfunc_end4-_ZN5aiter19scaled_quant_kernelIDF16_aEEvPT0_PKT_PKfi
                                        ; -- End function
	.section	.AMDGPU.csdata,"",@progbits
; Kernel info:
; codeLenInByte = 1488
; NumSgprs: 18
; NumVgprs: 29
; ScratchSize: 0
; MemoryBound: 0
; FloatMode: 240
; IeeeMode: 1
; LDSByteSize: 0 bytes/workgroup (compile time only)
; SGPRBlocks: 2
; VGPRBlocks: 3
; NumSGPRsForWavesPerEU: 18
; NumVGPRsForWavesPerEU: 29
; Occupancy: 16
; WaveLimiterHint : 0
; COMPUTE_PGM_RSRC2:SCRATCH_EN: 0
; COMPUTE_PGM_RSRC2:USER_SGPR: 15
; COMPUTE_PGM_RSRC2:TRAP_HANDLER: 0
; COMPUTE_PGM_RSRC2:TGID_X_EN: 1
; COMPUTE_PGM_RSRC2:TGID_Y_EN: 0
; COMPUTE_PGM_RSRC2:TGID_Z_EN: 0
; COMPUTE_PGM_RSRC2:TIDIG_COMP_CNT: 0
	.section	.text._ZN5aiter19scaled_quant_kernelItaEEvPT0_PKT_PKfi,"axG",@progbits,_ZN5aiter19scaled_quant_kernelItaEEvPT0_PKT_PKfi,comdat
	.protected	_ZN5aiter19scaled_quant_kernelItaEEvPT0_PKT_PKfi ; -- Begin function _ZN5aiter19scaled_quant_kernelItaEEvPT0_PKT_PKfi
	.globl	_ZN5aiter19scaled_quant_kernelItaEEvPT0_PKT_PKfi
	.p2align	8
	.type	_ZN5aiter19scaled_quant_kernelItaEEvPT0_PKT_PKfi,@function
_ZN5aiter19scaled_quant_kernelItaEEvPT0_PKT_PKfi: ; @_ZN5aiter19scaled_quant_kernelItaEEvPT0_PKT_PKfi
; %bb.0:
	s_clause 0x2
	s_load_b32 s9, s[0:1], 0x18
	s_load_b64 s[4:5], s[0:1], 0x10
	s_load_b128 s[0:3], s[0:1], 0x0
	s_mov_b32 s11, 0
                                        ; implicit-def: $vgpr8_vgpr9_vgpr10_vgpr11_vgpr12_vgpr13_vgpr14_vgpr15
	s_waitcnt lgkmcnt(0)
	s_mul_i32 s10, s15, s9
	s_load_b32 s12, s[4:5], 0x0
	s_lshl_b64 s[4:5], s[10:11], 1
	s_delay_alu instid0(SALU_CYCLE_1)
	s_add_u32 s4, s2, s4
	s_addc_u32 s2, s3, s5
	s_add_i32 s3, s9, 15
	s_add_i32 s6, s9, 1
	s_ashr_i32 s5, s3, 31
	s_lshr_b32 s7, s6, 31
	s_lshr_b32 s5, s5, 28
	s_add_i32 s6, s6, s7
	s_add_i32 s3, s3, s5
	s_and_b32 s5, s2, 0xffff
	s_ashr_i32 s8, s3, 4
	s_lshl_b32 s3, s6, 1
	s_mov_b32 s2, exec_lo
	s_and_b32 s6, s3, -4
	v_cmpx_gt_u32_e64 s8, v0
; %bb.1:
	v_lshlrev_b32_e32 v1, 5, v0
	s_mov_b32 s7, -1
	s_clause 0x1
	buffer_load_b128 v[8:11], v1, s[4:7], 0 offen
	buffer_load_b128 v[12:15], v1, s[4:7], 16 offen
; %bb.2:
	s_or_b32 exec_lo, exec_lo, s2
	s_add_u32 s0, s0, s10
	s_addc_u32 s1, s1, 0
	s_add_i32 s2, s9, 3
	s_waitcnt lgkmcnt(0)
	v_rcp_f32_e32 v18, s12
	s_ashr_i32 s3, s2, 31
	v_dual_mov_b32 v17, 0 :: v_dual_add_nc_u32 v16, 0x100, v0
	s_lshr_b32 s3, s3, 30
	s_and_b32 s1, s1, 0xffff
	s_add_i32 s2, s2, s3
	s_ashr_i32 s9, s8, 31
	s_and_b32 s2, s2, -4
	s_mov_b32 s10, exec_lo
	v_cmpx_gt_u32_e64 s8, v16
	s_cbranch_execz .LBB5_6
; %bb.3:
	v_lshlrev_b32_e32 v19, 4, v0
	v_lshl_add_u32 v20, v0, 5, 0x2000
	s_mov_b32 s7, -1
	s_delay_alu instid0(SALU_CYCLE_1)
	s_mov_b32 s3, s7
.LBB5_4:                                ; =>This Inner Loop Header: Depth=1
	s_clause 0x1
	buffer_load_b128 v[0:3], v20, s[4:7], 0 offen
	buffer_load_b128 v[4:7], v20, s[4:7], 16 offen
	s_waitcnt vmcnt(3)
	v_and_b32_e32 v23, 0xffff, v10
	v_lshrrev_b32_e32 v10, 16, v10
	v_add_co_u32 v16, vcc_lo, 0x100, v16
	v_add_co_ci_u32_e32 v17, vcc_lo, 0, v17, vcc_lo
	s_delay_alu instid0(VALU_DEP_4)
	v_cvt_f32_u32_e32 v23, v23
	v_and_b32_e32 v22, 0xffff, v9
	v_lshrrev_b32_e32 v9, 16, v9
	v_cvt_f32_u32_e32 v10, v10
	s_waitcnt vmcnt(2)
	v_and_b32_e32 v25, 0xffff, v12
	v_mul_f32_e32 v23, v18, v23
	v_cvt_f32_u32_e32 v22, v22
	v_and_b32_e32 v21, 0xffff, v8
	v_cvt_f32_u32_e32 v9, v9
	v_and_b32_e32 v28, 0xffff, v15
	v_mul_f32_e32 v10, v18, v10
	v_mul_f32_e32 v22, v18, v22
	v_cvt_f32_u32_e32 v21, v21
	v_dual_mul_f32 v9, v18, v9 :: v_dual_and_b32 v24, 0xffff, v11
	v_lshrrev_b32_e32 v11, 16, v11
	v_cvt_f32_u32_e32 v28, v28
	s_delay_alu instid0(VALU_DEP_4)
	v_mul_f32_e32 v21, v18, v21
	v_cvt_f32_u32_e32 v25, v25
	v_cvt_f32_u32_e32 v24, v24
	v_and_b32_e32 v27, 0xffff, v14
	v_cvt_f32_u32_e32 v11, v11
	v_and_b32_e32 v26, 0xffff, v13
	v_cvt_i32_f32_e32 v21, v21
	v_mul_f32_e32 v28, v18, v28
	v_lshrrev_b32_e32 v8, 16, v8
	v_lshrrev_b32_e32 v12, 16, v12
	;; [unrolled: 1-line block ×3, first 2 shown]
	v_and_b32_e32 v21, 0xff, v21
	v_lshrrev_b32_e32 v14, 16, v14
	v_lshrrev_b32_e32 v15, 16, v15
	v_mul_f32_e32 v24, v18, v24
	v_cvt_f32_u32_e32 v27, v27
	v_mul_f32_e32 v11, v18, v11
	v_cvt_f32_u32_e32 v26, v26
	v_cvt_i32_f32_e32 v28, v28
	v_mul_f32_e32 v25, v18, v25
	v_cvt_f32_u32_e32 v8, v8
	v_cvt_f32_u32_e32 v12, v12
	;; [unrolled: 1-line block ×3, first 2 shown]
	v_and_b32_e32 v28, 0xff, v28
	v_cvt_f32_u32_e32 v14, v14
	v_cvt_f32_u32_e32 v15, v15
	v_cvt_i32_f32_e32 v24, v24
	v_mul_f32_e32 v27, v18, v27
	v_cvt_i32_f32_e32 v25, v25
	v_mul_f32_e32 v26, v18, v26
	v_mul_f32_e32 v8, v18, v8
	v_cvt_i32_f32_e32 v22, v22
	v_mul_f32_e32 v15, v18, v15
	v_cvt_i32_f32_e32 v23, v23
	v_dual_mul_f32 v14, v18, v14 :: v_dual_and_b32 v25, 0xff, v25
	v_cvt_i32_f32_e32 v26, v26
	v_dual_mul_f32 v13, v18, v13 :: v_dual_and_b32 v24, 0xff, v24
	v_cvt_i32_f32_e32 v27, v27
	v_mul_f32_e32 v12, v18, v12
	v_cvt_i32_f32_e32 v8, v8
	v_cvt_i32_f32_e32 v9, v9
	;; [unrolled: 1-line block ×3, first 2 shown]
	v_and_b32_e32 v27, 0xff, v27
	v_cvt_i32_f32_e32 v11, v11
	v_cvt_i32_f32_e32 v12, v12
	v_and_b32_e32 v26, 0xff, v26
	v_cvt_i32_f32_e32 v13, v13
	v_and_b32_e32 v23, 0xff, v23
	;; [unrolled: 2-line block ×3, first 2 shown]
	v_cvt_i32_f32_e32 v15, v15
	v_lshlrev_b16 v12, 8, v12
	v_lshlrev_b16 v13, 8, v13
	;; [unrolled: 1-line block ×8, first 2 shown]
	v_or_b32_e32 v14, v27, v14
	v_or_b32_e32 v15, v28, v15
	;; [unrolled: 1-line block ×8, first 2 shown]
	v_and_b32_e32 v14, 0xffff, v14
	v_lshlrev_b32_e32 v15, 16, v15
	v_and_b32_e32 v12, 0xffff, v12
	v_lshlrev_b32_e32 v13, 16, v13
	;; [unrolled: 2-line block ×4, first 2 shown]
	v_or_b32_e32 v11, v14, v15
	v_or_b32_e32 v10, v12, v13
	;; [unrolled: 1-line block ×3, first 2 shown]
	v_cmp_le_u64_e32 vcc_lo, s[8:9], v[16:17]
	v_or_b32_e32 v8, v8, v23
	v_add_nc_u32_e32 v20, 0x2000, v20
	buffer_store_b128 v[8:11], v19, s[0:3], 0 offen
	v_add_nc_u32_e32 v19, 0x1000, v19
	s_or_b32 s11, vcc_lo, s11
	;;#ASMSTART
	s_nop 0
	;;#ASMEND
	s_waitcnt vmcnt(0)
	v_dual_mov_b32 v15, v7 :: v_dual_mov_b32 v8, v0
	v_dual_mov_b32 v14, v6 :: v_dual_mov_b32 v13, v5
	;; [unrolled: 1-line block ×4, first 2 shown]
	s_and_not1_b32 exec_lo, exec_lo, s11
	s_cbranch_execnz .LBB5_4
; %bb.5:
	s_or_b32 exec_lo, exec_lo, s11
	v_dual_mov_b32 v15, v7 :: v_dual_mov_b32 v14, v6
	v_dual_mov_b32 v13, v5 :: v_dual_mov_b32 v12, v4
	;; [unrolled: 1-line block ×4, first 2 shown]
.LBB5_6:
	s_or_b32 exec_lo, exec_lo, s10
	v_add_co_u32 v0, vcc_lo, 0xffffff00, v16
	v_add_co_ci_u32_e32 v1, vcc_lo, -1, v17, vcc_lo
	s_mov_b32 s3, exec_lo
	s_delay_alu instid0(VALU_DEP_1)
	v_cmpx_gt_u64_e64 s[8:9], v[0:1]
	s_cbranch_execz .LBB5_8
; %bb.7:
	s_waitcnt vmcnt(1)
	v_lshrrev_b32_e32 v2, 16, v8
	v_lshrrev_b32_e32 v4, 16, v9
	;; [unrolled: 1-line block ×3, first 2 shown]
	s_mov_b32 s3, -1
	s_delay_alu instid0(VALU_DEP_3) | instskip(SKIP_3) | instid1(VALU_DEP_4)
	v_cvt_f32_u32_e32 v2, v2
	v_and_b32_e32 v1, 0xffff, v8
	v_lshrrev_b32_e32 v8, 16, v11
	v_cvt_f32_u32_e32 v4, v4
	v_dual_mul_f32 v2, v18, v2 :: v_dual_and_b32 v3, 0xffff, v9
	s_delay_alu instid0(VALU_DEP_4)
	v_cvt_f32_u32_e32 v1, v1
	s_waitcnt vmcnt(0)
	v_and_b32_e32 v16, 0xffff, v15
	v_cvt_f32_u32_e32 v8, v8
	v_and_b32_e32 v5, 0xffff, v10
	v_lshrrev_b32_e32 v10, 16, v12
	v_mul_f32_e32 v1, v18, v1
	v_cvt_f32_u32_e32 v16, v16
	v_mul_f32_e32 v8, v18, v8
	v_cvt_f32_u32_e32 v6, v6
	v_and_b32_e32 v7, 0xffff, v11
	v_and_b32_e32 v11, 0xffff, v13
	v_cvt_f32_u32_e32 v10, v10
	v_and_b32_e32 v9, 0xffff, v12
	v_lshrrev_b32_e32 v12, 16, v13
	v_dual_mul_f32 v16, v18, v16 :: v_dual_and_b32 v13, 0xffff, v14
	v_mul_f32_e32 v4, v18, v4
	v_cvt_f32_u32_e32 v3, v3
	v_cvt_i32_f32_e32 v1, v1
	v_cvt_i32_f32_e32 v2, v2
	;; [unrolled: 1-line block ×4, first 2 shown]
	v_mul_f32_e32 v3, v18, v3
	v_lshrrev_b32_e32 v14, 16, v14
	v_cvt_f32_u32_e32 v13, v13
	v_and_b32_e32 v16, 0xff, v16
	v_mul_f32_e32 v10, v18, v10
	v_cvt_i32_f32_e32 v3, v3
	v_cvt_f32_u32_e32 v9, v9
	v_lshlrev_b16 v2, 8, v2
	v_and_b32_e32 v1, 0xff, v1
	v_lshlrev_b16 v4, 8, v4
	v_and_b32_e32 v3, 0xff, v3
	v_cvt_f32_u32_e32 v14, v14
	v_mul_f32_e32 v9, v18, v9
	v_or_b32_e32 v1, v1, v2
	v_cvt_f32_u32_e32 v12, v12
	v_or_b32_e32 v2, v3, v4
	v_mul_f32_e32 v13, v18, v13
	v_mul_f32_e32 v14, v18, v14
	v_cvt_f32_u32_e32 v11, v11
	v_cvt_i32_f32_e32 v9, v9
	v_cvt_i32_f32_e32 v10, v10
	;; [unrolled: 1-line block ×3, first 2 shown]
	v_mul_f32_e32 v12, v18, v12
	v_mul_f32_e32 v11, v18, v11
	v_and_b32_e32 v9, 0xff, v9
	v_lshlrev_b16 v10, 8, v10
	v_and_b32_e32 v13, 0xff, v13
	v_lshrrev_b32_e32 v15, 16, v15
	v_cvt_i32_f32_e32 v14, v14
	v_cvt_i32_f32_e32 v11, v11
	v_or_b32_e32 v9, v9, v10
	v_cvt_i32_f32_e32 v10, v12
	v_cvt_f32_u32_e32 v5, v5
	v_cvt_f32_u32_e32 v15, v15
	v_mul_f32_e32 v6, v18, v6
	v_cvt_f32_u32_e32 v7, v7
	v_lshlrev_b16 v14, 8, v14
	v_lshlrev_b16 v10, 8, v10
	v_and_b32_e32 v11, 0xff, v11
	v_mul_f32_e32 v15, v18, v15
	v_cvt_i32_f32_e32 v6, v6
	v_or_b32_e32 v13, v13, v14
	v_mul_f32_e32 v7, v18, v7
	v_or_b32_e32 v10, v11, v10
	v_mul_f32_e32 v5, v18, v5
	v_cvt_i32_f32_e32 v8, v8
	v_and_b32_e32 v12, 0xffff, v13
	v_cvt_i32_f32_e32 v7, v7
	v_lshlrev_b32_e32 v4, 16, v10
	v_cvt_i32_f32_e32 v5, v5
	v_lshlrev_b32_e32 v10, 4, v0
	v_cvt_i32_f32_e32 v15, v15
	v_lshlrev_b16 v6, 8, v6
	v_lshlrev_b16 v8, 8, v8
	v_and_b32_e32 v5, 0xff, v5
	v_and_b32_e32 v7, 0xff, v7
	v_lshlrev_b16 v15, 8, v15
	v_and_b32_e32 v9, 0xffff, v9
	s_delay_alu instid0(VALU_DEP_4) | instskip(NEXT) | instid1(VALU_DEP_4)
	v_or_b32_e32 v5, v5, v6
	v_or_b32_e32 v6, v7, v8
	s_delay_alu instid0(VALU_DEP_4)
	v_or_b32_e32 v14, v16, v15
	v_and_b32_e32 v7, 0xffff, v1
	v_lshlrev_b32_e32 v8, 16, v2
	v_and_b32_e32 v5, 0xffff, v5
	v_lshlrev_b32_e32 v6, 16, v6
	v_lshlrev_b32_e32 v13, 16, v14
	v_or_b32_e32 v2, v9, v4
	v_or_b32_e32 v0, v7, v8
	s_delay_alu instid0(VALU_DEP_4) | instskip(NEXT) | instid1(VALU_DEP_4)
	v_or_b32_e32 v1, v5, v6
	v_or_b32_e32 v3, v12, v13
	buffer_store_b128 v[0:3], v10, s[0:3], 0 offen
	;;#ASMSTART
	s_nop 0
	;;#ASMEND
.LBB5_8:
	s_nop 0
	s_sendmsg sendmsg(MSG_DEALLOC_VGPRS)
	s_endpgm
	.section	.rodata,"a",@progbits
	.p2align	6, 0x0
	.amdhsa_kernel _ZN5aiter19scaled_quant_kernelItaEEvPT0_PKT_PKfi
		.amdhsa_group_segment_fixed_size 0
		.amdhsa_private_segment_fixed_size 0
		.amdhsa_kernarg_size 28
		.amdhsa_user_sgpr_count 15
		.amdhsa_user_sgpr_dispatch_ptr 0
		.amdhsa_user_sgpr_queue_ptr 0
		.amdhsa_user_sgpr_kernarg_segment_ptr 1
		.amdhsa_user_sgpr_dispatch_id 0
		.amdhsa_user_sgpr_private_segment_size 0
		.amdhsa_wavefront_size32 1
		.amdhsa_uses_dynamic_stack 0
		.amdhsa_enable_private_segment 0
		.amdhsa_system_sgpr_workgroup_id_x 1
		.amdhsa_system_sgpr_workgroup_id_y 0
		.amdhsa_system_sgpr_workgroup_id_z 0
		.amdhsa_system_sgpr_workgroup_info 0
		.amdhsa_system_vgpr_workitem_id 0
		.amdhsa_next_free_vgpr 29
		.amdhsa_next_free_sgpr 16
		.amdhsa_reserve_vcc 1
		.amdhsa_float_round_mode_32 0
		.amdhsa_float_round_mode_16_64 0
		.amdhsa_float_denorm_mode_32 3
		.amdhsa_float_denorm_mode_16_64 3
		.amdhsa_dx10_clamp 1
		.amdhsa_ieee_mode 1
		.amdhsa_fp16_overflow 0
		.amdhsa_workgroup_processor_mode 1
		.amdhsa_memory_ordered 1
		.amdhsa_forward_progress 0
		.amdhsa_shared_vgpr_count 0
		.amdhsa_exception_fp_ieee_invalid_op 0
		.amdhsa_exception_fp_denorm_src 0
		.amdhsa_exception_fp_ieee_div_zero 0
		.amdhsa_exception_fp_ieee_overflow 0
		.amdhsa_exception_fp_ieee_underflow 0
		.amdhsa_exception_fp_ieee_inexact 0
		.amdhsa_exception_int_div_zero 0
	.end_amdhsa_kernel
	.section	.text._ZN5aiter19scaled_quant_kernelItaEEvPT0_PKT_PKfi,"axG",@progbits,_ZN5aiter19scaled_quant_kernelItaEEvPT0_PKT_PKfi,comdat
.Lfunc_end5:
	.size	_ZN5aiter19scaled_quant_kernelItaEEvPT0_PKT_PKfi, .Lfunc_end5-_ZN5aiter19scaled_quant_kernelItaEEvPT0_PKT_PKfi
                                        ; -- End function
	.section	.AMDGPU.csdata,"",@progbits
; Kernel info:
; codeLenInByte = 1584
; NumSgprs: 18
; NumVgprs: 29
; ScratchSize: 0
; MemoryBound: 0
; FloatMode: 240
; IeeeMode: 1
; LDSByteSize: 0 bytes/workgroup (compile time only)
; SGPRBlocks: 2
; VGPRBlocks: 3
; NumSGPRsForWavesPerEU: 18
; NumVGPRsForWavesPerEU: 29
; Occupancy: 16
; WaveLimiterHint : 0
; COMPUTE_PGM_RSRC2:SCRATCH_EN: 0
; COMPUTE_PGM_RSRC2:USER_SGPR: 15
; COMPUTE_PGM_RSRC2:TRAP_HANDLER: 0
; COMPUTE_PGM_RSRC2:TGID_X_EN: 1
; COMPUTE_PGM_RSRC2:TGID_Y_EN: 0
; COMPUTE_PGM_RSRC2:TGID_Z_EN: 0
; COMPUTE_PGM_RSRC2:TIDIG_COMP_CNT: 0
	.section	.text._ZN5aiter20data_to_scale_kernelIDF16_DB8_EEvPfPKT_i,"axG",@progbits,_ZN5aiter20data_to_scale_kernelIDF16_DB8_EEvPfPKT_i,comdat
	.protected	_ZN5aiter20data_to_scale_kernelIDF16_DB8_EEvPfPKT_i ; -- Begin function _ZN5aiter20data_to_scale_kernelIDF16_DB8_EEvPfPKT_i
	.globl	_ZN5aiter20data_to_scale_kernelIDF16_DB8_EEvPfPKT_i
	.p2align	8
	.type	_ZN5aiter20data_to_scale_kernelIDF16_DB8_EEvPfPKT_i,@function
_ZN5aiter20data_to_scale_kernelIDF16_DB8_EEvPfPKT_i: ; @_ZN5aiter20data_to_scale_kernelIDF16_DB8_EEvPfPKT_i
; %bb.0:
	s_clause 0x1
	s_load_b32 s6, s[0:1], 0x10
	s_load_b64 s[2:3], s[0:1], 0x8
	s_mov_b32 s5, 0
                                        ; implicit-def: $vgpr1_vgpr2_vgpr3_vgpr4_vgpr5_vgpr6_vgpr7_vgpr8
	s_waitcnt lgkmcnt(0)
	s_mul_i32 s4, s15, s6
	s_delay_alu instid0(SALU_CYCLE_1) | instskip(NEXT) | instid1(SALU_CYCLE_1)
	s_lshl_b64 s[4:5], s[4:5], 1
	s_add_u32 s4, s2, s4
	s_addc_u32 s2, s3, s5
	s_add_i32 s3, s6, 15
	s_add_i32 s6, s6, 1
	s_ashr_i32 s5, s3, 31
	s_lshr_b32 s7, s6, 31
	s_lshr_b32 s5, s5, 28
	s_add_i32 s6, s6, s7
	s_add_i32 s3, s3, s5
	s_and_b32 s5, s2, 0xffff
	s_ashr_i32 s8, s3, 4
	s_lshl_b32 s3, s6, 1
	s_mov_b32 s2, exec_lo
	s_and_b32 s6, s3, -4
	v_cmpx_gt_u32_e64 s8, v0
; %bb.1:
	v_lshlrev_b32_e32 v5, 5, v0
	s_mov_b32 s7, -1
	s_clause 0x1
	buffer_load_b128 v[1:4], v5, s[4:7], 0 offen
	buffer_load_b128 v[5:8], v5, s[4:7], 16 offen
; %bb.2:
	s_or_b32 exec_lo, exec_lo, s2
	s_load_b64 s[2:3], s[0:1], 0x0
	v_dual_mov_b32 v18, 0 :: v_dual_add_nc_u32 v17, 0x100, v0
	s_ashr_i32 s9, s8, 31
	s_mov_b32 s0, exec_lo
	s_delay_alu instid0(VALU_DEP_1) | instskip(NEXT) | instid1(VALU_DEP_2)
	v_mov_b32_e32 v19, v18
	v_cmpx_gt_u32_e64 s8, v17
	s_cbranch_execz .LBB6_6
; %bb.3:
	v_lshl_add_u32 v20, v0, 5, 0x2000
	v_mov_b32_e32 v19, 0
	s_mov_b32 s1, 0
	s_mov_b32 s7, -1
.LBB6_4:                                ; =>This Inner Loop Header: Depth=1
	s_clause 0x1
	buffer_load_b128 v[9:12], v20, s[4:7], 0 offen
	buffer_load_b128 v[13:16], v20, s[4:7], 16 offen
	s_waitcnt vmcnt(3)
	v_lshrrev_b32_e32 v21, 16, v1
	v_cvt_f32_f16_e64 v1, |v1|
	v_cvt_f32_f16_e64 v22, |v2|
	v_lshrrev_b32_e32 v2, 16, v2
	v_cvt_f32_f16_e64 v23, |v3|
	v_cvt_f32_f16_e64 v21, |v21|
	v_lshrrev_b32_e32 v3, 16, v3
	v_cvt_f32_f16_e64 v24, |v4|
	v_cvt_f32_f16_e64 v2, |v2|
	v_lshrrev_b32_e32 v4, 16, v4
	v_max3_f32 v1, v19, v1, v21
	v_cvt_f32_f16_e64 v3, |v3|
	s_waitcnt vmcnt(2)
	v_cvt_f32_f16_e64 v19, |v5|
	v_add_co_u32 v17, vcc_lo, 0x100, v17
	v_max3_f32 v1, v1, v22, v2
	v_lshrrev_b32_e32 v2, 16, v5
	v_cvt_f32_f16_e64 v4, |v4|
	v_cvt_f32_f16_e64 v5, |v6|
	v_add_co_ci_u32_e32 v18, vcc_lo, 0, v18, vcc_lo
	v_max3_f32 v1, v1, v23, v3
	v_lshrrev_b32_e32 v3, 16, v6
	v_cvt_f32_f16_e64 v2, |v2|
	v_cvt_f32_f16_e64 v6, |v7|
	v_cmp_le_u64_e32 vcc_lo, s[8:9], v[17:18]
	v_max3_f32 v1, v1, v24, v4
	v_lshrrev_b32_e32 v4, 16, v7
	v_cvt_f32_f16_e64 v3, |v3|
	v_lshrrev_b32_e32 v7, 16, v8
	v_add_nc_u32_e32 v20, 0x2000, v20
	v_max3_f32 v1, v1, v19, v2
	v_cvt_f32_f16_e64 v2, |v4|
	s_or_b32 s1, vcc_lo, s1
	v_cvt_f32_f16_e64 v4, |v7|
	s_delay_alu instid0(VALU_DEP_3) | instskip(SKIP_1) | instid1(VALU_DEP_2)
	v_max3_f32 v1, v1, v5, v3
	v_cvt_f32_f16_e64 v3, |v8|
	v_max3_f32 v1, v1, v6, v2
	s_delay_alu instid0(VALU_DEP_1)
	v_max3_f32 v19, v1, v3, v4
	s_waitcnt vmcnt(0)
	v_dual_mov_b32 v1, v9 :: v_dual_mov_b32 v2, v10
	v_dual_mov_b32 v3, v11 :: v_dual_mov_b32 v4, v12
	;; [unrolled: 1-line block ×4, first 2 shown]
	s_and_not1_b32 exec_lo, exec_lo, s1
	s_cbranch_execnz .LBB6_4
; %bb.5:
	s_or_b32 exec_lo, exec_lo, s1
	v_dual_mov_b32 v1, v9 :: v_dual_mov_b32 v2, v10
	v_dual_mov_b32 v3, v11 :: v_dual_mov_b32 v4, v12
	;; [unrolled: 1-line block ×4, first 2 shown]
.LBB6_6:
	s_or_b32 exec_lo, exec_lo, s0
	v_add_co_u32 v9, vcc_lo, 0xffffff00, v17
	v_add_co_ci_u32_e32 v10, vcc_lo, -1, v18, vcc_lo
	s_mov_b32 s0, exec_lo
	s_delay_alu instid0(VALU_DEP_1)
	v_cmpx_gt_u64_e64 s[8:9], v[9:10]
	s_cbranch_execz .LBB6_8
; %bb.7:
	s_waitcnt vmcnt(1)
	v_lshrrev_b32_e32 v9, 16, v1
	v_cvt_f32_f16_e64 v1, |v1|
	v_lshrrev_b32_e32 v10, 16, v2
	v_cvt_f32_f16_e64 v2, |v2|
	;; [unrolled: 2-line block ×3, first 2 shown]
	v_cvt_f32_f16_e64 v3, |v3|
	v_cvt_f32_f16_e64 v10, |v10|
	s_delay_alu instid0(VALU_DEP_4) | instskip(NEXT) | instid1(VALU_DEP_4)
	v_cvt_f32_f16_e64 v11, |v11|
	v_max3_f32 v1, v19, v1, v9
	v_lshrrev_b32_e32 v9, 16, v4
	s_delay_alu instid0(VALU_DEP_2)
	v_max3_f32 v1, v1, v2, v10
	v_cvt_f32_f16_e64 v2, |v4|
	s_waitcnt vmcnt(0)
	v_lshrrev_b32_e32 v4, 16, v5
	v_cvt_f32_f16_e64 v9, |v9|
	v_max3_f32 v1, v1, v3, v11
	v_cvt_f32_f16_e64 v3, |v5|
	v_lshrrev_b32_e32 v5, 16, v6
	v_cvt_f32_f16_e64 v4, |v4|
	s_delay_alu instid0(VALU_DEP_4) | instskip(SKIP_3) | instid1(VALU_DEP_4)
	v_max3_f32 v1, v1, v2, v9
	v_cvt_f32_f16_e64 v2, |v6|
	v_lshrrev_b32_e32 v6, 16, v7
	v_cvt_f32_f16_e64 v5, |v5|
	v_max3_f32 v1, v1, v3, v4
	v_cvt_f32_f16_e64 v3, |v7|
	s_delay_alu instid0(VALU_DEP_4) | instskip(NEXT) | instid1(VALU_DEP_3)
	v_cvt_f32_f16_e64 v4, |v6|
	v_max3_f32 v1, v1, v2, v5
	v_lshrrev_b32_e32 v2, 16, v8
	v_cvt_f32_f16_e64 v5, |v8|
	s_delay_alu instid0(VALU_DEP_3) | instskip(NEXT) | instid1(VALU_DEP_3)
	v_max3_f32 v1, v1, v3, v4
	v_cvt_f32_f16_e64 v2, |v2|
	s_delay_alu instid0(VALU_DEP_1)
	v_max3_f32 v19, v1, v5, v2
.LBB6_8:
	s_or_b32 exec_lo, exec_lo, s0
	s_waitcnt vmcnt(1)
	s_delay_alu instid0(VALU_DEP_1) | instskip(SKIP_2) | instid1(VALU_DEP_2)
	v_mov_b32_dpp v1, v19 quad_perm:[1,0,3,2] row_mask:0xf bank_mask:0xf
	v_and_b32_e32 v3, 31, v0
	s_mov_b32 s1, exec_lo
	v_cmp_gt_f32_e32 vcc_lo, v19, v1
	v_cndmask_b32_e32 v1, v1, v19, vcc_lo
	s_delay_alu instid0(VALU_DEP_1) | instskip(NEXT) | instid1(VALU_DEP_1)
	v_mov_b32_dpp v2, v1 quad_perm:[2,3,0,1] row_mask:0xf bank_mask:0xf
	v_cmp_gt_f32_e32 vcc_lo, v1, v2
	v_cndmask_b32_e32 v1, v2, v1, vcc_lo
	s_delay_alu instid0(VALU_DEP_1) | instskip(NEXT) | instid1(VALU_DEP_1)
	v_mov_b32_dpp v2, v1 row_xmask:7 row_mask:0xf bank_mask:0xf
	v_cmp_gt_f32_e32 vcc_lo, v1, v2
	v_cndmask_b32_e32 v1, v2, v1, vcc_lo
	s_delay_alu instid0(VALU_DEP_1) | instskip(NEXT) | instid1(VALU_DEP_1)
	v_mov_b32_dpp v2, v1 row_xmask:15 row_mask:0xf bank_mask:0xf
	v_cmp_gt_f32_e32 vcc_lo, v1, v2
	v_cmpx_eq_u32_e32 31, v3
	s_cbranch_execz .LBB6_10
; %bb.9:
	v_cndmask_b32_e32 v1, v2, v1, vcc_lo
	v_lshrrev_b32_e32 v2, 3, v0
	s_mov_b32 s0, 0x76543210
	s_delay_alu instid0(VALU_DEP_1) | instskip(NEXT) | instid1(VALU_DEP_3)
	v_and_b32_e32 v2, 0x7c, v2
	v_permlanex16_b32 v3, v1, s0, 0xfedcba98 op_sel:[1,1]
	s_delay_alu instid0(VALU_DEP_1)
	v_cmp_gt_f32_e32 vcc_lo, v1, v3
	v_cndmask_b32_e32 v1, v3, v1, vcc_lo
	ds_store_b32 v2, v1
.LBB6_10:
	s_or_b32 exec_lo, exec_lo, s1
	v_and_b32_e32 v1, 7, v0
	s_waitcnt vmcnt(0) lgkmcnt(0)
	s_barrier
	buffer_gl0_inv
	s_mov_b32 s0, exec_lo
	v_lshlrev_b32_e32 v1, 2, v1
	ds_load_b32 v1, v1
	s_waitcnt lgkmcnt(0)
	v_mov_b32_dpp v2, v1 quad_perm:[1,0,3,2] row_mask:0xf bank_mask:0xf
	s_delay_alu instid0(VALU_DEP_1) | instskip(SKIP_1) | instid1(VALU_DEP_1)
	v_cmp_gt_f32_e32 vcc_lo, v1, v2
	v_cndmask_b32_e32 v1, v2, v1, vcc_lo
	v_mov_b32_dpp v2, v1 quad_perm:[2,3,0,1] row_mask:0xf bank_mask:0xf
	s_delay_alu instid0(VALU_DEP_1) | instskip(SKIP_1) | instid1(VALU_DEP_1)
	v_cmp_gt_f32_e32 vcc_lo, v1, v2
	v_cndmask_b32_e32 v1, v2, v1, vcc_lo
	v_mov_b32_dpp v2, v1 row_xmask:7 row_mask:0xf bank_mask:0xf
	v_cmpx_eq_u32_e32 0, v0
	s_cbranch_execz .LBB6_22
; %bb.11:
	s_delay_alu instid0(VALU_DEP_2) | instskip(SKIP_2) | instid1(VALU_DEP_1)
	v_cmp_gt_f32_e32 vcc_lo, v1, v2
	s_mov_b32 s0, exec_lo
	v_cndmask_b32_e32 v0, v2, v1, vcc_lo
	v_mul_f32_e32 v0, 0x3b124925, v0
	s_delay_alu instid0(VALU_DEP_1)
	v_cmpx_le_f32_e32 0, v0
	s_xor_b32 s0, exec_lo, s0
	s_cbranch_execz .LBB6_17
; %bb.12:
	s_mov_b32 s4, exec_lo
	s_brev_b32 s1, 1
.LBB6_13:                               ; =>This Inner Loop Header: Depth=1
	s_ctz_i32_b32 s5, s4
	s_delay_alu instid0(SALU_CYCLE_1) | instskip(SKIP_1) | instid1(SALU_CYCLE_1)
	v_readlane_b32 s6, v0, s5
	s_lshl_b32 s5, 1, s5
	s_and_not1_b32 s4, s4, s5
	s_delay_alu instid0(VALU_DEP_1)
	s_max_i32 s1, s1, s6
	s_cmp_lg_u32 s4, 0
	s_cbranch_scc1 .LBB6_13
; %bb.14:
	v_mbcnt_lo_u32_b32 v0, exec_lo, 0
	s_mov_b32 s4, exec_lo
	s_delay_alu instid0(VALU_DEP_1)
	v_cmpx_eq_u32_e32 0, v0
	s_xor_b32 s4, exec_lo, s4
	s_cbranch_execz .LBB6_16
; %bb.15:
	v_dual_mov_b32 v0, 0 :: v_dual_mov_b32 v1, s1
	global_atomic_max_i32 v0, v1, s[2:3]
.LBB6_16:
	s_or_b32 exec_lo, exec_lo, s4
                                        ; implicit-def: $vgpr0
.LBB6_17:
	s_and_not1_saveexec_b32 s0, s0
	s_cbranch_execz .LBB6_22
; %bb.18:
	s_mov_b32 s1, exec_lo
	s_mov_b32 s0, -1
.LBB6_19:                               ; =>This Inner Loop Header: Depth=1
	s_ctz_i32_b32 s4, s1
	s_delay_alu instid0(SALU_CYCLE_1) | instskip(SKIP_1) | instid1(SALU_CYCLE_1)
	v_readlane_b32 s5, v0, s4
	s_lshl_b32 s4, 1, s4
	s_and_not1_b32 s1, s1, s4
	s_delay_alu instid0(VALU_DEP_1)
	s_min_u32 s0, s0, s5
	s_cmp_lg_u32 s1, 0
	s_cbranch_scc1 .LBB6_19
; %bb.20:
	v_mbcnt_lo_u32_b32 v0, exec_lo, 0
	s_mov_b32 s1, exec_lo
	s_delay_alu instid0(VALU_DEP_1)
	v_cmpx_eq_u32_e32 0, v0
	s_xor_b32 s1, exec_lo, s1
	s_cbranch_execz .LBB6_22
; %bb.21:
	v_dual_mov_b32 v0, 0 :: v_dual_mov_b32 v1, s0
	global_atomic_min_u32 v0, v1, s[2:3]
.LBB6_22:
	s_nop 0
	s_sendmsg sendmsg(MSG_DEALLOC_VGPRS)
	s_endpgm
	.section	.rodata,"a",@progbits
	.p2align	6, 0x0
	.amdhsa_kernel _ZN5aiter20data_to_scale_kernelIDF16_DB8_EEvPfPKT_i
		.amdhsa_group_segment_fixed_size 32
		.amdhsa_private_segment_fixed_size 0
		.amdhsa_kernarg_size 20
		.amdhsa_user_sgpr_count 15
		.amdhsa_user_sgpr_dispatch_ptr 0
		.amdhsa_user_sgpr_queue_ptr 0
		.amdhsa_user_sgpr_kernarg_segment_ptr 1
		.amdhsa_user_sgpr_dispatch_id 0
		.amdhsa_user_sgpr_private_segment_size 0
		.amdhsa_wavefront_size32 1
		.amdhsa_uses_dynamic_stack 0
		.amdhsa_enable_private_segment 0
		.amdhsa_system_sgpr_workgroup_id_x 1
		.amdhsa_system_sgpr_workgroup_id_y 0
		.amdhsa_system_sgpr_workgroup_id_z 0
		.amdhsa_system_sgpr_workgroup_info 0
		.amdhsa_system_vgpr_workitem_id 0
		.amdhsa_next_free_vgpr 25
		.amdhsa_next_free_sgpr 16
		.amdhsa_reserve_vcc 1
		.amdhsa_float_round_mode_32 0
		.amdhsa_float_round_mode_16_64 0
		.amdhsa_float_denorm_mode_32 3
		.amdhsa_float_denorm_mode_16_64 3
		.amdhsa_dx10_clamp 1
		.amdhsa_ieee_mode 1
		.amdhsa_fp16_overflow 0
		.amdhsa_workgroup_processor_mode 1
		.amdhsa_memory_ordered 1
		.amdhsa_forward_progress 0
		.amdhsa_shared_vgpr_count 0
		.amdhsa_exception_fp_ieee_invalid_op 0
		.amdhsa_exception_fp_denorm_src 0
		.amdhsa_exception_fp_ieee_div_zero 0
		.amdhsa_exception_fp_ieee_overflow 0
		.amdhsa_exception_fp_ieee_underflow 0
		.amdhsa_exception_fp_ieee_inexact 0
		.amdhsa_exception_int_div_zero 0
	.end_amdhsa_kernel
	.section	.text._ZN5aiter20data_to_scale_kernelIDF16_DB8_EEvPfPKT_i,"axG",@progbits,_ZN5aiter20data_to_scale_kernelIDF16_DB8_EEvPfPKT_i,comdat
.Lfunc_end6:
	.size	_ZN5aiter20data_to_scale_kernelIDF16_DB8_EEvPfPKT_i, .Lfunc_end6-_ZN5aiter20data_to_scale_kernelIDF16_DB8_EEvPfPKT_i
                                        ; -- End function
	.section	.AMDGPU.csdata,"",@progbits
; Kernel info:
; codeLenInByte = 1388
; NumSgprs: 18
; NumVgprs: 25
; ScratchSize: 0
; MemoryBound: 0
; FloatMode: 240
; IeeeMode: 1
; LDSByteSize: 32 bytes/workgroup (compile time only)
; SGPRBlocks: 2
; VGPRBlocks: 3
; NumSGPRsForWavesPerEU: 18
; NumVGPRsForWavesPerEU: 25
; Occupancy: 16
; WaveLimiterHint : 0
; COMPUTE_PGM_RSRC2:SCRATCH_EN: 0
; COMPUTE_PGM_RSRC2:USER_SGPR: 15
; COMPUTE_PGM_RSRC2:TRAP_HANDLER: 0
; COMPUTE_PGM_RSRC2:TGID_X_EN: 1
; COMPUTE_PGM_RSRC2:TGID_Y_EN: 0
; COMPUTE_PGM_RSRC2:TGID_Z_EN: 0
; COMPUTE_PGM_RSRC2:TIDIG_COMP_CNT: 0
	.section	.text._ZN5aiter20data_to_scale_kernelItDB8_EEvPfPKT_i,"axG",@progbits,_ZN5aiter20data_to_scale_kernelItDB8_EEvPfPKT_i,comdat
	.protected	_ZN5aiter20data_to_scale_kernelItDB8_EEvPfPKT_i ; -- Begin function _ZN5aiter20data_to_scale_kernelItDB8_EEvPfPKT_i
	.globl	_ZN5aiter20data_to_scale_kernelItDB8_EEvPfPKT_i
	.p2align	8
	.type	_ZN5aiter20data_to_scale_kernelItDB8_EEvPfPKT_i,@function
_ZN5aiter20data_to_scale_kernelItDB8_EEvPfPKT_i: ; @_ZN5aiter20data_to_scale_kernelItDB8_EEvPfPKT_i
; %bb.0:
	s_clause 0x1
	s_load_b32 s6, s[0:1], 0x10
	s_load_b64 s[2:3], s[0:1], 0x8
	s_mov_b32 s5, 0
                                        ; implicit-def: $vgpr1_vgpr2_vgpr3_vgpr4_vgpr5_vgpr6_vgpr7_vgpr8
	s_waitcnt lgkmcnt(0)
	s_mul_i32 s4, s15, s6
	s_delay_alu instid0(SALU_CYCLE_1) | instskip(NEXT) | instid1(SALU_CYCLE_1)
	s_lshl_b64 s[4:5], s[4:5], 1
	s_add_u32 s4, s2, s4
	s_addc_u32 s2, s3, s5
	s_add_i32 s3, s6, 15
	s_add_i32 s6, s6, 1
	s_ashr_i32 s5, s3, 31
	s_lshr_b32 s7, s6, 31
	s_lshr_b32 s5, s5, 28
	s_add_i32 s6, s6, s7
	s_add_i32 s3, s3, s5
	s_and_b32 s5, s2, 0xffff
	s_ashr_i32 s8, s3, 4
	s_lshl_b32 s3, s6, 1
	s_mov_b32 s2, exec_lo
	s_and_b32 s6, s3, -4
	v_cmpx_gt_u32_e64 s8, v0
; %bb.1:
	v_lshlrev_b32_e32 v5, 5, v0
	s_mov_b32 s7, -1
	s_clause 0x1
	buffer_load_b128 v[1:4], v5, s[4:7], 0 offen
	buffer_load_b128 v[5:8], v5, s[4:7], 16 offen
; %bb.2:
	s_or_b32 exec_lo, exec_lo, s2
	s_load_b64 s[2:3], s[0:1], 0x0
	v_dual_mov_b32 v18, 0 :: v_dual_add_nc_u32 v17, 0x100, v0
	s_ashr_i32 s9, s8, 31
	s_mov_b32 s0, exec_lo
	s_delay_alu instid0(VALU_DEP_1) | instskip(NEXT) | instid1(VALU_DEP_2)
	v_mov_b32_e32 v19, v18
	v_cmpx_gt_u32_e64 s8, v17
	s_cbranch_execz .LBB7_6
; %bb.3:
	v_lshl_add_u32 v20, v0, 5, 0x2000
	v_mov_b32_e32 v19, 0
	s_mov_b32 s1, 0
	s_mov_b32 s7, -1
.LBB7_4:                                ; =>This Inner Loop Header: Depth=1
	s_clause 0x1
	buffer_load_b128 v[9:12], v20, s[4:7], 0 offen
	buffer_load_b128 v[13:16], v20, s[4:7], 16 offen
	s_waitcnt vmcnt(3)
	v_and_b32_e32 v21, 0xffff, v1
	v_lshrrev_b32_e32 v1, 16, v1
	v_and_b32_e32 v22, 0xffff, v2
	v_lshrrev_b32_e32 v2, 16, v2
	v_and_b32_e32 v23, 0xffff, v3
	v_cvt_f32_u32_e32 v21, v21
	v_cvt_f32_u32_e32 v1, v1
	v_lshrrev_b32_e32 v3, 16, v3
	v_cvt_f32_u32_e32 v22, v22
	v_cvt_f32_u32_e32 v2, v2
	v_and_b32_e32 v24, 0xffff, v4
	v_max3_f32 v1, v19, v21, v1
	v_lshrrev_b32_e32 v4, 16, v4
	v_cvt_f32_u32_e32 v21, v23
	v_cvt_f32_u32_e32 v3, v3
	s_waitcnt vmcnt(2)
	v_and_b32_e32 v25, 0xffff, v5
	v_max3_f32 v1, v1, v22, v2
	v_lshrrev_b32_e32 v5, 16, v5
	v_and_b32_e32 v19, 0xffff, v7
	v_lshrrev_b32_e32 v2, 16, v7
	v_cvt_f32_u32_e32 v7, v24
	v_cvt_f32_u32_e32 v4, v4
	v_max3_f32 v1, v1, v21, v3
	v_and_b32_e32 v26, 0xffff, v6
	v_lshrrev_b32_e32 v6, 16, v6
	v_cvt_f32_u32_e32 v21, v25
	v_cvt_f32_u32_e32 v5, v5
	v_max3_f32 v1, v1, v7, v4
	v_cvt_f32_u32_e32 v7, v26
	v_cvt_f32_u32_e32 v6, v6
	v_and_b32_e32 v3, 0xffff, v8
	v_lshrrev_b32_e32 v4, 16, v8
	v_max3_f32 v1, v1, v21, v5
	v_cvt_f32_u32_e32 v5, v19
	v_cvt_f32_u32_e32 v2, v2
	v_add_co_u32 v17, vcc_lo, 0x100, v17
	s_delay_alu instid0(VALU_DEP_4) | instskip(SKIP_3) | instid1(VALU_DEP_4)
	v_max3_f32 v1, v1, v7, v6
	v_add_co_ci_u32_e32 v18, vcc_lo, 0, v18, vcc_lo
	v_cvt_f32_u32_e32 v3, v3
	v_cvt_f32_u32_e32 v4, v4
	v_max3_f32 v1, v1, v5, v2
	s_delay_alu instid0(VALU_DEP_4) | instskip(SKIP_1) | instid1(VALU_DEP_3)
	v_cmp_le_u64_e32 vcc_lo, s[8:9], v[17:18]
	v_add_nc_u32_e32 v20, 0x2000, v20
	v_max3_f32 v19, v1, v3, v4
	s_or_b32 s1, vcc_lo, s1
	s_waitcnt vmcnt(0)
	v_mov_b32_e32 v1, v9
	v_dual_mov_b32 v7, v15 :: v_dual_mov_b32 v2, v10
	v_dual_mov_b32 v3, v11 :: v_dual_mov_b32 v4, v12
	;; [unrolled: 1-line block ×3, first 2 shown]
	v_mov_b32_e32 v8, v16
	s_and_not1_b32 exec_lo, exec_lo, s1
	s_cbranch_execnz .LBB7_4
; %bb.5:
	s_or_b32 exec_lo, exec_lo, s1
	v_dual_mov_b32 v1, v9 :: v_dual_mov_b32 v2, v10
	v_dual_mov_b32 v3, v11 :: v_dual_mov_b32 v4, v12
	;; [unrolled: 1-line block ×4, first 2 shown]
.LBB7_6:
	s_or_b32 exec_lo, exec_lo, s0
	v_add_co_u32 v9, vcc_lo, 0xffffff00, v17
	v_add_co_ci_u32_e32 v10, vcc_lo, -1, v18, vcc_lo
	s_mov_b32 s0, exec_lo
	s_delay_alu instid0(VALU_DEP_1)
	v_cmpx_gt_u64_e64 s[8:9], v[9:10]
	s_cbranch_execz .LBB7_8
; %bb.7:
	s_waitcnt vmcnt(1)
	v_and_b32_e32 v9, 0xffff, v1
	v_lshrrev_b32_e32 v1, 16, v1
	v_and_b32_e32 v10, 0xffff, v2
	v_lshrrev_b32_e32 v2, 16, v2
	v_and_b32_e32 v11, 0xffff, v3
	v_cvt_f32_u32_e32 v9, v9
	v_cvt_f32_u32_e32 v1, v1
	v_lshrrev_b32_e32 v3, 16, v3
	v_cvt_f32_u32_e32 v10, v10
	v_cvt_f32_u32_e32 v2, v2
	;; [unrolled: 1-line block ×3, first 2 shown]
	v_max3_f32 v1, v19, v9, v1
	v_and_b32_e32 v9, 0xffff, v4
	v_lshrrev_b32_e32 v4, 16, v4
	v_cvt_f32_u32_e32 v3, v3
	s_delay_alu instid0(VALU_DEP_4)
	v_max3_f32 v1, v1, v10, v2
	s_waitcnt vmcnt(0)
	v_and_b32_e32 v2, 0xffff, v5
	v_lshrrev_b32_e32 v5, 16, v5
	v_cvt_f32_u32_e32 v9, v9
	v_cvt_f32_u32_e32 v4, v4
	v_max3_f32 v1, v1, v11, v3
	v_and_b32_e32 v3, 0xffff, v6
	v_lshrrev_b32_e32 v6, 16, v6
	v_cvt_f32_u32_e32 v2, v2
	v_cvt_f32_u32_e32 v5, v5
	v_max3_f32 v1, v1, v9, v4
	;; [unrolled: 5-line block ×3, first 2 shown]
	v_and_b32_e32 v2, 0xffff, v8
	v_cvt_f32_u32_e32 v4, v4
	v_cvt_f32_u32_e32 v5, v7
	s_delay_alu instid0(VALU_DEP_4) | instskip(SKIP_2) | instid1(VALU_DEP_3)
	v_max3_f32 v1, v1, v3, v6
	v_lshrrev_b32_e32 v3, 16, v8
	v_cvt_f32_u32_e32 v2, v2
	v_max3_f32 v1, v1, v4, v5
	s_delay_alu instid0(VALU_DEP_3) | instskip(NEXT) | instid1(VALU_DEP_1)
	v_cvt_f32_u32_e32 v3, v3
	v_max3_f32 v19, v1, v2, v3
.LBB7_8:
	s_or_b32 exec_lo, exec_lo, s0
	s_waitcnt vmcnt(1)
	s_delay_alu instid0(VALU_DEP_1) | instskip(SKIP_2) | instid1(VALU_DEP_2)
	v_mov_b32_dpp v1, v19 quad_perm:[1,0,3,2] row_mask:0xf bank_mask:0xf
	v_and_b32_e32 v3, 31, v0
	s_mov_b32 s1, exec_lo
	v_cmp_gt_f32_e32 vcc_lo, v19, v1
	v_cndmask_b32_e32 v1, v1, v19, vcc_lo
	s_delay_alu instid0(VALU_DEP_1) | instskip(NEXT) | instid1(VALU_DEP_1)
	v_mov_b32_dpp v2, v1 quad_perm:[2,3,0,1] row_mask:0xf bank_mask:0xf
	v_cmp_gt_f32_e32 vcc_lo, v1, v2
	v_cndmask_b32_e32 v1, v2, v1, vcc_lo
	s_delay_alu instid0(VALU_DEP_1) | instskip(NEXT) | instid1(VALU_DEP_1)
	v_mov_b32_dpp v2, v1 row_xmask:7 row_mask:0xf bank_mask:0xf
	v_cmp_gt_f32_e32 vcc_lo, v1, v2
	v_cndmask_b32_e32 v1, v2, v1, vcc_lo
	s_delay_alu instid0(VALU_DEP_1) | instskip(NEXT) | instid1(VALU_DEP_1)
	v_mov_b32_dpp v2, v1 row_xmask:15 row_mask:0xf bank_mask:0xf
	v_cmp_gt_f32_e32 vcc_lo, v1, v2
	v_cmpx_eq_u32_e32 31, v3
	s_cbranch_execz .LBB7_10
; %bb.9:
	v_cndmask_b32_e32 v1, v2, v1, vcc_lo
	v_lshrrev_b32_e32 v2, 3, v0
	s_mov_b32 s0, 0x76543210
	s_delay_alu instid0(VALU_DEP_1) | instskip(NEXT) | instid1(VALU_DEP_3)
	v_and_b32_e32 v2, 0x7c, v2
	v_permlanex16_b32 v3, v1, s0, 0xfedcba98 op_sel:[1,1]
	s_delay_alu instid0(VALU_DEP_1)
	v_cmp_gt_f32_e32 vcc_lo, v1, v3
	v_cndmask_b32_e32 v1, v3, v1, vcc_lo
	ds_store_b32 v2, v1
.LBB7_10:
	s_or_b32 exec_lo, exec_lo, s1
	v_and_b32_e32 v1, 7, v0
	s_waitcnt vmcnt(0) lgkmcnt(0)
	s_barrier
	buffer_gl0_inv
	s_mov_b32 s0, exec_lo
	v_lshlrev_b32_e32 v1, 2, v1
	ds_load_b32 v1, v1
	s_waitcnt lgkmcnt(0)
	v_mov_b32_dpp v2, v1 quad_perm:[1,0,3,2] row_mask:0xf bank_mask:0xf
	s_delay_alu instid0(VALU_DEP_1) | instskip(SKIP_1) | instid1(VALU_DEP_1)
	v_cmp_gt_f32_e32 vcc_lo, v1, v2
	v_cndmask_b32_e32 v1, v2, v1, vcc_lo
	v_mov_b32_dpp v2, v1 quad_perm:[2,3,0,1] row_mask:0xf bank_mask:0xf
	s_delay_alu instid0(VALU_DEP_1) | instskip(SKIP_1) | instid1(VALU_DEP_1)
	v_cmp_gt_f32_e32 vcc_lo, v1, v2
	v_cndmask_b32_e32 v1, v2, v1, vcc_lo
	v_mov_b32_dpp v2, v1 row_xmask:7 row_mask:0xf bank_mask:0xf
	v_cmpx_eq_u32_e32 0, v0
	s_cbranch_execz .LBB7_22
; %bb.11:
	s_delay_alu instid0(VALU_DEP_2) | instskip(SKIP_2) | instid1(VALU_DEP_1)
	v_cmp_gt_f32_e32 vcc_lo, v1, v2
	s_mov_b32 s0, exec_lo
	v_cndmask_b32_e32 v0, v2, v1, vcc_lo
	v_mul_f32_e32 v0, 0x3b124925, v0
	s_delay_alu instid0(VALU_DEP_1)
	v_cmpx_le_f32_e32 0, v0
	s_xor_b32 s0, exec_lo, s0
	s_cbranch_execz .LBB7_17
; %bb.12:
	s_mov_b32 s4, exec_lo
	s_brev_b32 s1, 1
.LBB7_13:                               ; =>This Inner Loop Header: Depth=1
	s_ctz_i32_b32 s5, s4
	s_delay_alu instid0(SALU_CYCLE_1) | instskip(SKIP_1) | instid1(SALU_CYCLE_1)
	v_readlane_b32 s6, v0, s5
	s_lshl_b32 s5, 1, s5
	s_and_not1_b32 s4, s4, s5
	s_delay_alu instid0(VALU_DEP_1)
	s_max_i32 s1, s1, s6
	s_cmp_lg_u32 s4, 0
	s_cbranch_scc1 .LBB7_13
; %bb.14:
	v_mbcnt_lo_u32_b32 v0, exec_lo, 0
	s_mov_b32 s4, exec_lo
	s_delay_alu instid0(VALU_DEP_1)
	v_cmpx_eq_u32_e32 0, v0
	s_xor_b32 s4, exec_lo, s4
	s_cbranch_execz .LBB7_16
; %bb.15:
	v_dual_mov_b32 v0, 0 :: v_dual_mov_b32 v1, s1
	global_atomic_max_i32 v0, v1, s[2:3]
.LBB7_16:
	s_or_b32 exec_lo, exec_lo, s4
                                        ; implicit-def: $vgpr0
.LBB7_17:
	s_and_not1_saveexec_b32 s0, s0
	s_cbranch_execz .LBB7_22
; %bb.18:
	s_mov_b32 s1, exec_lo
	s_mov_b32 s0, -1
.LBB7_19:                               ; =>This Inner Loop Header: Depth=1
	s_ctz_i32_b32 s4, s1
	s_delay_alu instid0(SALU_CYCLE_1) | instskip(SKIP_1) | instid1(SALU_CYCLE_1)
	v_readlane_b32 s5, v0, s4
	s_lshl_b32 s4, 1, s4
	s_and_not1_b32 s1, s1, s4
	s_delay_alu instid0(VALU_DEP_1)
	s_min_u32 s0, s0, s5
	s_cmp_lg_u32 s1, 0
	s_cbranch_scc1 .LBB7_19
; %bb.20:
	v_mbcnt_lo_u32_b32 v0, exec_lo, 0
	s_mov_b32 s1, exec_lo
	s_delay_alu instid0(VALU_DEP_1)
	v_cmpx_eq_u32_e32 0, v0
	s_xor_b32 s1, exec_lo, s1
	s_cbranch_execz .LBB7_22
; %bb.21:
	v_dual_mov_b32 v0, 0 :: v_dual_mov_b32 v1, s0
	global_atomic_min_u32 v0, v1, s[2:3]
.LBB7_22:
	s_nop 0
	s_sendmsg sendmsg(MSG_DEALLOC_VGPRS)
	s_endpgm
	.section	.rodata,"a",@progbits
	.p2align	6, 0x0
	.amdhsa_kernel _ZN5aiter20data_to_scale_kernelItDB8_EEvPfPKT_i
		.amdhsa_group_segment_fixed_size 32
		.amdhsa_private_segment_fixed_size 0
		.amdhsa_kernarg_size 20
		.amdhsa_user_sgpr_count 15
		.amdhsa_user_sgpr_dispatch_ptr 0
		.amdhsa_user_sgpr_queue_ptr 0
		.amdhsa_user_sgpr_kernarg_segment_ptr 1
		.amdhsa_user_sgpr_dispatch_id 0
		.amdhsa_user_sgpr_private_segment_size 0
		.amdhsa_wavefront_size32 1
		.amdhsa_uses_dynamic_stack 0
		.amdhsa_enable_private_segment 0
		.amdhsa_system_sgpr_workgroup_id_x 1
		.amdhsa_system_sgpr_workgroup_id_y 0
		.amdhsa_system_sgpr_workgroup_id_z 0
		.amdhsa_system_sgpr_workgroup_info 0
		.amdhsa_system_vgpr_workitem_id 0
		.amdhsa_next_free_vgpr 27
		.amdhsa_next_free_sgpr 16
		.amdhsa_reserve_vcc 1
		.amdhsa_float_round_mode_32 0
		.amdhsa_float_round_mode_16_64 0
		.amdhsa_float_denorm_mode_32 3
		.amdhsa_float_denorm_mode_16_64 3
		.amdhsa_dx10_clamp 1
		.amdhsa_ieee_mode 1
		.amdhsa_fp16_overflow 0
		.amdhsa_workgroup_processor_mode 1
		.amdhsa_memory_ordered 1
		.amdhsa_forward_progress 0
		.amdhsa_shared_vgpr_count 0
		.amdhsa_exception_fp_ieee_invalid_op 0
		.amdhsa_exception_fp_denorm_src 0
		.amdhsa_exception_fp_ieee_div_zero 0
		.amdhsa_exception_fp_ieee_overflow 0
		.amdhsa_exception_fp_ieee_underflow 0
		.amdhsa_exception_fp_ieee_inexact 0
		.amdhsa_exception_int_div_zero 0
	.end_amdhsa_kernel
	.section	.text._ZN5aiter20data_to_scale_kernelItDB8_EEvPfPKT_i,"axG",@progbits,_ZN5aiter20data_to_scale_kernelItDB8_EEvPfPKT_i,comdat
.Lfunc_end7:
	.size	_ZN5aiter20data_to_scale_kernelItDB8_EEvPfPKT_i, .Lfunc_end7-_ZN5aiter20data_to_scale_kernelItDB8_EEvPfPKT_i
                                        ; -- End function
	.section	.AMDGPU.csdata,"",@progbits
; Kernel info:
; codeLenInByte = 1376
; NumSgprs: 18
; NumVgprs: 27
; ScratchSize: 0
; MemoryBound: 0
; FloatMode: 240
; IeeeMode: 1
; LDSByteSize: 32 bytes/workgroup (compile time only)
; SGPRBlocks: 2
; VGPRBlocks: 3
; NumSGPRsForWavesPerEU: 18
; NumVGPRsForWavesPerEU: 27
; Occupancy: 16
; WaveLimiterHint : 0
; COMPUTE_PGM_RSRC2:SCRATCH_EN: 0
; COMPUTE_PGM_RSRC2:USER_SGPR: 15
; COMPUTE_PGM_RSRC2:TRAP_HANDLER: 0
; COMPUTE_PGM_RSRC2:TGID_X_EN: 1
; COMPUTE_PGM_RSRC2:TGID_Y_EN: 0
; COMPUTE_PGM_RSRC2:TGID_Z_EN: 0
; COMPUTE_PGM_RSRC2:TIDIG_COMP_CNT: 0
	.section	.text._ZN5aiter20data_to_scale_kernelIDF16_aEEvPfPKT_i,"axG",@progbits,_ZN5aiter20data_to_scale_kernelIDF16_aEEvPfPKT_i,comdat
	.protected	_ZN5aiter20data_to_scale_kernelIDF16_aEEvPfPKT_i ; -- Begin function _ZN5aiter20data_to_scale_kernelIDF16_aEEvPfPKT_i
	.globl	_ZN5aiter20data_to_scale_kernelIDF16_aEEvPfPKT_i
	.p2align	8
	.type	_ZN5aiter20data_to_scale_kernelIDF16_aEEvPfPKT_i,@function
_ZN5aiter20data_to_scale_kernelIDF16_aEEvPfPKT_i: ; @_ZN5aiter20data_to_scale_kernelIDF16_aEEvPfPKT_i
; %bb.0:
	s_clause 0x1
	s_load_b32 s6, s[0:1], 0x10
	s_load_b64 s[2:3], s[0:1], 0x8
	s_mov_b32 s5, 0
                                        ; implicit-def: $vgpr1_vgpr2_vgpr3_vgpr4_vgpr5_vgpr6_vgpr7_vgpr8
	s_waitcnt lgkmcnt(0)
	s_mul_i32 s4, s15, s6
	s_delay_alu instid0(SALU_CYCLE_1) | instskip(NEXT) | instid1(SALU_CYCLE_1)
	s_lshl_b64 s[4:5], s[4:5], 1
	s_add_u32 s4, s2, s4
	s_addc_u32 s2, s3, s5
	s_add_i32 s3, s6, 15
	s_add_i32 s6, s6, 1
	s_ashr_i32 s5, s3, 31
	s_lshr_b32 s7, s6, 31
	s_lshr_b32 s5, s5, 28
	s_add_i32 s6, s6, s7
	s_add_i32 s3, s3, s5
	s_and_b32 s5, s2, 0xffff
	s_ashr_i32 s8, s3, 4
	s_lshl_b32 s3, s6, 1
	s_mov_b32 s2, exec_lo
	s_and_b32 s6, s3, -4
	v_cmpx_gt_u32_e64 s8, v0
; %bb.1:
	v_lshlrev_b32_e32 v5, 5, v0
	s_mov_b32 s7, -1
	s_clause 0x1
	buffer_load_b128 v[1:4], v5, s[4:7], 0 offen
	buffer_load_b128 v[5:8], v5, s[4:7], 16 offen
; %bb.2:
	s_or_b32 exec_lo, exec_lo, s2
	s_load_b64 s[2:3], s[0:1], 0x0
	v_dual_mov_b32 v18, 0 :: v_dual_add_nc_u32 v17, 0x100, v0
	s_ashr_i32 s9, s8, 31
	s_mov_b32 s0, exec_lo
	s_delay_alu instid0(VALU_DEP_1) | instskip(NEXT) | instid1(VALU_DEP_2)
	v_mov_b32_e32 v19, v18
	v_cmpx_gt_u32_e64 s8, v17
	s_cbranch_execz .LBB8_6
; %bb.3:
	v_lshl_add_u32 v20, v0, 5, 0x2000
	v_mov_b32_e32 v19, 0
	s_mov_b32 s1, 0
	s_mov_b32 s7, -1
.LBB8_4:                                ; =>This Inner Loop Header: Depth=1
	s_clause 0x1
	buffer_load_b128 v[9:12], v20, s[4:7], 0 offen
	buffer_load_b128 v[13:16], v20, s[4:7], 16 offen
	s_waitcnt vmcnt(3)
	v_lshrrev_b32_e32 v21, 16, v1
	v_cvt_f32_f16_e64 v1, |v1|
	v_cvt_f32_f16_e64 v22, |v2|
	v_lshrrev_b32_e32 v2, 16, v2
	v_cvt_f32_f16_e64 v23, |v3|
	v_cvt_f32_f16_e64 v21, |v21|
	;; [unrolled: 3-line block ×3, first 2 shown]
	v_lshrrev_b32_e32 v4, 16, v4
	v_max3_f32 v1, v19, v1, v21
	v_cvt_f32_f16_e64 v3, |v3|
	s_waitcnt vmcnt(2)
	v_cvt_f32_f16_e64 v19, |v5|
	v_add_co_u32 v17, vcc_lo, 0x100, v17
	v_max3_f32 v1, v1, v22, v2
	v_lshrrev_b32_e32 v2, 16, v5
	v_cvt_f32_f16_e64 v4, |v4|
	v_cvt_f32_f16_e64 v5, |v6|
	v_add_co_ci_u32_e32 v18, vcc_lo, 0, v18, vcc_lo
	v_max3_f32 v1, v1, v23, v3
	v_lshrrev_b32_e32 v3, 16, v6
	v_cvt_f32_f16_e64 v2, |v2|
	v_cvt_f32_f16_e64 v6, |v7|
	v_cmp_le_u64_e32 vcc_lo, s[8:9], v[17:18]
	v_max3_f32 v1, v1, v24, v4
	v_lshrrev_b32_e32 v4, 16, v7
	v_cvt_f32_f16_e64 v3, |v3|
	v_lshrrev_b32_e32 v7, 16, v8
	v_add_nc_u32_e32 v20, 0x2000, v20
	v_max3_f32 v1, v1, v19, v2
	v_cvt_f32_f16_e64 v2, |v4|
	s_or_b32 s1, vcc_lo, s1
	v_cvt_f32_f16_e64 v4, |v7|
	s_delay_alu instid0(VALU_DEP_3) | instskip(SKIP_1) | instid1(VALU_DEP_2)
	v_max3_f32 v1, v1, v5, v3
	v_cvt_f32_f16_e64 v3, |v8|
	v_max3_f32 v1, v1, v6, v2
	s_delay_alu instid0(VALU_DEP_1)
	v_max3_f32 v19, v1, v3, v4
	s_waitcnt vmcnt(0)
	v_dual_mov_b32 v1, v9 :: v_dual_mov_b32 v2, v10
	v_dual_mov_b32 v3, v11 :: v_dual_mov_b32 v4, v12
	v_dual_mov_b32 v5, v13 :: v_dual_mov_b32 v6, v14
	v_dual_mov_b32 v7, v15 :: v_dual_mov_b32 v8, v16
	s_and_not1_b32 exec_lo, exec_lo, s1
	s_cbranch_execnz .LBB8_4
; %bb.5:
	s_or_b32 exec_lo, exec_lo, s1
	v_dual_mov_b32 v1, v9 :: v_dual_mov_b32 v2, v10
	v_dual_mov_b32 v3, v11 :: v_dual_mov_b32 v4, v12
	;; [unrolled: 1-line block ×4, first 2 shown]
.LBB8_6:
	s_or_b32 exec_lo, exec_lo, s0
	v_add_co_u32 v9, vcc_lo, 0xffffff00, v17
	v_add_co_ci_u32_e32 v10, vcc_lo, -1, v18, vcc_lo
	s_mov_b32 s0, exec_lo
	s_delay_alu instid0(VALU_DEP_1)
	v_cmpx_gt_u64_e64 s[8:9], v[9:10]
	s_cbranch_execz .LBB8_8
; %bb.7:
	s_waitcnt vmcnt(1)
	v_lshrrev_b32_e32 v9, 16, v1
	v_cvt_f32_f16_e64 v1, |v1|
	v_lshrrev_b32_e32 v10, 16, v2
	v_cvt_f32_f16_e64 v2, |v2|
	;; [unrolled: 2-line block ×3, first 2 shown]
	v_cvt_f32_f16_e64 v3, |v3|
	v_cvt_f32_f16_e64 v10, |v10|
	s_delay_alu instid0(VALU_DEP_4) | instskip(NEXT) | instid1(VALU_DEP_4)
	v_cvt_f32_f16_e64 v11, |v11|
	v_max3_f32 v1, v19, v1, v9
	v_lshrrev_b32_e32 v9, 16, v4
	s_delay_alu instid0(VALU_DEP_2)
	v_max3_f32 v1, v1, v2, v10
	v_cvt_f32_f16_e64 v2, |v4|
	s_waitcnt vmcnt(0)
	v_lshrrev_b32_e32 v4, 16, v5
	v_cvt_f32_f16_e64 v9, |v9|
	v_max3_f32 v1, v1, v3, v11
	v_cvt_f32_f16_e64 v3, |v5|
	v_lshrrev_b32_e32 v5, 16, v6
	v_cvt_f32_f16_e64 v4, |v4|
	s_delay_alu instid0(VALU_DEP_4) | instskip(SKIP_3) | instid1(VALU_DEP_4)
	v_max3_f32 v1, v1, v2, v9
	v_cvt_f32_f16_e64 v2, |v6|
	v_lshrrev_b32_e32 v6, 16, v7
	v_cvt_f32_f16_e64 v5, |v5|
	v_max3_f32 v1, v1, v3, v4
	v_cvt_f32_f16_e64 v3, |v7|
	s_delay_alu instid0(VALU_DEP_4) | instskip(NEXT) | instid1(VALU_DEP_3)
	v_cvt_f32_f16_e64 v4, |v6|
	v_max3_f32 v1, v1, v2, v5
	v_lshrrev_b32_e32 v2, 16, v8
	v_cvt_f32_f16_e64 v5, |v8|
	s_delay_alu instid0(VALU_DEP_3) | instskip(NEXT) | instid1(VALU_DEP_3)
	v_max3_f32 v1, v1, v3, v4
	v_cvt_f32_f16_e64 v2, |v2|
	s_delay_alu instid0(VALU_DEP_1)
	v_max3_f32 v19, v1, v5, v2
.LBB8_8:
	s_or_b32 exec_lo, exec_lo, s0
	s_waitcnt vmcnt(1)
	s_delay_alu instid0(VALU_DEP_1) | instskip(SKIP_2) | instid1(VALU_DEP_2)
	v_mov_b32_dpp v1, v19 quad_perm:[1,0,3,2] row_mask:0xf bank_mask:0xf
	v_and_b32_e32 v3, 31, v0
	s_mov_b32 s1, exec_lo
	v_cmp_gt_f32_e32 vcc_lo, v19, v1
	v_cndmask_b32_e32 v1, v1, v19, vcc_lo
	s_delay_alu instid0(VALU_DEP_1) | instskip(NEXT) | instid1(VALU_DEP_1)
	v_mov_b32_dpp v2, v1 quad_perm:[2,3,0,1] row_mask:0xf bank_mask:0xf
	v_cmp_gt_f32_e32 vcc_lo, v1, v2
	v_cndmask_b32_e32 v1, v2, v1, vcc_lo
	s_delay_alu instid0(VALU_DEP_1) | instskip(NEXT) | instid1(VALU_DEP_1)
	v_mov_b32_dpp v2, v1 row_xmask:7 row_mask:0xf bank_mask:0xf
	v_cmp_gt_f32_e32 vcc_lo, v1, v2
	v_cndmask_b32_e32 v1, v2, v1, vcc_lo
	s_delay_alu instid0(VALU_DEP_1) | instskip(NEXT) | instid1(VALU_DEP_1)
	v_mov_b32_dpp v2, v1 row_xmask:15 row_mask:0xf bank_mask:0xf
	v_cmp_gt_f32_e32 vcc_lo, v1, v2
	v_cmpx_eq_u32_e32 31, v3
	s_cbranch_execz .LBB8_10
; %bb.9:
	v_cndmask_b32_e32 v1, v2, v1, vcc_lo
	v_lshrrev_b32_e32 v2, 3, v0
	s_mov_b32 s0, 0x76543210
	s_delay_alu instid0(VALU_DEP_1) | instskip(NEXT) | instid1(VALU_DEP_3)
	v_and_b32_e32 v2, 0x7c, v2
	v_permlanex16_b32 v3, v1, s0, 0xfedcba98 op_sel:[1,1]
	s_delay_alu instid0(VALU_DEP_1)
	v_cmp_gt_f32_e32 vcc_lo, v1, v3
	v_cndmask_b32_e32 v1, v3, v1, vcc_lo
	ds_store_b32 v2, v1
.LBB8_10:
	s_or_b32 exec_lo, exec_lo, s1
	v_and_b32_e32 v1, 7, v0
	s_waitcnt vmcnt(0) lgkmcnt(0)
	s_barrier
	buffer_gl0_inv
	s_mov_b32 s0, exec_lo
	v_lshlrev_b32_e32 v1, 2, v1
	ds_load_b32 v1, v1
	s_waitcnt lgkmcnt(0)
	v_mov_b32_dpp v2, v1 quad_perm:[1,0,3,2] row_mask:0xf bank_mask:0xf
	s_delay_alu instid0(VALU_DEP_1) | instskip(SKIP_1) | instid1(VALU_DEP_1)
	v_cmp_gt_f32_e32 vcc_lo, v1, v2
	v_cndmask_b32_e32 v1, v2, v1, vcc_lo
	v_mov_b32_dpp v2, v1 quad_perm:[2,3,0,1] row_mask:0xf bank_mask:0xf
	s_delay_alu instid0(VALU_DEP_1) | instskip(SKIP_1) | instid1(VALU_DEP_1)
	v_cmp_gt_f32_e32 vcc_lo, v1, v2
	v_cndmask_b32_e32 v1, v2, v1, vcc_lo
	v_mov_b32_dpp v2, v1 row_xmask:7 row_mask:0xf bank_mask:0xf
	v_cmpx_eq_u32_e32 0, v0
	s_cbranch_execz .LBB8_22
; %bb.11:
	s_delay_alu instid0(VALU_DEP_2) | instskip(SKIP_2) | instid1(VALU_DEP_1)
	v_cmp_gt_f32_e32 vcc_lo, v1, v2
	s_mov_b32 s0, exec_lo
	v_cndmask_b32_e32 v0, v2, v1, vcc_lo
	v_mul_f32_e32 v0, 0x3c010204, v0
	s_delay_alu instid0(VALU_DEP_1)
	v_cmpx_le_f32_e32 0, v0
	s_xor_b32 s0, exec_lo, s0
	s_cbranch_execz .LBB8_17
; %bb.12:
	s_mov_b32 s4, exec_lo
	s_brev_b32 s1, 1
.LBB8_13:                               ; =>This Inner Loop Header: Depth=1
	s_ctz_i32_b32 s5, s4
	s_delay_alu instid0(SALU_CYCLE_1) | instskip(SKIP_1) | instid1(SALU_CYCLE_1)
	v_readlane_b32 s6, v0, s5
	s_lshl_b32 s5, 1, s5
	s_and_not1_b32 s4, s4, s5
	s_delay_alu instid0(VALU_DEP_1)
	s_max_i32 s1, s1, s6
	s_cmp_lg_u32 s4, 0
	s_cbranch_scc1 .LBB8_13
; %bb.14:
	v_mbcnt_lo_u32_b32 v0, exec_lo, 0
	s_mov_b32 s4, exec_lo
	s_delay_alu instid0(VALU_DEP_1)
	v_cmpx_eq_u32_e32 0, v0
	s_xor_b32 s4, exec_lo, s4
	s_cbranch_execz .LBB8_16
; %bb.15:
	v_dual_mov_b32 v0, 0 :: v_dual_mov_b32 v1, s1
	global_atomic_max_i32 v0, v1, s[2:3]
.LBB8_16:
	s_or_b32 exec_lo, exec_lo, s4
                                        ; implicit-def: $vgpr0
.LBB8_17:
	s_and_not1_saveexec_b32 s0, s0
	s_cbranch_execz .LBB8_22
; %bb.18:
	s_mov_b32 s1, exec_lo
	s_mov_b32 s0, -1
.LBB8_19:                               ; =>This Inner Loop Header: Depth=1
	s_ctz_i32_b32 s4, s1
	s_delay_alu instid0(SALU_CYCLE_1) | instskip(SKIP_1) | instid1(SALU_CYCLE_1)
	v_readlane_b32 s5, v0, s4
	s_lshl_b32 s4, 1, s4
	s_and_not1_b32 s1, s1, s4
	s_delay_alu instid0(VALU_DEP_1)
	s_min_u32 s0, s0, s5
	s_cmp_lg_u32 s1, 0
	s_cbranch_scc1 .LBB8_19
; %bb.20:
	v_mbcnt_lo_u32_b32 v0, exec_lo, 0
	s_mov_b32 s1, exec_lo
	s_delay_alu instid0(VALU_DEP_1)
	v_cmpx_eq_u32_e32 0, v0
	s_xor_b32 s1, exec_lo, s1
	s_cbranch_execz .LBB8_22
; %bb.21:
	v_dual_mov_b32 v0, 0 :: v_dual_mov_b32 v1, s0
	global_atomic_min_u32 v0, v1, s[2:3]
.LBB8_22:
	s_nop 0
	s_sendmsg sendmsg(MSG_DEALLOC_VGPRS)
	s_endpgm
	.section	.rodata,"a",@progbits
	.p2align	6, 0x0
	.amdhsa_kernel _ZN5aiter20data_to_scale_kernelIDF16_aEEvPfPKT_i
		.amdhsa_group_segment_fixed_size 32
		.amdhsa_private_segment_fixed_size 0
		.amdhsa_kernarg_size 20
		.amdhsa_user_sgpr_count 15
		.amdhsa_user_sgpr_dispatch_ptr 0
		.amdhsa_user_sgpr_queue_ptr 0
		.amdhsa_user_sgpr_kernarg_segment_ptr 1
		.amdhsa_user_sgpr_dispatch_id 0
		.amdhsa_user_sgpr_private_segment_size 0
		.amdhsa_wavefront_size32 1
		.amdhsa_uses_dynamic_stack 0
		.amdhsa_enable_private_segment 0
		.amdhsa_system_sgpr_workgroup_id_x 1
		.amdhsa_system_sgpr_workgroup_id_y 0
		.amdhsa_system_sgpr_workgroup_id_z 0
		.amdhsa_system_sgpr_workgroup_info 0
		.amdhsa_system_vgpr_workitem_id 0
		.amdhsa_next_free_vgpr 25
		.amdhsa_next_free_sgpr 16
		.amdhsa_reserve_vcc 1
		.amdhsa_float_round_mode_32 0
		.amdhsa_float_round_mode_16_64 0
		.amdhsa_float_denorm_mode_32 3
		.amdhsa_float_denorm_mode_16_64 3
		.amdhsa_dx10_clamp 1
		.amdhsa_ieee_mode 1
		.amdhsa_fp16_overflow 0
		.amdhsa_workgroup_processor_mode 1
		.amdhsa_memory_ordered 1
		.amdhsa_forward_progress 0
		.amdhsa_shared_vgpr_count 0
		.amdhsa_exception_fp_ieee_invalid_op 0
		.amdhsa_exception_fp_denorm_src 0
		.amdhsa_exception_fp_ieee_div_zero 0
		.amdhsa_exception_fp_ieee_overflow 0
		.amdhsa_exception_fp_ieee_underflow 0
		.amdhsa_exception_fp_ieee_inexact 0
		.amdhsa_exception_int_div_zero 0
	.end_amdhsa_kernel
	.section	.text._ZN5aiter20data_to_scale_kernelIDF16_aEEvPfPKT_i,"axG",@progbits,_ZN5aiter20data_to_scale_kernelIDF16_aEEvPfPKT_i,comdat
.Lfunc_end8:
	.size	_ZN5aiter20data_to_scale_kernelIDF16_aEEvPfPKT_i, .Lfunc_end8-_ZN5aiter20data_to_scale_kernelIDF16_aEEvPfPKT_i
                                        ; -- End function
	.section	.AMDGPU.csdata,"",@progbits
; Kernel info:
; codeLenInByte = 1388
; NumSgprs: 18
; NumVgprs: 25
; ScratchSize: 0
; MemoryBound: 0
; FloatMode: 240
; IeeeMode: 1
; LDSByteSize: 32 bytes/workgroup (compile time only)
; SGPRBlocks: 2
; VGPRBlocks: 3
; NumSGPRsForWavesPerEU: 18
; NumVGPRsForWavesPerEU: 25
; Occupancy: 16
; WaveLimiterHint : 0
; COMPUTE_PGM_RSRC2:SCRATCH_EN: 0
; COMPUTE_PGM_RSRC2:USER_SGPR: 15
; COMPUTE_PGM_RSRC2:TRAP_HANDLER: 0
; COMPUTE_PGM_RSRC2:TGID_X_EN: 1
; COMPUTE_PGM_RSRC2:TGID_Y_EN: 0
; COMPUTE_PGM_RSRC2:TGID_Z_EN: 0
; COMPUTE_PGM_RSRC2:TIDIG_COMP_CNT: 0
	.section	.text._ZN5aiter20data_to_scale_kernelItaEEvPfPKT_i,"axG",@progbits,_ZN5aiter20data_to_scale_kernelItaEEvPfPKT_i,comdat
	.protected	_ZN5aiter20data_to_scale_kernelItaEEvPfPKT_i ; -- Begin function _ZN5aiter20data_to_scale_kernelItaEEvPfPKT_i
	.globl	_ZN5aiter20data_to_scale_kernelItaEEvPfPKT_i
	.p2align	8
	.type	_ZN5aiter20data_to_scale_kernelItaEEvPfPKT_i,@function
_ZN5aiter20data_to_scale_kernelItaEEvPfPKT_i: ; @_ZN5aiter20data_to_scale_kernelItaEEvPfPKT_i
; %bb.0:
	s_clause 0x1
	s_load_b32 s6, s[0:1], 0x10
	s_load_b64 s[2:3], s[0:1], 0x8
	s_mov_b32 s5, 0
                                        ; implicit-def: $vgpr1_vgpr2_vgpr3_vgpr4_vgpr5_vgpr6_vgpr7_vgpr8
	s_waitcnt lgkmcnt(0)
	s_mul_i32 s4, s15, s6
	s_delay_alu instid0(SALU_CYCLE_1) | instskip(NEXT) | instid1(SALU_CYCLE_1)
	s_lshl_b64 s[4:5], s[4:5], 1
	s_add_u32 s4, s2, s4
	s_addc_u32 s2, s3, s5
	s_add_i32 s3, s6, 15
	s_add_i32 s6, s6, 1
	s_ashr_i32 s5, s3, 31
	s_lshr_b32 s7, s6, 31
	s_lshr_b32 s5, s5, 28
	s_add_i32 s6, s6, s7
	s_add_i32 s3, s3, s5
	s_and_b32 s5, s2, 0xffff
	s_ashr_i32 s8, s3, 4
	s_lshl_b32 s3, s6, 1
	s_mov_b32 s2, exec_lo
	s_and_b32 s6, s3, -4
	v_cmpx_gt_u32_e64 s8, v0
; %bb.1:
	v_lshlrev_b32_e32 v5, 5, v0
	s_mov_b32 s7, -1
	s_clause 0x1
	buffer_load_b128 v[1:4], v5, s[4:7], 0 offen
	buffer_load_b128 v[5:8], v5, s[4:7], 16 offen
; %bb.2:
	s_or_b32 exec_lo, exec_lo, s2
	s_load_b64 s[2:3], s[0:1], 0x0
	v_dual_mov_b32 v18, 0 :: v_dual_add_nc_u32 v17, 0x100, v0
	s_ashr_i32 s9, s8, 31
	s_mov_b32 s0, exec_lo
	s_delay_alu instid0(VALU_DEP_1) | instskip(NEXT) | instid1(VALU_DEP_2)
	v_mov_b32_e32 v19, v18
	v_cmpx_gt_u32_e64 s8, v17
	s_cbranch_execz .LBB9_6
; %bb.3:
	v_lshl_add_u32 v20, v0, 5, 0x2000
	v_mov_b32_e32 v19, 0
	s_mov_b32 s1, 0
	s_mov_b32 s7, -1
.LBB9_4:                                ; =>This Inner Loop Header: Depth=1
	s_clause 0x1
	buffer_load_b128 v[9:12], v20, s[4:7], 0 offen
	buffer_load_b128 v[13:16], v20, s[4:7], 16 offen
	s_waitcnt vmcnt(3)
	v_and_b32_e32 v21, 0xffff, v1
	v_lshrrev_b32_e32 v1, 16, v1
	v_and_b32_e32 v22, 0xffff, v2
	v_lshrrev_b32_e32 v2, 16, v2
	v_and_b32_e32 v23, 0xffff, v3
	v_cvt_f32_u32_e32 v21, v21
	v_cvt_f32_u32_e32 v1, v1
	v_lshrrev_b32_e32 v3, 16, v3
	v_cvt_f32_u32_e32 v22, v22
	v_cvt_f32_u32_e32 v2, v2
	v_and_b32_e32 v24, 0xffff, v4
	v_max3_f32 v1, v19, v21, v1
	v_lshrrev_b32_e32 v4, 16, v4
	v_cvt_f32_u32_e32 v21, v23
	v_cvt_f32_u32_e32 v3, v3
	s_waitcnt vmcnt(2)
	v_and_b32_e32 v25, 0xffff, v5
	v_max3_f32 v1, v1, v22, v2
	v_lshrrev_b32_e32 v5, 16, v5
	v_and_b32_e32 v19, 0xffff, v7
	v_lshrrev_b32_e32 v2, 16, v7
	v_cvt_f32_u32_e32 v7, v24
	v_cvt_f32_u32_e32 v4, v4
	v_max3_f32 v1, v1, v21, v3
	v_and_b32_e32 v26, 0xffff, v6
	v_lshrrev_b32_e32 v6, 16, v6
	v_cvt_f32_u32_e32 v21, v25
	v_cvt_f32_u32_e32 v5, v5
	v_max3_f32 v1, v1, v7, v4
	v_cvt_f32_u32_e32 v7, v26
	v_cvt_f32_u32_e32 v6, v6
	v_and_b32_e32 v3, 0xffff, v8
	v_lshrrev_b32_e32 v4, 16, v8
	v_max3_f32 v1, v1, v21, v5
	v_cvt_f32_u32_e32 v5, v19
	v_cvt_f32_u32_e32 v2, v2
	v_add_co_u32 v17, vcc_lo, 0x100, v17
	s_delay_alu instid0(VALU_DEP_4) | instskip(SKIP_3) | instid1(VALU_DEP_4)
	v_max3_f32 v1, v1, v7, v6
	v_add_co_ci_u32_e32 v18, vcc_lo, 0, v18, vcc_lo
	v_cvt_f32_u32_e32 v3, v3
	v_cvt_f32_u32_e32 v4, v4
	v_max3_f32 v1, v1, v5, v2
	s_delay_alu instid0(VALU_DEP_4) | instskip(SKIP_1) | instid1(VALU_DEP_3)
	v_cmp_le_u64_e32 vcc_lo, s[8:9], v[17:18]
	v_add_nc_u32_e32 v20, 0x2000, v20
	v_max3_f32 v19, v1, v3, v4
	s_or_b32 s1, vcc_lo, s1
	s_waitcnt vmcnt(0)
	v_mov_b32_e32 v1, v9
	v_dual_mov_b32 v7, v15 :: v_dual_mov_b32 v2, v10
	v_dual_mov_b32 v3, v11 :: v_dual_mov_b32 v4, v12
	;; [unrolled: 1-line block ×3, first 2 shown]
	v_mov_b32_e32 v8, v16
	s_and_not1_b32 exec_lo, exec_lo, s1
	s_cbranch_execnz .LBB9_4
; %bb.5:
	s_or_b32 exec_lo, exec_lo, s1
	v_dual_mov_b32 v1, v9 :: v_dual_mov_b32 v2, v10
	v_dual_mov_b32 v3, v11 :: v_dual_mov_b32 v4, v12
	;; [unrolled: 1-line block ×4, first 2 shown]
.LBB9_6:
	s_or_b32 exec_lo, exec_lo, s0
	v_add_co_u32 v9, vcc_lo, 0xffffff00, v17
	v_add_co_ci_u32_e32 v10, vcc_lo, -1, v18, vcc_lo
	s_mov_b32 s0, exec_lo
	s_delay_alu instid0(VALU_DEP_1)
	v_cmpx_gt_u64_e64 s[8:9], v[9:10]
	s_cbranch_execz .LBB9_8
; %bb.7:
	s_waitcnt vmcnt(1)
	v_and_b32_e32 v9, 0xffff, v1
	v_lshrrev_b32_e32 v1, 16, v1
	v_and_b32_e32 v10, 0xffff, v2
	v_lshrrev_b32_e32 v2, 16, v2
	v_and_b32_e32 v11, 0xffff, v3
	v_cvt_f32_u32_e32 v9, v9
	v_cvt_f32_u32_e32 v1, v1
	v_lshrrev_b32_e32 v3, 16, v3
	v_cvt_f32_u32_e32 v10, v10
	v_cvt_f32_u32_e32 v2, v2
	;; [unrolled: 1-line block ×3, first 2 shown]
	v_max3_f32 v1, v19, v9, v1
	v_and_b32_e32 v9, 0xffff, v4
	v_lshrrev_b32_e32 v4, 16, v4
	v_cvt_f32_u32_e32 v3, v3
	s_delay_alu instid0(VALU_DEP_4)
	v_max3_f32 v1, v1, v10, v2
	s_waitcnt vmcnt(0)
	v_and_b32_e32 v2, 0xffff, v5
	v_lshrrev_b32_e32 v5, 16, v5
	v_cvt_f32_u32_e32 v9, v9
	v_cvt_f32_u32_e32 v4, v4
	v_max3_f32 v1, v1, v11, v3
	v_and_b32_e32 v3, 0xffff, v6
	v_lshrrev_b32_e32 v6, 16, v6
	v_cvt_f32_u32_e32 v2, v2
	v_cvt_f32_u32_e32 v5, v5
	v_max3_f32 v1, v1, v9, v4
	;; [unrolled: 5-line block ×3, first 2 shown]
	v_and_b32_e32 v2, 0xffff, v8
	v_cvt_f32_u32_e32 v4, v4
	v_cvt_f32_u32_e32 v5, v7
	s_delay_alu instid0(VALU_DEP_4) | instskip(SKIP_2) | instid1(VALU_DEP_3)
	v_max3_f32 v1, v1, v3, v6
	v_lshrrev_b32_e32 v3, 16, v8
	v_cvt_f32_u32_e32 v2, v2
	v_max3_f32 v1, v1, v4, v5
	s_delay_alu instid0(VALU_DEP_3) | instskip(NEXT) | instid1(VALU_DEP_1)
	v_cvt_f32_u32_e32 v3, v3
	v_max3_f32 v19, v1, v2, v3
.LBB9_8:
	s_or_b32 exec_lo, exec_lo, s0
	s_waitcnt vmcnt(1)
	s_delay_alu instid0(VALU_DEP_1) | instskip(SKIP_2) | instid1(VALU_DEP_2)
	v_mov_b32_dpp v1, v19 quad_perm:[1,0,3,2] row_mask:0xf bank_mask:0xf
	v_and_b32_e32 v3, 31, v0
	s_mov_b32 s1, exec_lo
	v_cmp_gt_f32_e32 vcc_lo, v19, v1
	v_cndmask_b32_e32 v1, v1, v19, vcc_lo
	s_delay_alu instid0(VALU_DEP_1) | instskip(NEXT) | instid1(VALU_DEP_1)
	v_mov_b32_dpp v2, v1 quad_perm:[2,3,0,1] row_mask:0xf bank_mask:0xf
	v_cmp_gt_f32_e32 vcc_lo, v1, v2
	v_cndmask_b32_e32 v1, v2, v1, vcc_lo
	s_delay_alu instid0(VALU_DEP_1) | instskip(NEXT) | instid1(VALU_DEP_1)
	v_mov_b32_dpp v2, v1 row_xmask:7 row_mask:0xf bank_mask:0xf
	v_cmp_gt_f32_e32 vcc_lo, v1, v2
	v_cndmask_b32_e32 v1, v2, v1, vcc_lo
	s_delay_alu instid0(VALU_DEP_1) | instskip(NEXT) | instid1(VALU_DEP_1)
	v_mov_b32_dpp v2, v1 row_xmask:15 row_mask:0xf bank_mask:0xf
	v_cmp_gt_f32_e32 vcc_lo, v1, v2
	v_cmpx_eq_u32_e32 31, v3
	s_cbranch_execz .LBB9_10
; %bb.9:
	v_cndmask_b32_e32 v1, v2, v1, vcc_lo
	v_lshrrev_b32_e32 v2, 3, v0
	s_mov_b32 s0, 0x76543210
	s_delay_alu instid0(VALU_DEP_1) | instskip(NEXT) | instid1(VALU_DEP_3)
	v_and_b32_e32 v2, 0x7c, v2
	v_permlanex16_b32 v3, v1, s0, 0xfedcba98 op_sel:[1,1]
	s_delay_alu instid0(VALU_DEP_1)
	v_cmp_gt_f32_e32 vcc_lo, v1, v3
	v_cndmask_b32_e32 v1, v3, v1, vcc_lo
	ds_store_b32 v2, v1
.LBB9_10:
	s_or_b32 exec_lo, exec_lo, s1
	v_and_b32_e32 v1, 7, v0
	s_waitcnt vmcnt(0) lgkmcnt(0)
	s_barrier
	buffer_gl0_inv
	s_mov_b32 s0, exec_lo
	v_lshlrev_b32_e32 v1, 2, v1
	ds_load_b32 v1, v1
	s_waitcnt lgkmcnt(0)
	v_mov_b32_dpp v2, v1 quad_perm:[1,0,3,2] row_mask:0xf bank_mask:0xf
	s_delay_alu instid0(VALU_DEP_1) | instskip(SKIP_1) | instid1(VALU_DEP_1)
	v_cmp_gt_f32_e32 vcc_lo, v1, v2
	v_cndmask_b32_e32 v1, v2, v1, vcc_lo
	v_mov_b32_dpp v2, v1 quad_perm:[2,3,0,1] row_mask:0xf bank_mask:0xf
	s_delay_alu instid0(VALU_DEP_1) | instskip(SKIP_1) | instid1(VALU_DEP_1)
	v_cmp_gt_f32_e32 vcc_lo, v1, v2
	v_cndmask_b32_e32 v1, v2, v1, vcc_lo
	v_mov_b32_dpp v2, v1 row_xmask:7 row_mask:0xf bank_mask:0xf
	v_cmpx_eq_u32_e32 0, v0
	s_cbranch_execz .LBB9_22
; %bb.11:
	s_delay_alu instid0(VALU_DEP_2) | instskip(SKIP_2) | instid1(VALU_DEP_1)
	v_cmp_gt_f32_e32 vcc_lo, v1, v2
	s_mov_b32 s0, exec_lo
	v_cndmask_b32_e32 v0, v2, v1, vcc_lo
	v_mul_f32_e32 v0, 0x3c010204, v0
	s_delay_alu instid0(VALU_DEP_1)
	v_cmpx_le_f32_e32 0, v0
	s_xor_b32 s0, exec_lo, s0
	s_cbranch_execz .LBB9_17
; %bb.12:
	s_mov_b32 s4, exec_lo
	s_brev_b32 s1, 1
.LBB9_13:                               ; =>This Inner Loop Header: Depth=1
	s_ctz_i32_b32 s5, s4
	s_delay_alu instid0(SALU_CYCLE_1) | instskip(SKIP_1) | instid1(SALU_CYCLE_1)
	v_readlane_b32 s6, v0, s5
	s_lshl_b32 s5, 1, s5
	s_and_not1_b32 s4, s4, s5
	s_delay_alu instid0(VALU_DEP_1)
	s_max_i32 s1, s1, s6
	s_cmp_lg_u32 s4, 0
	s_cbranch_scc1 .LBB9_13
; %bb.14:
	v_mbcnt_lo_u32_b32 v0, exec_lo, 0
	s_mov_b32 s4, exec_lo
	s_delay_alu instid0(VALU_DEP_1)
	v_cmpx_eq_u32_e32 0, v0
	s_xor_b32 s4, exec_lo, s4
	s_cbranch_execz .LBB9_16
; %bb.15:
	v_dual_mov_b32 v0, 0 :: v_dual_mov_b32 v1, s1
	global_atomic_max_i32 v0, v1, s[2:3]
.LBB9_16:
	s_or_b32 exec_lo, exec_lo, s4
                                        ; implicit-def: $vgpr0
.LBB9_17:
	s_and_not1_saveexec_b32 s0, s0
	s_cbranch_execz .LBB9_22
; %bb.18:
	s_mov_b32 s1, exec_lo
	s_mov_b32 s0, -1
.LBB9_19:                               ; =>This Inner Loop Header: Depth=1
	s_ctz_i32_b32 s4, s1
	s_delay_alu instid0(SALU_CYCLE_1) | instskip(SKIP_1) | instid1(SALU_CYCLE_1)
	v_readlane_b32 s5, v0, s4
	s_lshl_b32 s4, 1, s4
	s_and_not1_b32 s1, s1, s4
	s_delay_alu instid0(VALU_DEP_1)
	s_min_u32 s0, s0, s5
	s_cmp_lg_u32 s1, 0
	s_cbranch_scc1 .LBB9_19
; %bb.20:
	v_mbcnt_lo_u32_b32 v0, exec_lo, 0
	s_mov_b32 s1, exec_lo
	s_delay_alu instid0(VALU_DEP_1)
	v_cmpx_eq_u32_e32 0, v0
	s_xor_b32 s1, exec_lo, s1
	s_cbranch_execz .LBB9_22
; %bb.21:
	v_dual_mov_b32 v0, 0 :: v_dual_mov_b32 v1, s0
	global_atomic_min_u32 v0, v1, s[2:3]
.LBB9_22:
	s_nop 0
	s_sendmsg sendmsg(MSG_DEALLOC_VGPRS)
	s_endpgm
	.section	.rodata,"a",@progbits
	.p2align	6, 0x0
	.amdhsa_kernel _ZN5aiter20data_to_scale_kernelItaEEvPfPKT_i
		.amdhsa_group_segment_fixed_size 32
		.amdhsa_private_segment_fixed_size 0
		.amdhsa_kernarg_size 20
		.amdhsa_user_sgpr_count 15
		.amdhsa_user_sgpr_dispatch_ptr 0
		.amdhsa_user_sgpr_queue_ptr 0
		.amdhsa_user_sgpr_kernarg_segment_ptr 1
		.amdhsa_user_sgpr_dispatch_id 0
		.amdhsa_user_sgpr_private_segment_size 0
		.amdhsa_wavefront_size32 1
		.amdhsa_uses_dynamic_stack 0
		.amdhsa_enable_private_segment 0
		.amdhsa_system_sgpr_workgroup_id_x 1
		.amdhsa_system_sgpr_workgroup_id_y 0
		.amdhsa_system_sgpr_workgroup_id_z 0
		.amdhsa_system_sgpr_workgroup_info 0
		.amdhsa_system_vgpr_workitem_id 0
		.amdhsa_next_free_vgpr 27
		.amdhsa_next_free_sgpr 16
		.amdhsa_reserve_vcc 1
		.amdhsa_float_round_mode_32 0
		.amdhsa_float_round_mode_16_64 0
		.amdhsa_float_denorm_mode_32 3
		.amdhsa_float_denorm_mode_16_64 3
		.amdhsa_dx10_clamp 1
		.amdhsa_ieee_mode 1
		.amdhsa_fp16_overflow 0
		.amdhsa_workgroup_processor_mode 1
		.amdhsa_memory_ordered 1
		.amdhsa_forward_progress 0
		.amdhsa_shared_vgpr_count 0
		.amdhsa_exception_fp_ieee_invalid_op 0
		.amdhsa_exception_fp_denorm_src 0
		.amdhsa_exception_fp_ieee_div_zero 0
		.amdhsa_exception_fp_ieee_overflow 0
		.amdhsa_exception_fp_ieee_underflow 0
		.amdhsa_exception_fp_ieee_inexact 0
		.amdhsa_exception_int_div_zero 0
	.end_amdhsa_kernel
	.section	.text._ZN5aiter20data_to_scale_kernelItaEEvPfPKT_i,"axG",@progbits,_ZN5aiter20data_to_scale_kernelItaEEvPfPKT_i,comdat
.Lfunc_end9:
	.size	_ZN5aiter20data_to_scale_kernelItaEEvPfPKT_i, .Lfunc_end9-_ZN5aiter20data_to_scale_kernelItaEEvPfPKT_i
                                        ; -- End function
	.section	.AMDGPU.csdata,"",@progbits
; Kernel info:
; codeLenInByte = 1376
; NumSgprs: 18
; NumVgprs: 27
; ScratchSize: 0
; MemoryBound: 0
; FloatMode: 240
; IeeeMode: 1
; LDSByteSize: 32 bytes/workgroup (compile time only)
; SGPRBlocks: 2
; VGPRBlocks: 3
; NumSGPRsForWavesPerEU: 18
; NumVGPRsForWavesPerEU: 27
; Occupancy: 16
; WaveLimiterHint : 0
; COMPUTE_PGM_RSRC2:SCRATCH_EN: 0
; COMPUTE_PGM_RSRC2:USER_SGPR: 15
; COMPUTE_PGM_RSRC2:TRAP_HANDLER: 0
; COMPUTE_PGM_RSRC2:TGID_X_EN: 1
; COMPUTE_PGM_RSRC2:TGID_Y_EN: 0
; COMPUTE_PGM_RSRC2:TGID_Z_EN: 0
; COMPUTE_PGM_RSRC2:TIDIG_COMP_CNT: 0
	.section	.text._ZN5aiter37dynamic_per_group_scaled_quant_kernelIDF16_DB8_Li32ELi32ELb1ELi64ELb0EEEvPT0_PfPKT_PKfliilPKii,"axG",@progbits,_ZN5aiter37dynamic_per_group_scaled_quant_kernelIDF16_DB8_Li32ELi32ELb1ELi64ELb0EEEvPT0_PfPKT_PKfliilPKii,comdat
	.protected	_ZN5aiter37dynamic_per_group_scaled_quant_kernelIDF16_DB8_Li32ELi32ELb1ELi64ELb0EEEvPT0_PfPKT_PKfliilPKii ; -- Begin function _ZN5aiter37dynamic_per_group_scaled_quant_kernelIDF16_DB8_Li32ELi32ELb1ELi64ELb0EEEvPT0_PfPKT_PKfliilPKii
	.globl	_ZN5aiter37dynamic_per_group_scaled_quant_kernelIDF16_DB8_Li32ELi32ELb1ELi64ELb0EEEvPT0_PfPKT_PKfliilPKii
	.p2align	8
	.type	_ZN5aiter37dynamic_per_group_scaled_quant_kernelIDF16_DB8_Li32ELi32ELb1ELi64ELb0EEEvPT0_PfPKT_PKfliilPKii,@function
_ZN5aiter37dynamic_per_group_scaled_quant_kernelIDF16_DB8_Li32ELi32ELb1ELi64ELb0EEEvPT0_PfPKT_PKfliilPKii: ; @_ZN5aiter37dynamic_per_group_scaled_quant_kernelIDF16_DB8_Li32ELi32ELb1ELi64ELb0EEEvPT0_PfPKT_PKfliilPKii
; %bb.0:
	s_load_b64 s[2:3], s[0:1], 0x38
	s_mov_b32 s10, s15
	s_waitcnt lgkmcnt(0)
	s_cmp_eq_u64 s[2:3], 0
	s_cbranch_scc1 .LBB10_2
; %bb.1:
	s_load_b32 s4, s[0:1], 0x40
	s_load_b32 s2, s[2:3], 0x0
	s_waitcnt lgkmcnt(0)
	s_mul_hi_i32 s9, s2, s4
	s_mul_i32 s8, s2, s4
	s_branch .LBB10_3
.LBB10_2:
	s_load_b64 s[8:9], s[0:1], 0x20
.LBB10_3:
	s_load_b64 s[2:3], s[0:1], 0x28
	s_mov_b32 s11, 0
	s_waitcnt lgkmcnt(0)
	s_ashr_i32 s4, s2, 31
	s_delay_alu instid0(SALU_CYCLE_1) | instskip(NEXT) | instid1(SALU_CYCLE_1)
	s_lshr_b32 s4, s4, 27
	s_add_i32 s2, s2, s4
	s_lshl_b64 s[4:5], s[10:11], 6
	s_ashr_i32 s6, s2, 5
	v_or_b32_e32 v2, s4, v0
	s_ashr_i32 s7, s6, 31
                                        ; implicit-def: $vgpr0_vgpr1
	s_delay_alu instid0(SALU_CYCLE_1) | instskip(SKIP_1) | instid1(SALU_CYCLE_1)
	s_or_b64 s[12:13], s[4:5], s[6:7]
	s_mov_b32 s12, s11
	s_cmp_lg_u64 s[12:13], 0
	s_cselect_b32 s2, -1, 0
	s_delay_alu instid0(SALU_CYCLE_1) | instskip(NEXT) | instid1(SALU_CYCLE_1)
	s_and_saveexec_b32 s4, s2
	s_xor_b32 s4, exec_lo, s4
	s_cbranch_execnz .LBB10_7
; %bb.4:
	s_and_not1_saveexec_b32 s2, s4
	s_cbranch_execnz .LBB10_8
.LBB10_5:
	s_or_b32 exec_lo, exec_lo, s2
	s_delay_alu instid0(SALU_CYCLE_1)
	s_mov_b32 s2, exec_lo
	v_cmpx_gt_i64_e64 s[8:9], v[0:1]
	s_cbranch_execnz .LBB10_9
.LBB10_6:
	s_endpgm
.LBB10_7:
	s_add_u32 s12, s6, s7
	s_mov_b32 s10, s7
	s_mov_b32 s11, s7
	s_addc_u32 s13, s7, s7
	s_delay_alu instid0(SALU_CYCLE_1) | instskip(NEXT) | instid1(SALU_CYCLE_1)
	s_xor_b64 s[12:13], s[12:13], s[10:11]
	v_cvt_f32_u32_e32 v0, s12
	v_cvt_f32_u32_e32 v1, s13
	s_sub_u32 s2, 0, s12
	s_subb_u32 s14, 0, s13
	s_delay_alu instid0(VALU_DEP_1) | instskip(NEXT) | instid1(VALU_DEP_1)
	v_fmamk_f32 v0, v1, 0x4f800000, v0
	v_rcp_f32_e32 v0, v0
	s_waitcnt_depctr 0xfff
	v_mul_f32_e32 v0, 0x5f7ffffc, v0
	s_delay_alu instid0(VALU_DEP_1) | instskip(NEXT) | instid1(VALU_DEP_1)
	v_mul_f32_e32 v1, 0x2f800000, v0
	v_trunc_f32_e32 v1, v1
	s_delay_alu instid0(VALU_DEP_1) | instskip(SKIP_1) | instid1(VALU_DEP_2)
	v_fmamk_f32 v0, v1, 0xcf800000, v0
	v_cvt_u32_f32_e32 v1, v1
	v_cvt_u32_f32_e32 v0, v0
	s_delay_alu instid0(VALU_DEP_2) | instskip(NEXT) | instid1(VALU_DEP_2)
	v_mul_lo_u32 v3, s2, v1
	v_mul_hi_u32 v4, s2, v0
	v_mul_lo_u32 v5, s14, v0
	s_delay_alu instid0(VALU_DEP_2) | instskip(SKIP_1) | instid1(VALU_DEP_2)
	v_add_nc_u32_e32 v3, v4, v3
	v_mul_lo_u32 v4, s2, v0
	v_add_nc_u32_e32 v3, v3, v5
	s_delay_alu instid0(VALU_DEP_2) | instskip(NEXT) | instid1(VALU_DEP_2)
	v_mul_hi_u32 v5, v0, v4
	v_mul_lo_u32 v6, v0, v3
	v_mul_hi_u32 v7, v0, v3
	v_mul_hi_u32 v8, v1, v4
	v_mul_lo_u32 v4, v1, v4
	v_mul_hi_u32 v9, v1, v3
	v_mul_lo_u32 v3, v1, v3
	v_add_co_u32 v5, vcc_lo, v5, v6
	v_add_co_ci_u32_e32 v6, vcc_lo, 0, v7, vcc_lo
	s_delay_alu instid0(VALU_DEP_2) | instskip(NEXT) | instid1(VALU_DEP_2)
	v_add_co_u32 v4, vcc_lo, v5, v4
	v_add_co_ci_u32_e32 v4, vcc_lo, v6, v8, vcc_lo
	v_add_co_ci_u32_e32 v5, vcc_lo, 0, v9, vcc_lo
	s_delay_alu instid0(VALU_DEP_2) | instskip(NEXT) | instid1(VALU_DEP_2)
	v_add_co_u32 v3, vcc_lo, v4, v3
	v_add_co_ci_u32_e32 v4, vcc_lo, 0, v5, vcc_lo
	s_delay_alu instid0(VALU_DEP_2) | instskip(NEXT) | instid1(VALU_DEP_2)
	v_add_co_u32 v0, vcc_lo, v0, v3
	v_add_co_ci_u32_e32 v1, vcc_lo, v1, v4, vcc_lo
	s_delay_alu instid0(VALU_DEP_2) | instskip(SKIP_1) | instid1(VALU_DEP_3)
	v_mul_hi_u32 v3, s2, v0
	v_mul_lo_u32 v5, s14, v0
	v_mul_lo_u32 v4, s2, v1
	s_delay_alu instid0(VALU_DEP_1) | instskip(SKIP_1) | instid1(VALU_DEP_2)
	v_add_nc_u32_e32 v3, v3, v4
	v_mul_lo_u32 v4, s2, v0
	v_add_nc_u32_e32 v3, v3, v5
	s_delay_alu instid0(VALU_DEP_2) | instskip(NEXT) | instid1(VALU_DEP_2)
	v_mul_hi_u32 v5, v0, v4
	v_mul_lo_u32 v6, v0, v3
	v_mul_hi_u32 v7, v0, v3
	v_mul_hi_u32 v8, v1, v4
	v_mul_lo_u32 v4, v1, v4
	v_mul_hi_u32 v9, v1, v3
	v_mul_lo_u32 v3, v1, v3
	v_add_co_u32 v5, vcc_lo, v5, v6
	v_add_co_ci_u32_e32 v6, vcc_lo, 0, v7, vcc_lo
	s_delay_alu instid0(VALU_DEP_2) | instskip(NEXT) | instid1(VALU_DEP_2)
	v_add_co_u32 v4, vcc_lo, v5, v4
	v_add_co_ci_u32_e32 v4, vcc_lo, v6, v8, vcc_lo
	v_add_co_ci_u32_e32 v5, vcc_lo, 0, v9, vcc_lo
	s_delay_alu instid0(VALU_DEP_2) | instskip(NEXT) | instid1(VALU_DEP_2)
	v_add_co_u32 v3, vcc_lo, v4, v3
	v_add_co_ci_u32_e32 v4, vcc_lo, 0, v5, vcc_lo
	s_delay_alu instid0(VALU_DEP_2) | instskip(NEXT) | instid1(VALU_DEP_2)
	v_add_co_u32 v5, vcc_lo, v0, v3
	v_add_co_ci_u32_e32 v7, vcc_lo, v1, v4, vcc_lo
	s_delay_alu instid0(VALU_DEP_2) | instskip(SKIP_1) | instid1(VALU_DEP_3)
	v_mul_hi_u32 v8, v2, v5
	v_mad_u64_u32 v[3:4], null, s5, v5, 0
	v_mad_u64_u32 v[0:1], null, v2, v7, 0
	;; [unrolled: 1-line block ×3, first 2 shown]
	s_delay_alu instid0(VALU_DEP_2) | instskip(NEXT) | instid1(VALU_DEP_3)
	v_add_co_u32 v0, vcc_lo, v8, v0
	v_add_co_ci_u32_e32 v1, vcc_lo, 0, v1, vcc_lo
	s_delay_alu instid0(VALU_DEP_2) | instskip(NEXT) | instid1(VALU_DEP_2)
	v_add_co_u32 v0, vcc_lo, v0, v3
	v_add_co_ci_u32_e32 v0, vcc_lo, v1, v4, vcc_lo
	v_add_co_ci_u32_e32 v1, vcc_lo, 0, v6, vcc_lo
	s_delay_alu instid0(VALU_DEP_2) | instskip(NEXT) | instid1(VALU_DEP_2)
	v_add_co_u32 v3, vcc_lo, v0, v5
	v_add_co_ci_u32_e32 v4, vcc_lo, 0, v1, vcc_lo
	s_delay_alu instid0(VALU_DEP_2) | instskip(SKIP_1) | instid1(VALU_DEP_3)
	v_mul_lo_u32 v5, s13, v3
	v_mad_u64_u32 v[0:1], null, s12, v3, 0
	v_mul_lo_u32 v6, s12, v4
	s_delay_alu instid0(VALU_DEP_2) | instskip(NEXT) | instid1(VALU_DEP_2)
	v_sub_co_u32 v0, vcc_lo, v2, v0
	v_add3_u32 v1, v1, v6, v5
	s_delay_alu instid0(VALU_DEP_1) | instskip(NEXT) | instid1(VALU_DEP_1)
	v_sub_nc_u32_e32 v5, s5, v1
	v_subrev_co_ci_u32_e64 v5, s2, s13, v5, vcc_lo
	v_add_co_u32 v6, s2, v3, 2
	s_delay_alu instid0(VALU_DEP_1) | instskip(SKIP_3) | instid1(VALU_DEP_3)
	v_add_co_ci_u32_e64 v7, s2, 0, v4, s2
	v_sub_co_u32 v8, s2, v0, s12
	v_sub_co_ci_u32_e32 v1, vcc_lo, s5, v1, vcc_lo
	v_subrev_co_ci_u32_e64 v5, s2, 0, v5, s2
	v_cmp_le_u32_e32 vcc_lo, s12, v8
	s_delay_alu instid0(VALU_DEP_3) | instskip(SKIP_1) | instid1(VALU_DEP_4)
	v_cmp_eq_u32_e64 s2, s13, v1
	v_cndmask_b32_e64 v8, 0, -1, vcc_lo
	v_cmp_le_u32_e32 vcc_lo, s13, v5
	v_cndmask_b32_e64 v9, 0, -1, vcc_lo
	v_cmp_le_u32_e32 vcc_lo, s12, v0
	;; [unrolled: 2-line block ×3, first 2 shown]
	v_cndmask_b32_e64 v10, 0, -1, vcc_lo
	v_cmp_eq_u32_e32 vcc_lo, s13, v5
	s_delay_alu instid0(VALU_DEP_2) | instskip(SKIP_3) | instid1(VALU_DEP_3)
	v_cndmask_b32_e64 v0, v10, v0, s2
	v_cndmask_b32_e32 v5, v9, v8, vcc_lo
	v_add_co_u32 v8, vcc_lo, v3, 1
	v_add_co_ci_u32_e32 v9, vcc_lo, 0, v4, vcc_lo
	v_cmp_ne_u32_e32 vcc_lo, 0, v5
	s_delay_alu instid0(VALU_DEP_2) | instskip(NEXT) | instid1(VALU_DEP_4)
	v_cndmask_b32_e32 v1, v9, v7, vcc_lo
	v_cndmask_b32_e32 v5, v8, v6, vcc_lo
	v_cmp_ne_u32_e32 vcc_lo, 0, v0
	s_delay_alu instid0(VALU_DEP_3) | instskip(NEXT) | instid1(VALU_DEP_3)
	v_cndmask_b32_e32 v0, v4, v1, vcc_lo
	v_cndmask_b32_e32 v1, v3, v5, vcc_lo
	s_delay_alu instid0(VALU_DEP_2) | instskip(NEXT) | instid1(VALU_DEP_2)
	v_xor_b32_e32 v3, s11, v0
	v_xor_b32_e32 v1, s10, v1
	s_delay_alu instid0(VALU_DEP_1) | instskip(NEXT) | instid1(VALU_DEP_3)
	v_sub_co_u32 v0, vcc_lo, v1, s10
	v_subrev_co_ci_u32_e32 v1, vcc_lo, s11, v3, vcc_lo
	s_and_not1_saveexec_b32 s2, s4
	s_cbranch_execz .LBB10_5
.LBB10_8:
	v_cvt_f32_u32_e32 v0, s6
	s_sub_i32 s4, 0, s6
	s_delay_alu instid0(VALU_DEP_1) | instskip(SKIP_2) | instid1(VALU_DEP_1)
	v_rcp_iflag_f32_e32 v0, v0
	s_waitcnt_depctr 0xfff
	v_mul_f32_e32 v0, 0x4f7ffffe, v0
	v_cvt_u32_f32_e32 v0, v0
	s_delay_alu instid0(VALU_DEP_1) | instskip(NEXT) | instid1(VALU_DEP_1)
	v_mul_lo_u32 v1, s4, v0
	v_mul_hi_u32 v1, v0, v1
	s_delay_alu instid0(VALU_DEP_1) | instskip(NEXT) | instid1(VALU_DEP_1)
	v_add_nc_u32_e32 v0, v0, v1
	v_mul_hi_u32 v0, v2, v0
	s_delay_alu instid0(VALU_DEP_1) | instskip(SKIP_1) | instid1(VALU_DEP_2)
	v_mul_lo_u32 v1, v0, s6
	v_add_nc_u32_e32 v3, 1, v0
	v_sub_nc_u32_e32 v1, v2, v1
	s_delay_alu instid0(VALU_DEP_1) | instskip(SKIP_1) | instid1(VALU_DEP_2)
	v_subrev_nc_u32_e32 v4, s6, v1
	v_cmp_le_u32_e32 vcc_lo, s6, v1
	v_dual_cndmask_b32 v1, v1, v4 :: v_dual_cndmask_b32 v0, v0, v3
	s_delay_alu instid0(VALU_DEP_1) | instskip(NEXT) | instid1(VALU_DEP_2)
	v_cmp_le_u32_e32 vcc_lo, s6, v1
	v_add_nc_u32_e32 v3, 1, v0
	s_delay_alu instid0(VALU_DEP_1) | instskip(SKIP_1) | instid1(SALU_CYCLE_1)
	v_dual_mov_b32 v1, 0 :: v_dual_cndmask_b32 v0, v0, v3
	s_or_b32 exec_lo, exec_lo, s2
	s_mov_b32 s2, exec_lo
	s_delay_alu instid0(VALU_DEP_1)
	v_cmpx_gt_i64_e64 s[8:9], v[0:1]
	s_cbranch_execz .LBB10_6
.LBB10_9:
	s_ashr_i32 s2, s3, 31
	s_load_b64 s[10:11], s[0:1], 0x10
	v_mul_lo_u32 v7, v1, s6
	v_mul_lo_u32 v8, v0, s7
	v_mad_u64_u32 v[3:4], null, v0, s6, 0
	v_mul_lo_u32 v9, v1, s3
	v_mul_lo_u32 v10, v0, s2
	v_mad_u64_u32 v[5:6], null, v0, s3, 0
	v_lshlrev_b64 v[0:1], 2, v[0:1]
	v_add3_u32 v4, v4, v8, v7
	v_sub_co_u32 v21, vcc_lo, v2, v3
	s_delay_alu instid0(VALU_DEP_4) | instskip(NEXT) | instid1(VALU_DEP_3)
	v_add3_u32 v6, v6, v10, v9
	v_sub_co_ci_u32_e32 v22, vcc_lo, s5, v4, vcc_lo
	s_load_b128 s[4:7], s[0:1], 0x0
	s_delay_alu instid0(VALU_DEP_3) | instskip(NEXT) | instid1(VALU_DEP_3)
	v_dual_mov_b32 v4, 0 :: v_dual_lshlrev_b32 v3, 5, v21
	v_lshlrev_b64 v[5:6], 1, v[5:6]
	s_load_b32 s0, s[0:1], 0x30
	s_delay_alu instid0(VALU_DEP_2) | instskip(SKIP_1) | instid1(VALU_DEP_2)
	v_lshlrev_b64 v[3:4], 1, v[3:4]
	s_waitcnt lgkmcnt(0)
	v_add_co_u32 v5, vcc_lo, s10, v5
	s_delay_alu instid0(VALU_DEP_3) | instskip(NEXT) | instid1(VALU_DEP_2)
	v_add_co_ci_u32_e32 v6, vcc_lo, s11, v6, vcc_lo
	v_add_co_u32 v15, vcc_lo, v5, v3
	s_delay_alu instid0(VALU_DEP_2)
	v_add_co_ci_u32_e32 v16, vcc_lo, v6, v4, vcc_lo
	s_clause 0x3
	global_load_b128 v[3:6], v[15:16], off
	global_load_b128 v[7:10], v[15:16], off offset:16
	global_load_b128 v[11:14], v[15:16], off offset:32
	;; [unrolled: 1-line block ×3, first 2 shown]
	s_and_b32 s5, s5, 0xffff
	s_waitcnt vmcnt(3)
	v_lshrrev_b32_e32 v23, 16, v3
	v_cvt_f32_f16_e64 v19, |v3|
	v_lshrrev_b32_e32 v24, 16, v4
	v_cvt_f32_f16_e64 v25, |v4|
	;; [unrolled: 2-line block ×4, first 2 shown]
	s_waitcnt vmcnt(0)
	v_cvt_f32_f16_e64 v41, |v17|
	v_cvt_f32_f16_e64 v29, |v26|
	v_max3_f32 v19, v19, 0x2edbe6ff, v20
	v_cvt_f32_f16_e64 v20, |v5|
	v_cvt_f32_f16_e64 v30, |v28|
	v_lshrrev_b32_e32 v42, 16, v18
	v_cvt_f32_f16_e32 v3, v3
	v_max3_f32 v19, v19, v25, v27
	v_cvt_f32_f16_e64 v25, |v6|
	v_lshrrev_b32_e32 v27, 16, v7
	v_cvt_f32_f16_e32 v23, v23
	v_cvt_f32_f16_e32 v4, v4
	v_max3_f32 v19, v19, v20, v29
	v_cvt_f32_f16_e64 v20, |v7|
	v_lshrrev_b32_e32 v29, 16, v8
	v_cvt_f32_f16_e64 v31, |v27|
	v_cvt_f32_f16_e32 v24, v24
	v_max3_f32 v19, v19, v25, v30
	v_cvt_f32_f16_e64 v25, |v8|
	v_lshrrev_b32_e32 v30, 16, v9
	v_cvt_f32_f16_e64 v32, |v29|
	;; [unrolled: 5-line block ×10, first 2 shown]
	v_cvt_f32_f16_e32 v9, v9
	v_max3_f32 v19, v19, v20, v39
	v_mul_lo_u32 v39, v21, s9
	v_cvt_f32_f16_e64 v43, |v38|
	v_cvt_f32_f16_e32 v10, v10
	v_cvt_f32_f16_e32 v29, v29
	v_max3_f32 v25, v19, v25, v40
	v_mad_u64_u32 v[19:20], null, v21, s8, 0
	v_mul_lo_u32 v21, v22, s8
	v_cvt_f32_f16_e64 v22, |v18|
	v_cvt_f32_f16_e64 v40, |v42|
	v_max3_f32 v25, v25, v41, v43
	v_cvt_f32_f16_e32 v30, v30
	v_cvt_f32_f16_e32 v11, v11
	;; [unrolled: 1-line block ×4, first 2 shown]
	v_max3_f32 v22, v25, v22, v40
	v_add3_u32 v20, v20, v39, v21
	v_lshlrev_b32_e32 v21, 5, v2
	v_cvt_f32_f16_e32 v13, v13
	v_cvt_f32_f16_e32 v14, v14
	v_mul_f32_e32 v2, 0x3b124925, v22
	v_lshlrev_b64 v[19:20], 2, v[19:20]
	v_mov_b32_e32 v22, 0x43e00000
	v_cvt_f32_f16_e32 v15, v15
	v_cvt_f32_f16_e32 v16, v16
	v_div_scale_f32 v39, null, v2, v2, 1.0
	v_add_co_u32 v19, vcc_lo, s6, v19
	v_add_co_ci_u32_e32 v20, vcc_lo, s7, v20, vcc_lo
	s_delay_alu instid0(VALU_DEP_3) | instskip(NEXT) | instid1(VALU_DEP_2)
	v_rcp_f32_e32 v40, v39
	v_add_co_u32 v0, vcc_lo, v19, v0
	s_delay_alu instid0(VALU_DEP_2)
	v_add_co_ci_u32_e32 v1, vcc_lo, v20, v1, vcc_lo
	v_div_scale_f32 v20, vcc_lo, 1.0, v2, 1.0
	s_mov_b32 s7, -1
	s_mov_b32 s6, s0
	v_cvt_f32_f16_e32 v17, v17
	s_waitcnt_depctr 0xfff
	v_fma_f32 v19, -v39, v40, 1.0
	v_mov_b32_e32 v25, 0xc3e00000
	v_cvt_f32_f16_e32 v18, v18
	s_delay_alu instid0(VALU_DEP_3) | instskip(NEXT) | instid1(VALU_DEP_1)
	v_fmac_f32_e32 v40, v19, v40
	v_mul_f32_e32 v19, v20, v40
	global_store_b32 v[0:1], v2, off
	v_fma_f32 v41, -v39, v19, v20
	s_delay_alu instid0(VALU_DEP_1) | instskip(NEXT) | instid1(VALU_DEP_1)
	v_fmac_f32_e32 v19, v41, v40
	v_fma_f32 v20, -v39, v19, v20
	s_delay_alu instid0(VALU_DEP_1)
	v_div_fmas_f32 v19, v20, v40, v19
	v_cvt_f32_f16_e32 v20, v33
	v_cvt_f32_f16_e32 v33, v34
	;; [unrolled: 1-line block ×4, first 2 shown]
	v_div_fixup_f32 v19, v19, v2, 1.0
	v_cvt_f32_f16_e32 v36, v37
	v_cvt_f32_f16_e32 v37, v38
	;; [unrolled: 1-line block ×3, first 2 shown]
	s_delay_alu instid0(VALU_DEP_4)
	v_mul_f32_e32 v0, v19, v3
	v_mul_f32_e32 v1, v19, v23
	;; [unrolled: 1-line block ×7, first 2 shown]
	;;#ASMSTART
	v_med3_f32 v0, v0, v25, v22
v_med3_f32 v1, v1, v25, v22
v_cvt_pk_fp8_f32 v34, v0, v1
	;;#ASMEND
	v_mul_f32_e32 v4, v19, v5
	v_mul_f32_e32 v5, v19, v26
	v_mul_f32_e32 v6, v19, v6
	;;#ASMSTART
	v_med3_f32 v2, v2, v25, v22
v_med3_f32 v3, v3, v25, v22
v_cvt_pk_fp8_f32 v0, v2, v3
	;;#ASMEND
	;;#ASMSTART
	v_med3_f32 v4, v4, v25, v22
v_med3_f32 v5, v5, v25, v22
v_cvt_pk_fp8_f32 v1, v4, v5
	;;#ASMEND
	;; [unrolled: 5-line block ×3, first 2 shown]
	v_perm_b32 v6, v0, v34, 0x5040100
	v_mul_f32_e32 v7, v19, v7
	v_mul_f32_e32 v24, v19, v27
	;; [unrolled: 1-line block ×7, first 2 shown]
	;;#ASMSTART
	v_med3_f32 v7, v7, v25, v22
v_med3_f32 v24, v24, v25, v22
v_cvt_pk_fp8_f32 v3, v7, v24
	;;#ASMEND
	;;#ASMSTART
	v_med3_f32 v8, v8, v25, v22
v_med3_f32 v26, v26, v25, v22
v_cvt_pk_fp8_f32 v4, v8, v26
	;;#ASMEND
	;; [unrolled: 5-line block ×4, first 2 shown]
	v_perm_b32 v1, v1, v2, 0x1000504
	v_perm_b32 v2, v3, v4, 0x1000504
	;; [unrolled: 1-line block ×4, first 2 shown]
	v_mul_f32_e32 v11, v19, v11
	v_mul_f32_e32 v29, v19, v32
	;; [unrolled: 1-line block ×4, first 2 shown]
	buffer_store_b128 v[0:3], v21, s[4:7], 0 offen
	;;#ASMSTART
	s_nop 0
	;;#ASMEND
	;;#ASMSTART
	v_med3_f32 v11, v11, v25, v22
v_med3_f32 v29, v29, v25, v22
v_cvt_pk_fp8_f32 v0, v11, v29
	;;#ASMEND
	;;#ASMSTART
	v_med3_f32 v12, v12, v25, v22
v_med3_f32 v20, v20, v25, v22
v_cvt_pk_fp8_f32 v8, v12, v20
	;;#ASMEND
	v_perm_b32 v0, v8, v0, 0x5040100
	v_mul_f32_e32 v13, v19, v13
	v_mul_f32_e32 v30, v19, v33
	;; [unrolled: 1-line block ×11, first 2 shown]
	;;#ASMSTART
	v_med3_f32 v13, v13, v25, v22
v_med3_f32 v30, v30, v25, v22
v_cvt_pk_fp8_f32 v1, v13, v30
	;;#ASMEND
	;;#ASMSTART
	v_med3_f32 v14, v14, v25, v22
v_med3_f32 v31, v31, v25, v22
v_cvt_pk_fp8_f32 v2, v14, v31
	;;#ASMEND
	;;#ASMSTART
	v_med3_f32 v15, v15, v25, v22
v_med3_f32 v32, v32, v25, v22
v_cvt_pk_fp8_f32 v3, v15, v32
	;;#ASMEND
	;;#ASMSTART
	v_med3_f32 v16, v16, v25, v22
v_med3_f32 v33, v33, v25, v22
v_cvt_pk_fp8_f32 v9, v16, v33
	;;#ASMEND
	;;#ASMSTART
	v_med3_f32 v4, v4, v25, v22
v_med3_f32 v5, v5, v25, v22
v_cvt_pk_fp8_f32 v10, v4, v5
	;;#ASMEND
	;;#ASMSTART
	v_med3_f32 v6, v6, v25, v22
v_med3_f32 v7, v7, v25, v22
v_cvt_pk_fp8_f32 v4, v6, v7
	;;#ASMEND
	v_perm_b32 v1, v1, v2, 0x1000504
	v_perm_b32 v2, v3, v9, 0x1000504
	;; [unrolled: 1-line block ×4, first 2 shown]
	buffer_store_b128 v[0:3], v21, s[4:7], 16 offen
	;;#ASMSTART
	s_nop 0
	;;#ASMEND
	s_nop 0
	s_sendmsg sendmsg(MSG_DEALLOC_VGPRS)
	s_endpgm
	.section	.rodata,"a",@progbits
	.p2align	6, 0x0
	.amdhsa_kernel _ZN5aiter37dynamic_per_group_scaled_quant_kernelIDF16_DB8_Li32ELi32ELb1ELi64ELb0EEEvPT0_PfPKT_PKfliilPKii
		.amdhsa_group_segment_fixed_size 0
		.amdhsa_private_segment_fixed_size 0
		.amdhsa_kernarg_size 68
		.amdhsa_user_sgpr_count 15
		.amdhsa_user_sgpr_dispatch_ptr 0
		.amdhsa_user_sgpr_queue_ptr 0
		.amdhsa_user_sgpr_kernarg_segment_ptr 1
		.amdhsa_user_sgpr_dispatch_id 0
		.amdhsa_user_sgpr_private_segment_size 0
		.amdhsa_wavefront_size32 1
		.amdhsa_uses_dynamic_stack 0
		.amdhsa_enable_private_segment 0
		.amdhsa_system_sgpr_workgroup_id_x 1
		.amdhsa_system_sgpr_workgroup_id_y 0
		.amdhsa_system_sgpr_workgroup_id_z 0
		.amdhsa_system_sgpr_workgroup_info 0
		.amdhsa_system_vgpr_workitem_id 0
		.amdhsa_next_free_vgpr 44
		.amdhsa_next_free_sgpr 16
		.amdhsa_reserve_vcc 1
		.amdhsa_float_round_mode_32 0
		.amdhsa_float_round_mode_16_64 0
		.amdhsa_float_denorm_mode_32 3
		.amdhsa_float_denorm_mode_16_64 3
		.amdhsa_dx10_clamp 1
		.amdhsa_ieee_mode 1
		.amdhsa_fp16_overflow 0
		.amdhsa_workgroup_processor_mode 1
		.amdhsa_memory_ordered 1
		.amdhsa_forward_progress 0
		.amdhsa_shared_vgpr_count 0
		.amdhsa_exception_fp_ieee_invalid_op 0
		.amdhsa_exception_fp_denorm_src 0
		.amdhsa_exception_fp_ieee_div_zero 0
		.amdhsa_exception_fp_ieee_overflow 0
		.amdhsa_exception_fp_ieee_underflow 0
		.amdhsa_exception_fp_ieee_inexact 0
		.amdhsa_exception_int_div_zero 0
	.end_amdhsa_kernel
	.section	.text._ZN5aiter37dynamic_per_group_scaled_quant_kernelIDF16_DB8_Li32ELi32ELb1ELi64ELb0EEEvPT0_PfPKT_PKfliilPKii,"axG",@progbits,_ZN5aiter37dynamic_per_group_scaled_quant_kernelIDF16_DB8_Li32ELi32ELb1ELi64ELb0EEEvPT0_PfPKT_PKfliilPKii,comdat
.Lfunc_end10:
	.size	_ZN5aiter37dynamic_per_group_scaled_quant_kernelIDF16_DB8_Li32ELi32ELb1ELi64ELb0EEEvPT0_PfPKT_PKfliilPKii, .Lfunc_end10-_ZN5aiter37dynamic_per_group_scaled_quant_kernelIDF16_DB8_Li32ELi32ELb1ELi64ELb0EEEvPT0_PfPKT_PKfliilPKii
                                        ; -- End function
	.section	.AMDGPU.csdata,"",@progbits
; Kernel info:
; codeLenInByte = 3440
; NumSgprs: 18
; NumVgprs: 44
; ScratchSize: 0
; MemoryBound: 0
; FloatMode: 240
; IeeeMode: 1
; LDSByteSize: 0 bytes/workgroup (compile time only)
; SGPRBlocks: 2
; VGPRBlocks: 5
; NumSGPRsForWavesPerEU: 18
; NumVGPRsForWavesPerEU: 44
; Occupancy: 16
; WaveLimiterHint : 0
; COMPUTE_PGM_RSRC2:SCRATCH_EN: 0
; COMPUTE_PGM_RSRC2:USER_SGPR: 15
; COMPUTE_PGM_RSRC2:TRAP_HANDLER: 0
; COMPUTE_PGM_RSRC2:TGID_X_EN: 1
; COMPUTE_PGM_RSRC2:TGID_Y_EN: 0
; COMPUTE_PGM_RSRC2:TGID_Z_EN: 0
; COMPUTE_PGM_RSRC2:TIDIG_COMP_CNT: 0
	.section	.text._ZN5aiter37dynamic_per_group_scaled_quant_kernelItDB8_Li32ELi32ELb1ELi64ELb0EEEvPT0_PfPKT_PKfliilPKii,"axG",@progbits,_ZN5aiter37dynamic_per_group_scaled_quant_kernelItDB8_Li32ELi32ELb1ELi64ELb0EEEvPT0_PfPKT_PKfliilPKii,comdat
	.protected	_ZN5aiter37dynamic_per_group_scaled_quant_kernelItDB8_Li32ELi32ELb1ELi64ELb0EEEvPT0_PfPKT_PKfliilPKii ; -- Begin function _ZN5aiter37dynamic_per_group_scaled_quant_kernelItDB8_Li32ELi32ELb1ELi64ELb0EEEvPT0_PfPKT_PKfliilPKii
	.globl	_ZN5aiter37dynamic_per_group_scaled_quant_kernelItDB8_Li32ELi32ELb1ELi64ELb0EEEvPT0_PfPKT_PKfliilPKii
	.p2align	8
	.type	_ZN5aiter37dynamic_per_group_scaled_quant_kernelItDB8_Li32ELi32ELb1ELi64ELb0EEEvPT0_PfPKT_PKfliilPKii,@function
_ZN5aiter37dynamic_per_group_scaled_quant_kernelItDB8_Li32ELi32ELb1ELi64ELb0EEEvPT0_PfPKT_PKfliilPKii: ; @_ZN5aiter37dynamic_per_group_scaled_quant_kernelItDB8_Li32ELi32ELb1ELi64ELb0EEEvPT0_PfPKT_PKfliilPKii
; %bb.0:
	s_load_b64 s[2:3], s[0:1], 0x38
	s_mov_b32 s10, s15
	s_waitcnt lgkmcnt(0)
	s_cmp_eq_u64 s[2:3], 0
	s_cbranch_scc1 .LBB11_2
; %bb.1:
	s_load_b32 s4, s[0:1], 0x40
	s_load_b32 s2, s[2:3], 0x0
	s_waitcnt lgkmcnt(0)
	s_mul_hi_i32 s9, s2, s4
	s_mul_i32 s8, s2, s4
	s_branch .LBB11_3
.LBB11_2:
	s_load_b64 s[8:9], s[0:1], 0x20
.LBB11_3:
	s_load_b64 s[2:3], s[0:1], 0x28
	s_mov_b32 s11, 0
	s_waitcnt lgkmcnt(0)
	s_ashr_i32 s4, s2, 31
	s_delay_alu instid0(SALU_CYCLE_1) | instskip(NEXT) | instid1(SALU_CYCLE_1)
	s_lshr_b32 s4, s4, 27
	s_add_i32 s2, s2, s4
	s_lshl_b64 s[4:5], s[10:11], 6
	s_ashr_i32 s6, s2, 5
	v_or_b32_e32 v2, s4, v0
	s_ashr_i32 s7, s6, 31
                                        ; implicit-def: $vgpr0_vgpr1
	s_delay_alu instid0(SALU_CYCLE_1) | instskip(SKIP_1) | instid1(SALU_CYCLE_1)
	s_or_b64 s[12:13], s[4:5], s[6:7]
	s_mov_b32 s12, s11
	s_cmp_lg_u64 s[12:13], 0
	s_cselect_b32 s2, -1, 0
	s_delay_alu instid0(SALU_CYCLE_1) | instskip(NEXT) | instid1(SALU_CYCLE_1)
	s_and_saveexec_b32 s4, s2
	s_xor_b32 s4, exec_lo, s4
	s_cbranch_execnz .LBB11_7
; %bb.4:
	s_and_not1_saveexec_b32 s2, s4
	s_cbranch_execnz .LBB11_8
.LBB11_5:
	s_or_b32 exec_lo, exec_lo, s2
	s_delay_alu instid0(SALU_CYCLE_1)
	s_mov_b32 s2, exec_lo
	v_cmpx_gt_i64_e64 s[8:9], v[0:1]
	s_cbranch_execnz .LBB11_9
.LBB11_6:
	s_endpgm
.LBB11_7:
	s_add_u32 s12, s6, s7
	s_mov_b32 s10, s7
	s_mov_b32 s11, s7
	s_addc_u32 s13, s7, s7
	s_delay_alu instid0(SALU_CYCLE_1) | instskip(NEXT) | instid1(SALU_CYCLE_1)
	s_xor_b64 s[12:13], s[12:13], s[10:11]
	v_cvt_f32_u32_e32 v0, s12
	v_cvt_f32_u32_e32 v1, s13
	s_sub_u32 s2, 0, s12
	s_subb_u32 s14, 0, s13
	s_delay_alu instid0(VALU_DEP_1) | instskip(NEXT) | instid1(VALU_DEP_1)
	v_fmamk_f32 v0, v1, 0x4f800000, v0
	v_rcp_f32_e32 v0, v0
	s_waitcnt_depctr 0xfff
	v_mul_f32_e32 v0, 0x5f7ffffc, v0
	s_delay_alu instid0(VALU_DEP_1) | instskip(NEXT) | instid1(VALU_DEP_1)
	v_mul_f32_e32 v1, 0x2f800000, v0
	v_trunc_f32_e32 v1, v1
	s_delay_alu instid0(VALU_DEP_1) | instskip(SKIP_1) | instid1(VALU_DEP_2)
	v_fmamk_f32 v0, v1, 0xcf800000, v0
	v_cvt_u32_f32_e32 v1, v1
	v_cvt_u32_f32_e32 v0, v0
	s_delay_alu instid0(VALU_DEP_2) | instskip(NEXT) | instid1(VALU_DEP_2)
	v_mul_lo_u32 v3, s2, v1
	v_mul_hi_u32 v4, s2, v0
	v_mul_lo_u32 v5, s14, v0
	s_delay_alu instid0(VALU_DEP_2) | instskip(SKIP_1) | instid1(VALU_DEP_2)
	v_add_nc_u32_e32 v3, v4, v3
	v_mul_lo_u32 v4, s2, v0
	v_add_nc_u32_e32 v3, v3, v5
	s_delay_alu instid0(VALU_DEP_2) | instskip(NEXT) | instid1(VALU_DEP_2)
	v_mul_hi_u32 v5, v0, v4
	v_mul_lo_u32 v6, v0, v3
	v_mul_hi_u32 v7, v0, v3
	v_mul_hi_u32 v8, v1, v4
	v_mul_lo_u32 v4, v1, v4
	v_mul_hi_u32 v9, v1, v3
	v_mul_lo_u32 v3, v1, v3
	v_add_co_u32 v5, vcc_lo, v5, v6
	v_add_co_ci_u32_e32 v6, vcc_lo, 0, v7, vcc_lo
	s_delay_alu instid0(VALU_DEP_2) | instskip(NEXT) | instid1(VALU_DEP_2)
	v_add_co_u32 v4, vcc_lo, v5, v4
	v_add_co_ci_u32_e32 v4, vcc_lo, v6, v8, vcc_lo
	v_add_co_ci_u32_e32 v5, vcc_lo, 0, v9, vcc_lo
	s_delay_alu instid0(VALU_DEP_2) | instskip(NEXT) | instid1(VALU_DEP_2)
	v_add_co_u32 v3, vcc_lo, v4, v3
	v_add_co_ci_u32_e32 v4, vcc_lo, 0, v5, vcc_lo
	s_delay_alu instid0(VALU_DEP_2) | instskip(NEXT) | instid1(VALU_DEP_2)
	v_add_co_u32 v0, vcc_lo, v0, v3
	v_add_co_ci_u32_e32 v1, vcc_lo, v1, v4, vcc_lo
	s_delay_alu instid0(VALU_DEP_2) | instskip(SKIP_1) | instid1(VALU_DEP_3)
	v_mul_hi_u32 v3, s2, v0
	v_mul_lo_u32 v5, s14, v0
	v_mul_lo_u32 v4, s2, v1
	s_delay_alu instid0(VALU_DEP_1) | instskip(SKIP_1) | instid1(VALU_DEP_2)
	v_add_nc_u32_e32 v3, v3, v4
	v_mul_lo_u32 v4, s2, v0
	v_add_nc_u32_e32 v3, v3, v5
	s_delay_alu instid0(VALU_DEP_2) | instskip(NEXT) | instid1(VALU_DEP_2)
	v_mul_hi_u32 v5, v0, v4
	v_mul_lo_u32 v6, v0, v3
	v_mul_hi_u32 v7, v0, v3
	v_mul_hi_u32 v8, v1, v4
	v_mul_lo_u32 v4, v1, v4
	v_mul_hi_u32 v9, v1, v3
	v_mul_lo_u32 v3, v1, v3
	v_add_co_u32 v5, vcc_lo, v5, v6
	v_add_co_ci_u32_e32 v6, vcc_lo, 0, v7, vcc_lo
	s_delay_alu instid0(VALU_DEP_2) | instskip(NEXT) | instid1(VALU_DEP_2)
	v_add_co_u32 v4, vcc_lo, v5, v4
	v_add_co_ci_u32_e32 v4, vcc_lo, v6, v8, vcc_lo
	v_add_co_ci_u32_e32 v5, vcc_lo, 0, v9, vcc_lo
	s_delay_alu instid0(VALU_DEP_2) | instskip(NEXT) | instid1(VALU_DEP_2)
	v_add_co_u32 v3, vcc_lo, v4, v3
	v_add_co_ci_u32_e32 v4, vcc_lo, 0, v5, vcc_lo
	s_delay_alu instid0(VALU_DEP_2) | instskip(NEXT) | instid1(VALU_DEP_2)
	v_add_co_u32 v5, vcc_lo, v0, v3
	v_add_co_ci_u32_e32 v7, vcc_lo, v1, v4, vcc_lo
	s_delay_alu instid0(VALU_DEP_2) | instskip(SKIP_1) | instid1(VALU_DEP_3)
	v_mul_hi_u32 v8, v2, v5
	v_mad_u64_u32 v[3:4], null, s5, v5, 0
	v_mad_u64_u32 v[0:1], null, v2, v7, 0
	;; [unrolled: 1-line block ×3, first 2 shown]
	s_delay_alu instid0(VALU_DEP_2) | instskip(NEXT) | instid1(VALU_DEP_3)
	v_add_co_u32 v0, vcc_lo, v8, v0
	v_add_co_ci_u32_e32 v1, vcc_lo, 0, v1, vcc_lo
	s_delay_alu instid0(VALU_DEP_2) | instskip(NEXT) | instid1(VALU_DEP_2)
	v_add_co_u32 v0, vcc_lo, v0, v3
	v_add_co_ci_u32_e32 v0, vcc_lo, v1, v4, vcc_lo
	v_add_co_ci_u32_e32 v1, vcc_lo, 0, v6, vcc_lo
	s_delay_alu instid0(VALU_DEP_2) | instskip(NEXT) | instid1(VALU_DEP_2)
	v_add_co_u32 v3, vcc_lo, v0, v5
	v_add_co_ci_u32_e32 v4, vcc_lo, 0, v1, vcc_lo
	s_delay_alu instid0(VALU_DEP_2) | instskip(SKIP_1) | instid1(VALU_DEP_3)
	v_mul_lo_u32 v5, s13, v3
	v_mad_u64_u32 v[0:1], null, s12, v3, 0
	v_mul_lo_u32 v6, s12, v4
	s_delay_alu instid0(VALU_DEP_2) | instskip(NEXT) | instid1(VALU_DEP_2)
	v_sub_co_u32 v0, vcc_lo, v2, v0
	v_add3_u32 v1, v1, v6, v5
	s_delay_alu instid0(VALU_DEP_1) | instskip(NEXT) | instid1(VALU_DEP_1)
	v_sub_nc_u32_e32 v5, s5, v1
	v_subrev_co_ci_u32_e64 v5, s2, s13, v5, vcc_lo
	v_add_co_u32 v6, s2, v3, 2
	s_delay_alu instid0(VALU_DEP_1) | instskip(SKIP_3) | instid1(VALU_DEP_3)
	v_add_co_ci_u32_e64 v7, s2, 0, v4, s2
	v_sub_co_u32 v8, s2, v0, s12
	v_sub_co_ci_u32_e32 v1, vcc_lo, s5, v1, vcc_lo
	v_subrev_co_ci_u32_e64 v5, s2, 0, v5, s2
	v_cmp_le_u32_e32 vcc_lo, s12, v8
	s_delay_alu instid0(VALU_DEP_3) | instskip(SKIP_1) | instid1(VALU_DEP_4)
	v_cmp_eq_u32_e64 s2, s13, v1
	v_cndmask_b32_e64 v8, 0, -1, vcc_lo
	v_cmp_le_u32_e32 vcc_lo, s13, v5
	v_cndmask_b32_e64 v9, 0, -1, vcc_lo
	v_cmp_le_u32_e32 vcc_lo, s12, v0
	;; [unrolled: 2-line block ×3, first 2 shown]
	v_cndmask_b32_e64 v10, 0, -1, vcc_lo
	v_cmp_eq_u32_e32 vcc_lo, s13, v5
	s_delay_alu instid0(VALU_DEP_2) | instskip(SKIP_3) | instid1(VALU_DEP_3)
	v_cndmask_b32_e64 v0, v10, v0, s2
	v_cndmask_b32_e32 v5, v9, v8, vcc_lo
	v_add_co_u32 v8, vcc_lo, v3, 1
	v_add_co_ci_u32_e32 v9, vcc_lo, 0, v4, vcc_lo
	v_cmp_ne_u32_e32 vcc_lo, 0, v5
	s_delay_alu instid0(VALU_DEP_2) | instskip(NEXT) | instid1(VALU_DEP_4)
	v_cndmask_b32_e32 v1, v9, v7, vcc_lo
	v_cndmask_b32_e32 v5, v8, v6, vcc_lo
	v_cmp_ne_u32_e32 vcc_lo, 0, v0
	s_delay_alu instid0(VALU_DEP_3) | instskip(NEXT) | instid1(VALU_DEP_3)
	v_cndmask_b32_e32 v0, v4, v1, vcc_lo
	v_cndmask_b32_e32 v1, v3, v5, vcc_lo
	s_delay_alu instid0(VALU_DEP_2) | instskip(NEXT) | instid1(VALU_DEP_2)
	v_xor_b32_e32 v3, s11, v0
	v_xor_b32_e32 v1, s10, v1
	s_delay_alu instid0(VALU_DEP_1) | instskip(NEXT) | instid1(VALU_DEP_3)
	v_sub_co_u32 v0, vcc_lo, v1, s10
	v_subrev_co_ci_u32_e32 v1, vcc_lo, s11, v3, vcc_lo
	s_and_not1_saveexec_b32 s2, s4
	s_cbranch_execz .LBB11_5
.LBB11_8:
	v_cvt_f32_u32_e32 v0, s6
	s_sub_i32 s4, 0, s6
	s_delay_alu instid0(VALU_DEP_1) | instskip(SKIP_2) | instid1(VALU_DEP_1)
	v_rcp_iflag_f32_e32 v0, v0
	s_waitcnt_depctr 0xfff
	v_mul_f32_e32 v0, 0x4f7ffffe, v0
	v_cvt_u32_f32_e32 v0, v0
	s_delay_alu instid0(VALU_DEP_1) | instskip(NEXT) | instid1(VALU_DEP_1)
	v_mul_lo_u32 v1, s4, v0
	v_mul_hi_u32 v1, v0, v1
	s_delay_alu instid0(VALU_DEP_1) | instskip(NEXT) | instid1(VALU_DEP_1)
	v_add_nc_u32_e32 v0, v0, v1
	v_mul_hi_u32 v0, v2, v0
	s_delay_alu instid0(VALU_DEP_1) | instskip(SKIP_1) | instid1(VALU_DEP_2)
	v_mul_lo_u32 v1, v0, s6
	v_add_nc_u32_e32 v3, 1, v0
	v_sub_nc_u32_e32 v1, v2, v1
	s_delay_alu instid0(VALU_DEP_1) | instskip(SKIP_1) | instid1(VALU_DEP_2)
	v_subrev_nc_u32_e32 v4, s6, v1
	v_cmp_le_u32_e32 vcc_lo, s6, v1
	v_dual_cndmask_b32 v1, v1, v4 :: v_dual_cndmask_b32 v0, v0, v3
	s_delay_alu instid0(VALU_DEP_1) | instskip(NEXT) | instid1(VALU_DEP_2)
	v_cmp_le_u32_e32 vcc_lo, s6, v1
	v_add_nc_u32_e32 v3, 1, v0
	s_delay_alu instid0(VALU_DEP_1) | instskip(SKIP_1) | instid1(SALU_CYCLE_1)
	v_dual_mov_b32 v1, 0 :: v_dual_cndmask_b32 v0, v0, v3
	s_or_b32 exec_lo, exec_lo, s2
	s_mov_b32 s2, exec_lo
	s_delay_alu instid0(VALU_DEP_1)
	v_cmpx_gt_i64_e64 s[8:9], v[0:1]
	s_cbranch_execz .LBB11_6
.LBB11_9:
	s_ashr_i32 s2, s3, 31
	s_load_b64 s[10:11], s[0:1], 0x10
	v_mul_lo_u32 v7, v1, s6
	v_mul_lo_u32 v8, v0, s7
	v_mad_u64_u32 v[3:4], null, v0, s6, 0
	v_mul_lo_u32 v9, v1, s3
	v_mul_lo_u32 v10, v0, s2
	v_mad_u64_u32 v[5:6], null, v0, s3, 0
	v_lshlrev_b64 v[0:1], 2, v[0:1]
	v_add3_u32 v4, v4, v8, v7
	v_sub_co_u32 v19, vcc_lo, v2, v3
	s_delay_alu instid0(VALU_DEP_4) | instskip(NEXT) | instid1(VALU_DEP_3)
	v_add3_u32 v6, v6, v10, v9
	v_sub_co_ci_u32_e32 v20, vcc_lo, s5, v4, vcc_lo
	s_load_b128 s[4:7], s[0:1], 0x0
	s_delay_alu instid0(VALU_DEP_3) | instskip(NEXT) | instid1(VALU_DEP_3)
	v_dual_mov_b32 v4, 0 :: v_dual_lshlrev_b32 v3, 5, v19
	v_lshlrev_b64 v[5:6], 1, v[5:6]
	v_mul_lo_u32 v42, v19, s9
	s_load_b32 s1, s[0:1], 0x30
	s_delay_alu instid0(VALU_DEP_3) | instskip(SKIP_1) | instid1(VALU_DEP_3)
	v_lshlrev_b64 v[3:4], 1, v[3:4]
	s_waitcnt lgkmcnt(0)
	v_add_co_u32 v5, vcc_lo, s10, v5
	v_add_co_ci_u32_e32 v6, vcc_lo, s11, v6, vcc_lo
	s_delay_alu instid0(VALU_DEP_2) | instskip(NEXT) | instid1(VALU_DEP_2)
	v_add_co_u32 v15, vcc_lo, v5, v3
	v_add_co_ci_u32_e32 v16, vcc_lo, v6, v4, vcc_lo
	s_clause 0x3
	global_load_b128 v[3:6], v[15:16], off
	global_load_b128 v[7:10], v[15:16], off offset:16
	global_load_b128 v[11:14], v[15:16], off offset:32
	;; [unrolled: 1-line block ×3, first 2 shown]
	s_and_b32 s5, s5, 0xffff
	s_waitcnt vmcnt(3)
	v_and_b32_e32 v21, 0xffff, v3
	v_lshrrev_b32_e32 v3, 16, v3
	v_and_b32_e32 v22, 0xffff, v4
	v_lshrrev_b32_e32 v4, 16, v4
	v_and_b32_e32 v25, 0xffff, v6
	v_cvt_f32_u32_e32 v21, v21
	v_cvt_f32_u32_e32 v23, v3
	;; [unrolled: 1-line block ×3, first 2 shown]
	v_and_b32_e32 v3, 0xffff, v5
	v_lshrrev_b32_e32 v5, 16, v5
	v_cvt_f32_u32_e32 v24, v4
	v_max3_f32 v4, v21, 0x2edbe6ff, v23
	v_lshrrev_b32_e32 v6, 16, v6
	v_cvt_f32_u32_e32 v26, v3
	v_cvt_f32_u32_e32 v5, v5
	;; [unrolled: 1-line block ×3, first 2 shown]
	v_max3_f32 v3, v4, v22, v24
	s_waitcnt vmcnt(2)
	v_and_b32_e32 v4, 0xffff, v7
	v_lshrrev_b32_e32 v7, 16, v7
	v_cvt_f32_u32_e32 v6, v6
	v_and_b32_e32 v27, 0xffff, v8
	v_max3_f32 v3, v3, v26, v5
	v_lshrrev_b32_e32 v8, 16, v8
	v_cvt_f32_u32_e32 v28, v4
	v_cvt_f32_u32_e32 v7, v7
	v_and_b32_e32 v4, 0xffff, v9
	v_max3_f32 v3, v3, v25, v6
	v_lshrrev_b32_e32 v9, 16, v9
	v_cvt_f32_u32_e32 v27, v27
	;; [unrolled: 5-line block ×3, first 2 shown]
	v_cvt_f32_u32_e32 v9, v9
	s_waitcnt vmcnt(1)
	v_and_b32_e32 v4, 0xffff, v11
	v_max3_f32 v3, v3, v27, v8
	v_lshrrev_b32_e32 v11, 16, v11
	v_cvt_f32_u32_e32 v29, v29
	v_cvt_f32_u32_e32 v10, v10
	v_and_b32_e32 v31, 0xffff, v12
	v_max3_f32 v3, v3, v30, v9
	v_lshrrev_b32_e32 v12, 16, v12
	v_cvt_f32_u32_e32 v32, v4
	v_cvt_f32_u32_e32 v11, v11
	;; [unrolled: 5-line block ×4, first 2 shown]
	s_waitcnt vmcnt(0)
	v_and_b32_e32 v4, 0xffff, v15
	v_max3_f32 v3, v3, v31, v12
	v_lshrrev_b32_e32 v15, 16, v15
	v_cvt_f32_u32_e32 v33, v33
	v_cvt_f32_u32_e32 v14, v14
	v_and_b32_e32 v35, 0xffff, v16
	v_max3_f32 v3, v3, v34, v13
	v_lshrrev_b32_e32 v16, 16, v16
	v_cvt_f32_u32_e32 v36, v4
	v_cvt_f32_u32_e32 v15, v15
	;; [unrolled: 5-line block ×4, first 2 shown]
	v_cvt_f32_u32_e32 v37, v37
	v_max3_f32 v3, v3, v35, v16
	v_cvt_f32_u32_e32 v18, v18
	s_delay_alu instid0(VALU_DEP_2) | instskip(NEXT) | instid1(VALU_DEP_1)
	v_max3_f32 v3, v3, v38, v17
	v_max3_f32 v3, v3, v37, v18
	s_delay_alu instid0(VALU_DEP_1) | instskip(NEXT) | instid1(VALU_DEP_1)
	v_mul_f32_e32 v39, 0x3b124925, v3
	v_div_scale_f32 v40, null, v39, v39, 1.0
	v_div_scale_f32 v43, vcc_lo, 1.0, v39, 1.0
	s_delay_alu instid0(VALU_DEP_2) | instskip(SKIP_2) | instid1(VALU_DEP_1)
	v_rcp_f32_e32 v41, v40
	s_waitcnt_depctr 0xfff
	v_fma_f32 v3, -v40, v41, 1.0
	v_fmac_f32_e32 v41, v3, v41
	v_mad_u64_u32 v[3:4], null, v19, s8, 0
	v_mul_lo_u32 v19, v20, s8
	s_delay_alu instid0(VALU_DEP_3) | instskip(NEXT) | instid1(VALU_DEP_1)
	v_mul_f32_e32 v20, v43, v41
	v_fma_f32 v44, -v40, v20, v43
	s_delay_alu instid0(VALU_DEP_3) | instskip(SKIP_1) | instid1(VALU_DEP_3)
	v_add3_u32 v4, v4, v42, v19
	v_dual_mov_b32 v42, 0xc3e00000 :: v_dual_lshlrev_b32 v19, 5, v2
	v_fmac_f32_e32 v20, v44, v41
	s_delay_alu instid0(VALU_DEP_3) | instskip(NEXT) | instid1(VALU_DEP_2)
	v_lshlrev_b64 v[3:4], 2, v[3:4]
	v_fma_f32 v2, -v40, v20, v43
	s_delay_alu instid0(VALU_DEP_2) | instskip(NEXT) | instid1(VALU_DEP_1)
	v_add_co_u32 v3, s0, s6, v3
	v_add_co_ci_u32_e64 v4, s0, s7, v4, s0
	s_delay_alu instid0(VALU_DEP_3) | instskip(NEXT) | instid1(VALU_DEP_3)
	v_div_fmas_f32 v2, v2, v41, v20
	v_add_co_u32 v0, vcc_lo, v3, v0
	s_delay_alu instid0(VALU_DEP_3) | instskip(NEXT) | instid1(VALU_DEP_3)
	v_add_co_ci_u32_e32 v1, vcc_lo, v4, v1, vcc_lo
	v_div_fixup_f32 v4, v2, v39, 1.0
	v_mov_b32_e32 v44, 0x43e00000
	s_mov_b32 s7, -1
	s_mov_b32 s6, s1
	s_delay_alu instid0(VALU_DEP_2)
	v_mul_f32_e32 v3, v4, v24
	v_mul_f32_e32 v24, v4, v30
	global_store_b32 v[0:1], v39, off
	v_mul_f32_e32 v1, v4, v23
	v_mul_f32_e32 v0, v4, v21
	;; [unrolled: 1-line block ×5, first 2 shown]
	;;#ASMSTART
	v_med3_f32 v0, v0, v42, v44
v_med3_f32 v1, v1, v42, v44
v_cvt_pk_fp8_f32 v32, v0, v1
	;;#ASMEND
	v_mul_f32_e32 v5, v4, v5
	v_mul_f32_e32 v21, v4, v25
	;; [unrolled: 1-line block ×5, first 2 shown]
	;;#ASMSTART
	v_med3_f32 v2, v2, v42, v44
v_med3_f32 v3, v3, v42, v44
v_cvt_pk_fp8_f32 v0, v2, v3
	;;#ASMEND
	;;#ASMSTART
	v_med3_f32 v20, v20, v42, v44
v_med3_f32 v5, v5, v42, v44
v_cvt_pk_fp8_f32 v1, v20, v5
	;;#ASMEND
	;; [unrolled: 5-line block ×4, first 2 shown]
	v_perm_b32 v7, v0, v32, 0x5040100
	v_mul_f32_e32 v23, v4, v27
	v_mul_f32_e32 v8, v4, v8
	;; [unrolled: 1-line block ×5, first 2 shown]
	;;#ASMSTART
	v_med3_f32 v23, v23, v42, v44
v_med3_f32 v8, v8, v42, v44
v_cvt_pk_fp8_f32 v5, v23, v8
	;;#ASMEND
	;;#ASMSTART
	v_med3_f32 v24, v24, v42, v44
v_med3_f32 v9, v9, v42, v44
v_cvt_pk_fp8_f32 v6, v24, v9
	;;#ASMEND
	;; [unrolled: 5-line block ×3, first 2 shown]
	v_perm_b32 v1, v1, v2, 0x1000504
	v_perm_b32 v2, v3, v5, 0x1000504
	;; [unrolled: 1-line block ×4, first 2 shown]
	v_mul_f32_e32 v11, v4, v11
	v_mul_f32_e32 v27, v4, v31
	;; [unrolled: 1-line block ×4, first 2 shown]
	buffer_store_b128 v[0:3], v19, s[4:7], 0 offen
	;;#ASMSTART
	s_nop 0
	;;#ASMEND
	;;#ASMSTART
	v_med3_f32 v26, v26, v42, v44
v_med3_f32 v11, v11, v42, v44
v_cvt_pk_fp8_f32 v0, v26, v11
	;;#ASMEND
	;;#ASMSTART
	v_med3_f32 v27, v27, v42, v44
v_med3_f32 v12, v12, v42, v44
v_cvt_pk_fp8_f32 v8, v27, v12
	;;#ASMEND
	v_perm_b32 v0, v8, v0, 0x5040100
	v_mul_f32_e32 v13, v4, v13
	v_mul_f32_e32 v29, v4, v33
	;; [unrolled: 1-line block ×11, first 2 shown]
	;;#ASMSTART
	v_med3_f32 v28, v28, v42, v44
v_med3_f32 v13, v13, v42, v44
v_cvt_pk_fp8_f32 v1, v28, v13
	;;#ASMEND
	;;#ASMSTART
	v_med3_f32 v29, v29, v42, v44
v_med3_f32 v14, v14, v42, v44
v_cvt_pk_fp8_f32 v2, v29, v14
	;;#ASMEND
	;;#ASMSTART
	v_med3_f32 v30, v30, v42, v44
v_med3_f32 v15, v15, v42, v44
v_cvt_pk_fp8_f32 v3, v30, v15
	;;#ASMEND
	;;#ASMSTART
	v_med3_f32 v31, v31, v42, v44
v_med3_f32 v16, v16, v42, v44
v_cvt_pk_fp8_f32 v9, v31, v16
	;;#ASMEND
	;;#ASMSTART
	v_med3_f32 v5, v5, v42, v44
v_med3_f32 v6, v6, v42, v44
v_cvt_pk_fp8_f32 v10, v5, v6
	;;#ASMEND
	;;#ASMSTART
	v_med3_f32 v7, v7, v42, v44
v_med3_f32 v4, v4, v42, v44
v_cvt_pk_fp8_f32 v5, v7, v4
	;;#ASMEND
	v_perm_b32 v1, v1, v2, 0x1000504
	v_perm_b32 v2, v3, v9, 0x1000504
	;; [unrolled: 1-line block ×4, first 2 shown]
	buffer_store_b128 v[0:3], v19, s[4:7], 16 offen
	;;#ASMSTART
	s_nop 0
	;;#ASMEND
	s_nop 0
	s_sendmsg sendmsg(MSG_DEALLOC_VGPRS)
	s_endpgm
	.section	.rodata,"a",@progbits
	.p2align	6, 0x0
	.amdhsa_kernel _ZN5aiter37dynamic_per_group_scaled_quant_kernelItDB8_Li32ELi32ELb1ELi64ELb0EEEvPT0_PfPKT_PKfliilPKii
		.amdhsa_group_segment_fixed_size 0
		.amdhsa_private_segment_fixed_size 0
		.amdhsa_kernarg_size 68
		.amdhsa_user_sgpr_count 15
		.amdhsa_user_sgpr_dispatch_ptr 0
		.amdhsa_user_sgpr_queue_ptr 0
		.amdhsa_user_sgpr_kernarg_segment_ptr 1
		.amdhsa_user_sgpr_dispatch_id 0
		.amdhsa_user_sgpr_private_segment_size 0
		.amdhsa_wavefront_size32 1
		.amdhsa_uses_dynamic_stack 0
		.amdhsa_enable_private_segment 0
		.amdhsa_system_sgpr_workgroup_id_x 1
		.amdhsa_system_sgpr_workgroup_id_y 0
		.amdhsa_system_sgpr_workgroup_id_z 0
		.amdhsa_system_sgpr_workgroup_info 0
		.amdhsa_system_vgpr_workitem_id 0
		.amdhsa_next_free_vgpr 45
		.amdhsa_next_free_sgpr 16
		.amdhsa_reserve_vcc 1
		.amdhsa_float_round_mode_32 0
		.amdhsa_float_round_mode_16_64 0
		.amdhsa_float_denorm_mode_32 3
		.amdhsa_float_denorm_mode_16_64 3
		.amdhsa_dx10_clamp 1
		.amdhsa_ieee_mode 1
		.amdhsa_fp16_overflow 0
		.amdhsa_workgroup_processor_mode 1
		.amdhsa_memory_ordered 1
		.amdhsa_forward_progress 0
		.amdhsa_shared_vgpr_count 0
		.amdhsa_exception_fp_ieee_invalid_op 0
		.amdhsa_exception_fp_denorm_src 0
		.amdhsa_exception_fp_ieee_div_zero 0
		.amdhsa_exception_fp_ieee_overflow 0
		.amdhsa_exception_fp_ieee_underflow 0
		.amdhsa_exception_fp_ieee_inexact 0
		.amdhsa_exception_int_div_zero 0
	.end_amdhsa_kernel
	.section	.text._ZN5aiter37dynamic_per_group_scaled_quant_kernelItDB8_Li32ELi32ELb1ELi64ELb0EEEvPT0_PfPKT_PKfliilPKii,"axG",@progbits,_ZN5aiter37dynamic_per_group_scaled_quant_kernelItDB8_Li32ELi32ELb1ELi64ELb0EEEvPT0_PfPKT_PKfliilPKii,comdat
.Lfunc_end11:
	.size	_ZN5aiter37dynamic_per_group_scaled_quant_kernelItDB8_Li32ELi32ELb1ELi64ELb0EEEvPT0_PfPKT_PKfliilPKii, .Lfunc_end11-_ZN5aiter37dynamic_per_group_scaled_quant_kernelItDB8_Li32ELi32ELb1ELi64ELb0EEEvPT0_PfPKT_PKfliilPKii
                                        ; -- End function
	.section	.AMDGPU.csdata,"",@progbits
; Kernel info:
; codeLenInByte = 3336
; NumSgprs: 18
; NumVgprs: 45
; ScratchSize: 0
; MemoryBound: 0
; FloatMode: 240
; IeeeMode: 1
; LDSByteSize: 0 bytes/workgroup (compile time only)
; SGPRBlocks: 2
; VGPRBlocks: 5
; NumSGPRsForWavesPerEU: 18
; NumVGPRsForWavesPerEU: 45
; Occupancy: 16
; WaveLimiterHint : 0
; COMPUTE_PGM_RSRC2:SCRATCH_EN: 0
; COMPUTE_PGM_RSRC2:USER_SGPR: 15
; COMPUTE_PGM_RSRC2:TRAP_HANDLER: 0
; COMPUTE_PGM_RSRC2:TGID_X_EN: 1
; COMPUTE_PGM_RSRC2:TGID_Y_EN: 0
; COMPUTE_PGM_RSRC2:TGID_Z_EN: 0
; COMPUTE_PGM_RSRC2:TIDIG_COMP_CNT: 0
	.section	.text._ZN5aiter37dynamic_per_group_scaled_quant_kernelIDF16_aLi32ELi32ELb1ELi64ELb0EEEvPT0_PfPKT_PKfliilPKii,"axG",@progbits,_ZN5aiter37dynamic_per_group_scaled_quant_kernelIDF16_aLi32ELi32ELb1ELi64ELb0EEEvPT0_PfPKT_PKfliilPKii,comdat
	.protected	_ZN5aiter37dynamic_per_group_scaled_quant_kernelIDF16_aLi32ELi32ELb1ELi64ELb0EEEvPT0_PfPKT_PKfliilPKii ; -- Begin function _ZN5aiter37dynamic_per_group_scaled_quant_kernelIDF16_aLi32ELi32ELb1ELi64ELb0EEEvPT0_PfPKT_PKfliilPKii
	.globl	_ZN5aiter37dynamic_per_group_scaled_quant_kernelIDF16_aLi32ELi32ELb1ELi64ELb0EEEvPT0_PfPKT_PKfliilPKii
	.p2align	8
	.type	_ZN5aiter37dynamic_per_group_scaled_quant_kernelIDF16_aLi32ELi32ELb1ELi64ELb0EEEvPT0_PfPKT_PKfliilPKii,@function
_ZN5aiter37dynamic_per_group_scaled_quant_kernelIDF16_aLi32ELi32ELb1ELi64ELb0EEEvPT0_PfPKT_PKfliilPKii: ; @_ZN5aiter37dynamic_per_group_scaled_quant_kernelIDF16_aLi32ELi32ELb1ELi64ELb0EEEvPT0_PfPKT_PKfliilPKii
; %bb.0:
	s_load_b64 s[2:3], s[0:1], 0x38
	s_mov_b32 s10, s15
	s_waitcnt lgkmcnt(0)
	s_cmp_eq_u64 s[2:3], 0
	s_cbranch_scc1 .LBB12_2
; %bb.1:
	s_load_b32 s4, s[0:1], 0x40
	s_load_b32 s2, s[2:3], 0x0
	s_waitcnt lgkmcnt(0)
	s_mul_hi_i32 s9, s2, s4
	s_mul_i32 s8, s2, s4
	s_branch .LBB12_3
.LBB12_2:
	s_load_b64 s[8:9], s[0:1], 0x20
.LBB12_3:
	s_load_b64 s[2:3], s[0:1], 0x28
	s_mov_b32 s11, 0
	s_waitcnt lgkmcnt(0)
	s_ashr_i32 s4, s2, 31
	s_delay_alu instid0(SALU_CYCLE_1) | instskip(NEXT) | instid1(SALU_CYCLE_1)
	s_lshr_b32 s4, s4, 27
	s_add_i32 s2, s2, s4
	s_lshl_b64 s[4:5], s[10:11], 6
	s_ashr_i32 s6, s2, 5
	v_or_b32_e32 v2, s4, v0
	s_ashr_i32 s7, s6, 31
                                        ; implicit-def: $vgpr0_vgpr1
	s_delay_alu instid0(SALU_CYCLE_1) | instskip(SKIP_1) | instid1(SALU_CYCLE_1)
	s_or_b64 s[12:13], s[4:5], s[6:7]
	s_mov_b32 s12, s11
	s_cmp_lg_u64 s[12:13], 0
	s_cselect_b32 s2, -1, 0
	s_delay_alu instid0(SALU_CYCLE_1) | instskip(NEXT) | instid1(SALU_CYCLE_1)
	s_and_saveexec_b32 s4, s2
	s_xor_b32 s4, exec_lo, s4
	s_cbranch_execnz .LBB12_7
; %bb.4:
	s_and_not1_saveexec_b32 s2, s4
	s_cbranch_execnz .LBB12_8
.LBB12_5:
	s_or_b32 exec_lo, exec_lo, s2
	s_delay_alu instid0(SALU_CYCLE_1)
	s_mov_b32 s2, exec_lo
	v_cmpx_gt_i64_e64 s[8:9], v[0:1]
	s_cbranch_execnz .LBB12_9
.LBB12_6:
	s_endpgm
.LBB12_7:
	s_add_u32 s12, s6, s7
	s_mov_b32 s10, s7
	s_mov_b32 s11, s7
	s_addc_u32 s13, s7, s7
	s_delay_alu instid0(SALU_CYCLE_1) | instskip(NEXT) | instid1(SALU_CYCLE_1)
	s_xor_b64 s[12:13], s[12:13], s[10:11]
	v_cvt_f32_u32_e32 v0, s12
	v_cvt_f32_u32_e32 v1, s13
	s_sub_u32 s2, 0, s12
	s_subb_u32 s14, 0, s13
	s_delay_alu instid0(VALU_DEP_1) | instskip(NEXT) | instid1(VALU_DEP_1)
	v_fmamk_f32 v0, v1, 0x4f800000, v0
	v_rcp_f32_e32 v0, v0
	s_waitcnt_depctr 0xfff
	v_mul_f32_e32 v0, 0x5f7ffffc, v0
	s_delay_alu instid0(VALU_DEP_1) | instskip(NEXT) | instid1(VALU_DEP_1)
	v_mul_f32_e32 v1, 0x2f800000, v0
	v_trunc_f32_e32 v1, v1
	s_delay_alu instid0(VALU_DEP_1) | instskip(SKIP_1) | instid1(VALU_DEP_2)
	v_fmamk_f32 v0, v1, 0xcf800000, v0
	v_cvt_u32_f32_e32 v1, v1
	v_cvt_u32_f32_e32 v0, v0
	s_delay_alu instid0(VALU_DEP_2) | instskip(NEXT) | instid1(VALU_DEP_2)
	v_mul_lo_u32 v3, s2, v1
	v_mul_hi_u32 v4, s2, v0
	v_mul_lo_u32 v5, s14, v0
	s_delay_alu instid0(VALU_DEP_2) | instskip(SKIP_1) | instid1(VALU_DEP_2)
	v_add_nc_u32_e32 v3, v4, v3
	v_mul_lo_u32 v4, s2, v0
	v_add_nc_u32_e32 v3, v3, v5
	s_delay_alu instid0(VALU_DEP_2) | instskip(NEXT) | instid1(VALU_DEP_2)
	v_mul_hi_u32 v5, v0, v4
	v_mul_lo_u32 v6, v0, v3
	v_mul_hi_u32 v7, v0, v3
	v_mul_hi_u32 v8, v1, v4
	v_mul_lo_u32 v4, v1, v4
	v_mul_hi_u32 v9, v1, v3
	v_mul_lo_u32 v3, v1, v3
	v_add_co_u32 v5, vcc_lo, v5, v6
	v_add_co_ci_u32_e32 v6, vcc_lo, 0, v7, vcc_lo
	s_delay_alu instid0(VALU_DEP_2) | instskip(NEXT) | instid1(VALU_DEP_2)
	v_add_co_u32 v4, vcc_lo, v5, v4
	v_add_co_ci_u32_e32 v4, vcc_lo, v6, v8, vcc_lo
	v_add_co_ci_u32_e32 v5, vcc_lo, 0, v9, vcc_lo
	s_delay_alu instid0(VALU_DEP_2) | instskip(NEXT) | instid1(VALU_DEP_2)
	v_add_co_u32 v3, vcc_lo, v4, v3
	v_add_co_ci_u32_e32 v4, vcc_lo, 0, v5, vcc_lo
	s_delay_alu instid0(VALU_DEP_2) | instskip(NEXT) | instid1(VALU_DEP_2)
	v_add_co_u32 v0, vcc_lo, v0, v3
	v_add_co_ci_u32_e32 v1, vcc_lo, v1, v4, vcc_lo
	s_delay_alu instid0(VALU_DEP_2) | instskip(SKIP_1) | instid1(VALU_DEP_3)
	v_mul_hi_u32 v3, s2, v0
	v_mul_lo_u32 v5, s14, v0
	v_mul_lo_u32 v4, s2, v1
	s_delay_alu instid0(VALU_DEP_1) | instskip(SKIP_1) | instid1(VALU_DEP_2)
	v_add_nc_u32_e32 v3, v3, v4
	v_mul_lo_u32 v4, s2, v0
	v_add_nc_u32_e32 v3, v3, v5
	s_delay_alu instid0(VALU_DEP_2) | instskip(NEXT) | instid1(VALU_DEP_2)
	v_mul_hi_u32 v5, v0, v4
	v_mul_lo_u32 v6, v0, v3
	v_mul_hi_u32 v7, v0, v3
	v_mul_hi_u32 v8, v1, v4
	v_mul_lo_u32 v4, v1, v4
	v_mul_hi_u32 v9, v1, v3
	v_mul_lo_u32 v3, v1, v3
	v_add_co_u32 v5, vcc_lo, v5, v6
	v_add_co_ci_u32_e32 v6, vcc_lo, 0, v7, vcc_lo
	s_delay_alu instid0(VALU_DEP_2) | instskip(NEXT) | instid1(VALU_DEP_2)
	v_add_co_u32 v4, vcc_lo, v5, v4
	v_add_co_ci_u32_e32 v4, vcc_lo, v6, v8, vcc_lo
	v_add_co_ci_u32_e32 v5, vcc_lo, 0, v9, vcc_lo
	s_delay_alu instid0(VALU_DEP_2) | instskip(NEXT) | instid1(VALU_DEP_2)
	v_add_co_u32 v3, vcc_lo, v4, v3
	v_add_co_ci_u32_e32 v4, vcc_lo, 0, v5, vcc_lo
	s_delay_alu instid0(VALU_DEP_2) | instskip(NEXT) | instid1(VALU_DEP_2)
	v_add_co_u32 v5, vcc_lo, v0, v3
	v_add_co_ci_u32_e32 v7, vcc_lo, v1, v4, vcc_lo
	s_delay_alu instid0(VALU_DEP_2) | instskip(SKIP_1) | instid1(VALU_DEP_3)
	v_mul_hi_u32 v8, v2, v5
	v_mad_u64_u32 v[3:4], null, s5, v5, 0
	v_mad_u64_u32 v[0:1], null, v2, v7, 0
	v_mad_u64_u32 v[5:6], null, s5, v7, 0
	s_delay_alu instid0(VALU_DEP_2) | instskip(NEXT) | instid1(VALU_DEP_3)
	v_add_co_u32 v0, vcc_lo, v8, v0
	v_add_co_ci_u32_e32 v1, vcc_lo, 0, v1, vcc_lo
	s_delay_alu instid0(VALU_DEP_2) | instskip(NEXT) | instid1(VALU_DEP_2)
	v_add_co_u32 v0, vcc_lo, v0, v3
	v_add_co_ci_u32_e32 v0, vcc_lo, v1, v4, vcc_lo
	v_add_co_ci_u32_e32 v1, vcc_lo, 0, v6, vcc_lo
	s_delay_alu instid0(VALU_DEP_2) | instskip(NEXT) | instid1(VALU_DEP_2)
	v_add_co_u32 v3, vcc_lo, v0, v5
	v_add_co_ci_u32_e32 v4, vcc_lo, 0, v1, vcc_lo
	s_delay_alu instid0(VALU_DEP_2) | instskip(SKIP_1) | instid1(VALU_DEP_3)
	v_mul_lo_u32 v5, s13, v3
	v_mad_u64_u32 v[0:1], null, s12, v3, 0
	v_mul_lo_u32 v6, s12, v4
	s_delay_alu instid0(VALU_DEP_2) | instskip(NEXT) | instid1(VALU_DEP_2)
	v_sub_co_u32 v0, vcc_lo, v2, v0
	v_add3_u32 v1, v1, v6, v5
	s_delay_alu instid0(VALU_DEP_1) | instskip(NEXT) | instid1(VALU_DEP_1)
	v_sub_nc_u32_e32 v5, s5, v1
	v_subrev_co_ci_u32_e64 v5, s2, s13, v5, vcc_lo
	v_add_co_u32 v6, s2, v3, 2
	s_delay_alu instid0(VALU_DEP_1) | instskip(SKIP_3) | instid1(VALU_DEP_3)
	v_add_co_ci_u32_e64 v7, s2, 0, v4, s2
	v_sub_co_u32 v8, s2, v0, s12
	v_sub_co_ci_u32_e32 v1, vcc_lo, s5, v1, vcc_lo
	v_subrev_co_ci_u32_e64 v5, s2, 0, v5, s2
	v_cmp_le_u32_e32 vcc_lo, s12, v8
	s_delay_alu instid0(VALU_DEP_3) | instskip(SKIP_1) | instid1(VALU_DEP_4)
	v_cmp_eq_u32_e64 s2, s13, v1
	v_cndmask_b32_e64 v8, 0, -1, vcc_lo
	v_cmp_le_u32_e32 vcc_lo, s13, v5
	v_cndmask_b32_e64 v9, 0, -1, vcc_lo
	v_cmp_le_u32_e32 vcc_lo, s12, v0
	;; [unrolled: 2-line block ×3, first 2 shown]
	v_cndmask_b32_e64 v10, 0, -1, vcc_lo
	v_cmp_eq_u32_e32 vcc_lo, s13, v5
	s_delay_alu instid0(VALU_DEP_2) | instskip(SKIP_3) | instid1(VALU_DEP_3)
	v_cndmask_b32_e64 v0, v10, v0, s2
	v_cndmask_b32_e32 v5, v9, v8, vcc_lo
	v_add_co_u32 v8, vcc_lo, v3, 1
	v_add_co_ci_u32_e32 v9, vcc_lo, 0, v4, vcc_lo
	v_cmp_ne_u32_e32 vcc_lo, 0, v5
	s_delay_alu instid0(VALU_DEP_2) | instskip(NEXT) | instid1(VALU_DEP_4)
	v_cndmask_b32_e32 v1, v9, v7, vcc_lo
	v_cndmask_b32_e32 v5, v8, v6, vcc_lo
	v_cmp_ne_u32_e32 vcc_lo, 0, v0
	s_delay_alu instid0(VALU_DEP_3) | instskip(NEXT) | instid1(VALU_DEP_3)
	v_cndmask_b32_e32 v0, v4, v1, vcc_lo
	v_cndmask_b32_e32 v1, v3, v5, vcc_lo
	s_delay_alu instid0(VALU_DEP_2) | instskip(NEXT) | instid1(VALU_DEP_2)
	v_xor_b32_e32 v3, s11, v0
	v_xor_b32_e32 v1, s10, v1
	s_delay_alu instid0(VALU_DEP_1) | instskip(NEXT) | instid1(VALU_DEP_3)
	v_sub_co_u32 v0, vcc_lo, v1, s10
	v_subrev_co_ci_u32_e32 v1, vcc_lo, s11, v3, vcc_lo
	s_and_not1_saveexec_b32 s2, s4
	s_cbranch_execz .LBB12_5
.LBB12_8:
	v_cvt_f32_u32_e32 v0, s6
	s_sub_i32 s4, 0, s6
	s_delay_alu instid0(VALU_DEP_1) | instskip(SKIP_2) | instid1(VALU_DEP_1)
	v_rcp_iflag_f32_e32 v0, v0
	s_waitcnt_depctr 0xfff
	v_mul_f32_e32 v0, 0x4f7ffffe, v0
	v_cvt_u32_f32_e32 v0, v0
	s_delay_alu instid0(VALU_DEP_1) | instskip(NEXT) | instid1(VALU_DEP_1)
	v_mul_lo_u32 v1, s4, v0
	v_mul_hi_u32 v1, v0, v1
	s_delay_alu instid0(VALU_DEP_1) | instskip(NEXT) | instid1(VALU_DEP_1)
	v_add_nc_u32_e32 v0, v0, v1
	v_mul_hi_u32 v0, v2, v0
	s_delay_alu instid0(VALU_DEP_1) | instskip(SKIP_1) | instid1(VALU_DEP_2)
	v_mul_lo_u32 v1, v0, s6
	v_add_nc_u32_e32 v3, 1, v0
	v_sub_nc_u32_e32 v1, v2, v1
	s_delay_alu instid0(VALU_DEP_1) | instskip(SKIP_1) | instid1(VALU_DEP_2)
	v_subrev_nc_u32_e32 v4, s6, v1
	v_cmp_le_u32_e32 vcc_lo, s6, v1
	v_dual_cndmask_b32 v1, v1, v4 :: v_dual_cndmask_b32 v0, v0, v3
	s_delay_alu instid0(VALU_DEP_1) | instskip(NEXT) | instid1(VALU_DEP_2)
	v_cmp_le_u32_e32 vcc_lo, s6, v1
	v_add_nc_u32_e32 v3, 1, v0
	s_delay_alu instid0(VALU_DEP_1) | instskip(SKIP_1) | instid1(SALU_CYCLE_1)
	v_dual_mov_b32 v1, 0 :: v_dual_cndmask_b32 v0, v0, v3
	s_or_b32 exec_lo, exec_lo, s2
	s_mov_b32 s2, exec_lo
	s_delay_alu instid0(VALU_DEP_1)
	v_cmpx_gt_i64_e64 s[8:9], v[0:1]
	s_cbranch_execz .LBB12_6
.LBB12_9:
	s_ashr_i32 s2, s3, 31
	s_load_b64 s[10:11], s[0:1], 0x10
	v_mul_lo_u32 v7, v1, s6
	v_mul_lo_u32 v8, v0, s7
	v_mad_u64_u32 v[3:4], null, v0, s6, 0
	v_mul_lo_u32 v9, v1, s3
	v_mul_lo_u32 v10, v0, s2
	v_mad_u64_u32 v[5:6], null, v0, s3, 0
	v_lshlrev_b64 v[0:1], 2, v[0:1]
	v_add3_u32 v4, v4, v8, v7
	v_sub_co_u32 v21, vcc_lo, v2, v3
	s_delay_alu instid0(VALU_DEP_4) | instskip(NEXT) | instid1(VALU_DEP_3)
	v_add3_u32 v6, v6, v10, v9
	v_sub_co_ci_u32_e32 v22, vcc_lo, s5, v4, vcc_lo
	s_load_b128 s[4:7], s[0:1], 0x0
	s_delay_alu instid0(VALU_DEP_3) | instskip(NEXT) | instid1(VALU_DEP_3)
	v_dual_mov_b32 v4, 0 :: v_dual_lshlrev_b32 v3, 5, v21
	v_lshlrev_b64 v[5:6], 1, v[5:6]
	s_load_b32 s0, s[0:1], 0x30
	s_delay_alu instid0(VALU_DEP_2) | instskip(SKIP_1) | instid1(VALU_DEP_2)
	v_lshlrev_b64 v[3:4], 1, v[3:4]
	s_waitcnt lgkmcnt(0)
	v_add_co_u32 v5, vcc_lo, s10, v5
	s_delay_alu instid0(VALU_DEP_3) | instskip(NEXT) | instid1(VALU_DEP_2)
	v_add_co_ci_u32_e32 v6, vcc_lo, s11, v6, vcc_lo
	v_add_co_u32 v15, vcc_lo, v5, v3
	s_delay_alu instid0(VALU_DEP_2)
	v_add_co_ci_u32_e32 v16, vcc_lo, v6, v4, vcc_lo
	s_clause 0x3
	global_load_b128 v[3:6], v[15:16], off
	global_load_b128 v[7:10], v[15:16], off offset:16
	global_load_b128 v[11:14], v[15:16], off offset:32
	;; [unrolled: 1-line block ×3, first 2 shown]
	s_and_b32 s5, s5, 0xffff
	s_waitcnt vmcnt(3)
	v_lshrrev_b32_e32 v23, 16, v3
	v_cvt_f32_f16_e64 v19, |v3|
	v_lshrrev_b32_e32 v24, 16, v4
	v_cvt_f32_f16_e64 v25, |v4|
	;; [unrolled: 2-line block ×4, first 2 shown]
	s_waitcnt vmcnt(0)
	v_cvt_f32_f16_e64 v41, |v17|
	v_cvt_f32_f16_e64 v29, |v26|
	v_max3_f32 v19, v19, 0x2edbe6ff, v20
	v_cvt_f32_f16_e64 v20, |v5|
	v_cvt_f32_f16_e64 v30, |v28|
	v_lshrrev_b32_e32 v42, 16, v18
	v_cvt_f32_f16_e32 v23, v23
	v_max3_f32 v19, v19, v25, v27
	v_cvt_f32_f16_e64 v25, |v6|
	v_lshrrev_b32_e32 v27, 16, v7
	v_cvt_f32_f16_e32 v26, v26
	v_cvt_f32_f16_e32 v24, v24
	v_max3_f32 v19, v19, v20, v29
	v_cvt_f32_f16_e64 v20, |v7|
	v_lshrrev_b32_e32 v29, 16, v8
	v_cvt_f32_f16_e64 v31, |v27|
	v_cvt_f32_f16_e32 v27, v27
	v_max3_f32 v19, v19, v25, v30
	v_cvt_f32_f16_e64 v25, |v8|
	v_lshrrev_b32_e32 v30, 16, v9
	v_cvt_f32_f16_e64 v32, |v29|
	;; [unrolled: 5-line block ×4, first 2 shown]
	s_delay_alu instid0(VALU_DEP_4) | instskip(SKIP_3) | instid1(VALU_DEP_4)
	v_max3_f32 v19, v19, v20, v33
	v_cvt_f32_f16_e64 v20, |v11|
	v_lshrrev_b32_e32 v33, 16, v12
	v_cvt_f32_f16_e64 v35, |v32|
	v_max3_f32 v19, v19, v25, v34
	v_cvt_f32_f16_e64 v25, |v12|
	v_lshrrev_b32_e32 v34, 16, v13
	v_cvt_f32_f16_e64 v36, |v33|
	s_delay_alu instid0(VALU_DEP_4)
	v_max3_f32 v19, v19, v20, v35
	v_cvt_f32_f16_e64 v20, |v13|
	v_lshrrev_b32_e32 v35, 16, v14
	v_cvt_f32_f16_e64 v37, |v34|
	v_cvt_f32_f16_e32 v13, v13
	v_max3_f32 v19, v19, v25, v36
	v_cvt_f32_f16_e64 v25, |v14|
	v_lshrrev_b32_e32 v36, 16, v15
	v_cvt_f32_f16_e64 v38, |v35|
	v_cvt_f32_f16_e32 v14, v14
	;; [unrolled: 5-line block ×4, first 2 shown]
	v_max3_f32 v19, v19, v20, v39
	v_mul_lo_u32 v39, v21, s9
	v_cvt_f32_f16_e64 v43, |v38|
	v_cvt_f32_f16_e32 v17, v17
	s_delay_alu instid0(VALU_DEP_4)
	v_max3_f32 v25, v19, v25, v40
	v_mad_u64_u32 v[19:20], null, v21, s8, 0
	v_mul_lo_u32 v21, v22, s8
	v_cvt_f32_f16_e64 v22, |v18|
	v_cvt_f32_f16_e64 v40, |v42|
	v_max3_f32 v25, v25, v41, v43
	v_cvt_f32_f16_e32 v18, v18
	s_delay_alu instid0(VALU_DEP_2) | instskip(SKIP_1) | instid1(VALU_DEP_2)
	v_max3_f32 v22, v25, v22, v40
	v_add3_u32 v20, v20, v39, v21
	v_mul_f32_e32 v21, 0x3c010204, v22
	v_lshlrev_b32_e32 v22, 5, v2
	s_delay_alu instid0(VALU_DEP_3) | instskip(NEXT) | instid1(VALU_DEP_3)
	v_lshlrev_b64 v[19:20], 2, v[19:20]
	v_div_scale_f32 v2, null, v21, v21, 1.0
	s_delay_alu instid0(VALU_DEP_2) | instskip(NEXT) | instid1(VALU_DEP_2)
	v_add_co_u32 v19, vcc_lo, s6, v19
	v_rcp_f32_e32 v25, v2
	s_delay_alu instid0(VALU_DEP_3) | instskip(NEXT) | instid1(VALU_DEP_2)
	v_add_co_ci_u32_e32 v20, vcc_lo, s7, v20, vcc_lo
	v_add_co_u32 v19, vcc_lo, v19, v0
	v_cvt_f32_f16_e32 v0, v3
	v_cvt_f32_f16_e32 v3, v5
	s_delay_alu instid0(VALU_DEP_4) | instskip(SKIP_1) | instid1(TRANS32_DEP_1)
	v_add_co_ci_u32_e32 v20, vcc_lo, v20, v1, vcc_lo
	v_cvt_f32_f16_e32 v1, v4
	v_fma_f32 v5, -v2, v25, 1.0
	v_cvt_f32_f16_e32 v4, v6
	v_cvt_f32_f16_e32 v6, v7
	;; [unrolled: 1-line block ×3, first 2 shown]
	v_div_scale_f32 v8, vcc_lo, 1.0, v21, 1.0
	v_fmac_f32_e32 v25, v5, v25
	v_cvt_f32_f16_e32 v5, v9
	v_cvt_f32_f16_e32 v9, v10
	;; [unrolled: 1-line block ×4, first 2 shown]
	v_mul_f32_e32 v12, v8, v25
	s_mov_b32 s7, -1
	s_mov_b32 s6, s0
	global_store_b32 v[19:20], v21, off
	v_fma_f32 v39, -v2, v12, v8
	s_delay_alu instid0(VALU_DEP_1) | instskip(NEXT) | instid1(VALU_DEP_1)
	v_fmac_f32_e32 v12, v39, v25
	v_fma_f32 v2, -v2, v12, v8
	v_cvt_f32_f16_e32 v8, v30
	v_cvt_f32_f16_e32 v30, v31
	v_cvt_f32_f16_e32 v31, v34
	v_cvt_f32_f16_e32 v34, v37
	v_div_fmas_f32 v2, v2, v25, v12
	v_cvt_f32_f16_e32 v12, v32
	v_cvt_f32_f16_e32 v25, v33
	;; [unrolled: 1-line block ×4, first 2 shown]
	v_div_fixup_f32 v2, v2, v21, 1.0
	v_cvt_f32_f16_e32 v35, v38
	v_cvt_f32_f16_e32 v36, v42
	s_delay_alu instid0(VALU_DEP_3)
	v_mul_f32_e32 v23, v2, v23
	v_mul_f32_e32 v16, v2, v16
	;; [unrolled: 1-line block ×5, first 2 shown]
	v_cvt_i32_f32_e32 v23, v23
	v_cvt_i32_f32_e32 v16, v16
	v_mul_f32_e32 v29, v2, v29
	v_cvt_i32_f32_e32 v18, v18
	v_mul_f32_e32 v7, v2, v7
	v_lshlrev_b16 v23, 8, v23
	v_and_b32_e32 v16, 0xff, v16
	v_cvt_i32_f32_e32 v29, v29
	v_and_b32_e32 v18, 0xff, v18
	v_cvt_i32_f32_e32 v7, v7
	v_mul_f32_e32 v26, v2, v26
	v_cvt_i32_f32_e32 v17, v17
	v_lshlrev_b16 v29, 8, v29
	s_delay_alu instid0(VALU_DEP_4) | instskip(SKIP_3) | instid1(VALU_DEP_4)
	v_dual_mul_f32 v6, v2, v6 :: v_dual_and_b32 v7, 0xff, v7
	v_mul_f32_e32 v4, v2, v4
	v_cvt_i32_f32_e32 v11, v11
	v_dual_mul_f32 v10, v2, v10 :: v_dual_and_b32 v17, 0xff, v17
	v_or_b32_e32 v7, v7, v29
	v_mul_f32_e32 v14, v2, v14
	v_cvt_i32_f32_e32 v6, v6
	v_mul_f32_e32 v1, v2, v1
	v_cvt_i32_f32_e32 v4, v4
	v_lshlrev_b32_e32 v7, 16, v7
	v_cvt_i32_f32_e32 v14, v14
	v_dual_mul_f32 v5, v2, v5 :: v_dual_and_b32 v6, 0xff, v6
	s_delay_alu instid0(VALU_DEP_4) | instskip(NEXT) | instid1(VALU_DEP_3)
	v_dual_mul_f32 v3, v2, v3 :: v_dual_and_b32 v4, 0xff, v4
	v_and_b32_e32 v14, 0xff, v14
	v_and_b32_e32 v11, 0xff, v11
	s_delay_alu instid0(VALU_DEP_4)
	v_cvt_i32_f32_e32 v5, v5
	v_mul_f32_e32 v0, v2, v0
	v_cvt_i32_f32_e32 v10, v10
	v_mul_f32_e32 v9, v2, v9
	v_cvt_i32_f32_e32 v1, v1
	v_and_b32_e32 v5, 0xff, v5
	v_cvt_i32_f32_e32 v0, v0
	v_dual_mul_f32 v27, v2, v27 :: v_dual_and_b32 v10, 0xff, v10
	s_delay_alu instid0(VALU_DEP_4) | instskip(NEXT) | instid1(VALU_DEP_3)
	v_dual_mul_f32 v28, v2, v28 :: v_dual_and_b32 v1, 0xff, v1
	v_and_b32_e32 v0, 0xff, v0
	v_cvt_i32_f32_e32 v3, v3
	s_delay_alu instid0(VALU_DEP_4)
	v_cvt_i32_f32_e32 v27, v27
	v_cvt_i32_f32_e32 v26, v26
	;; [unrolled: 1-line block ×3, first 2 shown]
	v_or_b32_e32 v0, v0, v23
	v_mul_f32_e32 v15, v2, v15
	v_lshlrev_b16 v27, 8, v27
	s_delay_alu instid0(VALU_DEP_4) | instskip(NEXT) | instid1(VALU_DEP_4)
	v_dual_mul_f32 v24, v2, v24 :: v_dual_and_b32 v9, 0xff, v9
	v_and_b32_e32 v0, 0xffff, v0
	s_delay_alu instid0(VALU_DEP_4)
	v_cvt_i32_f32_e32 v15, v15
	v_mul_f32_e32 v8, v2, v8
	v_or_b32_e32 v6, v6, v27
	v_mul_f32_e32 v25, v2, v25
	v_cvt_i32_f32_e32 v24, v24
	v_and_b32_e32 v15, 0xff, v15
	v_cvt_i32_f32_e32 v8, v8
	v_and_b32_e32 v6, 0xffff, v6
	v_cvt_i32_f32_e32 v28, v28
	v_cvt_i32_f32_e32 v25, v25
	v_lshlrev_b16 v26, 8, v26
	v_lshlrev_b16 v8, 8, v8
	v_and_b32_e32 v3, 0xff, v3
	v_lshlrev_b16 v28, 8, v28
	v_lshlrev_b16 v24, 8, v24
	;; [unrolled: 1-line block ×3, first 2 shown]
	v_or_b32_e32 v5, v5, v8
	v_mul_f32_e32 v12, v2, v12
	v_or_b32_e32 v3, v3, v26
	v_mul_f32_e32 v13, v2, v13
	v_mul_f32_e32 v33, v2, v33
	v_and_b32_e32 v5, 0xffff, v5
	v_cvt_i32_f32_e32 v12, v12
	v_mul_f32_e32 v34, v2, v34
	v_mul_f32_e32 v35, v2, v35
	v_or_b32_e32 v4, v4, v28
	v_mul_f32_e32 v31, v2, v31
	v_lshlrev_b16 v12, 8, v12
	v_or_b32_e32 v1, v1, v24
	v_mul_f32_e32 v32, v2, v32
	v_or_b32_e32 v11, v11, v25
	v_cvt_i32_f32_e32 v35, v35
	v_or_b32_e32 v10, v10, v12
	v_and_b32_e32 v12, 0xffff, v3
	v_cvt_i32_f32_e32 v13, v13
	v_mul_f32_e32 v30, v2, v30
	v_dual_mul_f32 v2, v2, v36 :: v_dual_lshlrev_b32 v11, 16, v11
	v_lshlrev_b16 v35, 8, v35
	s_delay_alu instid0(VALU_DEP_4) | instskip(NEXT) | instid1(VALU_DEP_4)
	v_and_b32_e32 v13, 0xff, v13
	v_cvt_i32_f32_e32 v30, v30
	s_delay_alu instid0(VALU_DEP_4)
	v_cvt_i32_f32_e32 v2, v2
	v_lshlrev_b32_e32 v4, 16, v4
	v_cvt_i32_f32_e32 v31, v31
	v_and_b32_e32 v10, 0xffff, v10
	v_lshlrev_b16 v30, 8, v30
	v_lshlrev_b16 v2, 8, v2
	s_delay_alu instid0(VALU_DEP_4) | instskip(NEXT) | instid1(VALU_DEP_3)
	v_lshlrev_b16 v31, 8, v31
	v_or_b32_e32 v8, v9, v30
	s_delay_alu instid0(VALU_DEP_3)
	v_or_b32_e32 v2, v18, v2
	v_or_b32_e32 v9, v17, v35
	v_lshlrev_b32_e32 v17, 16, v1
	v_cvt_i32_f32_e32 v32, v32
	v_or_b32_e32 v13, v13, v31
	v_lshlrev_b32_e32 v18, 16, v2
	v_cvt_i32_f32_e32 v33, v33
	v_lshlrev_b32_e32 v8, 16, v8
	v_lshlrev_b16 v32, 8, v32
	v_and_b32_e32 v9, 0xffff, v9
	v_and_b32_e32 v13, 0xffff, v13
	v_lshlrev_b16 v33, 8, v33
	v_or_b32_e32 v3, v5, v8
	v_or_b32_e32 v14, v14, v32
	;; [unrolled: 1-line block ×6, first 2 shown]
	v_lshlrev_b32_e32 v14, 16, v14
	v_or_b32_e32 v7, v9, v18
	v_or_b32_e32 v4, v10, v11
	v_and_b32_e32 v15, 0xffff, v15
	v_cvt_i32_f32_e32 v34, v34
	v_or_b32_e32 v5, v13, v14
	buffer_store_b128 v[0:3], v22, s[4:7], 0 offen
	;;#ASMSTART
	s_nop 0
	;;#ASMEND
	v_lshlrev_b16 v34, 8, v34
	s_delay_alu instid0(VALU_DEP_1) | instskip(NEXT) | instid1(VALU_DEP_1)
	v_or_b32_e32 v16, v16, v34
	v_lshlrev_b32_e32 v16, 16, v16
	s_delay_alu instid0(VALU_DEP_1)
	v_or_b32_e32 v6, v15, v16
	buffer_store_b128 v[4:7], v22, s[4:7], 16 offen
	;;#ASMSTART
	s_nop 0
	;;#ASMEND
	s_nop 0
	s_sendmsg sendmsg(MSG_DEALLOC_VGPRS)
	s_endpgm
	.section	.rodata,"a",@progbits
	.p2align	6, 0x0
	.amdhsa_kernel _ZN5aiter37dynamic_per_group_scaled_quant_kernelIDF16_aLi32ELi32ELb1ELi64ELb0EEEvPT0_PfPKT_PKfliilPKii
		.amdhsa_group_segment_fixed_size 0
		.amdhsa_private_segment_fixed_size 0
		.amdhsa_kernarg_size 68
		.amdhsa_user_sgpr_count 15
		.amdhsa_user_sgpr_dispatch_ptr 0
		.amdhsa_user_sgpr_queue_ptr 0
		.amdhsa_user_sgpr_kernarg_segment_ptr 1
		.amdhsa_user_sgpr_dispatch_id 0
		.amdhsa_user_sgpr_private_segment_size 0
		.amdhsa_wavefront_size32 1
		.amdhsa_uses_dynamic_stack 0
		.amdhsa_enable_private_segment 0
		.amdhsa_system_sgpr_workgroup_id_x 1
		.amdhsa_system_sgpr_workgroup_id_y 0
		.amdhsa_system_sgpr_workgroup_id_z 0
		.amdhsa_system_sgpr_workgroup_info 0
		.amdhsa_system_vgpr_workitem_id 0
		.amdhsa_next_free_vgpr 44
		.amdhsa_next_free_sgpr 16
		.amdhsa_reserve_vcc 1
		.amdhsa_float_round_mode_32 0
		.amdhsa_float_round_mode_16_64 0
		.amdhsa_float_denorm_mode_32 3
		.amdhsa_float_denorm_mode_16_64 3
		.amdhsa_dx10_clamp 1
		.amdhsa_ieee_mode 1
		.amdhsa_fp16_overflow 0
		.amdhsa_workgroup_processor_mode 1
		.amdhsa_memory_ordered 1
		.amdhsa_forward_progress 0
		.amdhsa_shared_vgpr_count 0
		.amdhsa_exception_fp_ieee_invalid_op 0
		.amdhsa_exception_fp_denorm_src 0
		.amdhsa_exception_fp_ieee_div_zero 0
		.amdhsa_exception_fp_ieee_overflow 0
		.amdhsa_exception_fp_ieee_underflow 0
		.amdhsa_exception_fp_ieee_inexact 0
		.amdhsa_exception_int_div_zero 0
	.end_amdhsa_kernel
	.section	.text._ZN5aiter37dynamic_per_group_scaled_quant_kernelIDF16_aLi32ELi32ELb1ELi64ELb0EEEvPT0_PfPKT_PKfliilPKii,"axG",@progbits,_ZN5aiter37dynamic_per_group_scaled_quant_kernelIDF16_aLi32ELi32ELb1ELi64ELb0EEEvPT0_PfPKT_PKfliilPKii,comdat
.Lfunc_end12:
	.size	_ZN5aiter37dynamic_per_group_scaled_quant_kernelIDF16_aLi32ELi32ELb1ELi64ELb0EEEvPT0_PfPKT_PKfliilPKii, .Lfunc_end12-_ZN5aiter37dynamic_per_group_scaled_quant_kernelIDF16_aLi32ELi32ELb1ELi64ELb0EEEvPT0_PfPKT_PKfliilPKii
                                        ; -- End function
	.section	.AMDGPU.csdata,"",@progbits
; Kernel info:
; codeLenInByte = 2984
; NumSgprs: 18
; NumVgprs: 44
; ScratchSize: 0
; MemoryBound: 0
; FloatMode: 240
; IeeeMode: 1
; LDSByteSize: 0 bytes/workgroup (compile time only)
; SGPRBlocks: 2
; VGPRBlocks: 5
; NumSGPRsForWavesPerEU: 18
; NumVGPRsForWavesPerEU: 44
; Occupancy: 16
; WaveLimiterHint : 0
; COMPUTE_PGM_RSRC2:SCRATCH_EN: 0
; COMPUTE_PGM_RSRC2:USER_SGPR: 15
; COMPUTE_PGM_RSRC2:TRAP_HANDLER: 0
; COMPUTE_PGM_RSRC2:TGID_X_EN: 1
; COMPUTE_PGM_RSRC2:TGID_Y_EN: 0
; COMPUTE_PGM_RSRC2:TGID_Z_EN: 0
; COMPUTE_PGM_RSRC2:TIDIG_COMP_CNT: 0
	.section	.text._ZN5aiter37dynamic_per_group_scaled_quant_kernelItaLi32ELi32ELb1ELi64ELb0EEEvPT0_PfPKT_PKfliilPKii,"axG",@progbits,_ZN5aiter37dynamic_per_group_scaled_quant_kernelItaLi32ELi32ELb1ELi64ELb0EEEvPT0_PfPKT_PKfliilPKii,comdat
	.protected	_ZN5aiter37dynamic_per_group_scaled_quant_kernelItaLi32ELi32ELb1ELi64ELb0EEEvPT0_PfPKT_PKfliilPKii ; -- Begin function _ZN5aiter37dynamic_per_group_scaled_quant_kernelItaLi32ELi32ELb1ELi64ELb0EEEvPT0_PfPKT_PKfliilPKii
	.globl	_ZN5aiter37dynamic_per_group_scaled_quant_kernelItaLi32ELi32ELb1ELi64ELb0EEEvPT0_PfPKT_PKfliilPKii
	.p2align	8
	.type	_ZN5aiter37dynamic_per_group_scaled_quant_kernelItaLi32ELi32ELb1ELi64ELb0EEEvPT0_PfPKT_PKfliilPKii,@function
_ZN5aiter37dynamic_per_group_scaled_quant_kernelItaLi32ELi32ELb1ELi64ELb0EEEvPT0_PfPKT_PKfliilPKii: ; @_ZN5aiter37dynamic_per_group_scaled_quant_kernelItaLi32ELi32ELb1ELi64ELb0EEEvPT0_PfPKT_PKfliilPKii
; %bb.0:
	s_load_b64 s[2:3], s[0:1], 0x38
	s_mov_b32 s10, s15
	s_waitcnt lgkmcnt(0)
	s_cmp_eq_u64 s[2:3], 0
	s_cbranch_scc1 .LBB13_2
; %bb.1:
	s_load_b32 s4, s[0:1], 0x40
	s_load_b32 s2, s[2:3], 0x0
	s_waitcnt lgkmcnt(0)
	s_mul_hi_i32 s9, s2, s4
	s_mul_i32 s8, s2, s4
	s_branch .LBB13_3
.LBB13_2:
	s_load_b64 s[8:9], s[0:1], 0x20
.LBB13_3:
	s_load_b64 s[2:3], s[0:1], 0x28
	s_mov_b32 s11, 0
	s_waitcnt lgkmcnt(0)
	s_ashr_i32 s4, s2, 31
	s_delay_alu instid0(SALU_CYCLE_1) | instskip(NEXT) | instid1(SALU_CYCLE_1)
	s_lshr_b32 s4, s4, 27
	s_add_i32 s2, s2, s4
	s_lshl_b64 s[4:5], s[10:11], 6
	s_ashr_i32 s6, s2, 5
	v_or_b32_e32 v2, s4, v0
	s_ashr_i32 s7, s6, 31
                                        ; implicit-def: $vgpr0_vgpr1
	s_delay_alu instid0(SALU_CYCLE_1) | instskip(SKIP_1) | instid1(SALU_CYCLE_1)
	s_or_b64 s[12:13], s[4:5], s[6:7]
	s_mov_b32 s12, s11
	s_cmp_lg_u64 s[12:13], 0
	s_cselect_b32 s2, -1, 0
	s_delay_alu instid0(SALU_CYCLE_1) | instskip(NEXT) | instid1(SALU_CYCLE_1)
	s_and_saveexec_b32 s4, s2
	s_xor_b32 s4, exec_lo, s4
	s_cbranch_execnz .LBB13_7
; %bb.4:
	s_and_not1_saveexec_b32 s2, s4
	s_cbranch_execnz .LBB13_8
.LBB13_5:
	s_or_b32 exec_lo, exec_lo, s2
	s_delay_alu instid0(SALU_CYCLE_1)
	s_mov_b32 s2, exec_lo
	v_cmpx_gt_i64_e64 s[8:9], v[0:1]
	s_cbranch_execnz .LBB13_9
.LBB13_6:
	s_endpgm
.LBB13_7:
	s_add_u32 s12, s6, s7
	s_mov_b32 s10, s7
	s_mov_b32 s11, s7
	s_addc_u32 s13, s7, s7
	s_delay_alu instid0(SALU_CYCLE_1) | instskip(NEXT) | instid1(SALU_CYCLE_1)
	s_xor_b64 s[12:13], s[12:13], s[10:11]
	v_cvt_f32_u32_e32 v0, s12
	v_cvt_f32_u32_e32 v1, s13
	s_sub_u32 s2, 0, s12
	s_subb_u32 s14, 0, s13
	s_delay_alu instid0(VALU_DEP_1) | instskip(NEXT) | instid1(VALU_DEP_1)
	v_fmamk_f32 v0, v1, 0x4f800000, v0
	v_rcp_f32_e32 v0, v0
	s_waitcnt_depctr 0xfff
	v_mul_f32_e32 v0, 0x5f7ffffc, v0
	s_delay_alu instid0(VALU_DEP_1) | instskip(NEXT) | instid1(VALU_DEP_1)
	v_mul_f32_e32 v1, 0x2f800000, v0
	v_trunc_f32_e32 v1, v1
	s_delay_alu instid0(VALU_DEP_1) | instskip(SKIP_1) | instid1(VALU_DEP_2)
	v_fmamk_f32 v0, v1, 0xcf800000, v0
	v_cvt_u32_f32_e32 v1, v1
	v_cvt_u32_f32_e32 v0, v0
	s_delay_alu instid0(VALU_DEP_2) | instskip(NEXT) | instid1(VALU_DEP_2)
	v_mul_lo_u32 v3, s2, v1
	v_mul_hi_u32 v4, s2, v0
	v_mul_lo_u32 v5, s14, v0
	s_delay_alu instid0(VALU_DEP_2) | instskip(SKIP_1) | instid1(VALU_DEP_2)
	v_add_nc_u32_e32 v3, v4, v3
	v_mul_lo_u32 v4, s2, v0
	v_add_nc_u32_e32 v3, v3, v5
	s_delay_alu instid0(VALU_DEP_2) | instskip(NEXT) | instid1(VALU_DEP_2)
	v_mul_hi_u32 v5, v0, v4
	v_mul_lo_u32 v6, v0, v3
	v_mul_hi_u32 v7, v0, v3
	v_mul_hi_u32 v8, v1, v4
	v_mul_lo_u32 v4, v1, v4
	v_mul_hi_u32 v9, v1, v3
	v_mul_lo_u32 v3, v1, v3
	v_add_co_u32 v5, vcc_lo, v5, v6
	v_add_co_ci_u32_e32 v6, vcc_lo, 0, v7, vcc_lo
	s_delay_alu instid0(VALU_DEP_2) | instskip(NEXT) | instid1(VALU_DEP_2)
	v_add_co_u32 v4, vcc_lo, v5, v4
	v_add_co_ci_u32_e32 v4, vcc_lo, v6, v8, vcc_lo
	v_add_co_ci_u32_e32 v5, vcc_lo, 0, v9, vcc_lo
	s_delay_alu instid0(VALU_DEP_2) | instskip(NEXT) | instid1(VALU_DEP_2)
	v_add_co_u32 v3, vcc_lo, v4, v3
	v_add_co_ci_u32_e32 v4, vcc_lo, 0, v5, vcc_lo
	s_delay_alu instid0(VALU_DEP_2) | instskip(NEXT) | instid1(VALU_DEP_2)
	v_add_co_u32 v0, vcc_lo, v0, v3
	v_add_co_ci_u32_e32 v1, vcc_lo, v1, v4, vcc_lo
	s_delay_alu instid0(VALU_DEP_2) | instskip(SKIP_1) | instid1(VALU_DEP_3)
	v_mul_hi_u32 v3, s2, v0
	v_mul_lo_u32 v5, s14, v0
	v_mul_lo_u32 v4, s2, v1
	s_delay_alu instid0(VALU_DEP_1) | instskip(SKIP_1) | instid1(VALU_DEP_2)
	v_add_nc_u32_e32 v3, v3, v4
	v_mul_lo_u32 v4, s2, v0
	v_add_nc_u32_e32 v3, v3, v5
	s_delay_alu instid0(VALU_DEP_2) | instskip(NEXT) | instid1(VALU_DEP_2)
	v_mul_hi_u32 v5, v0, v4
	v_mul_lo_u32 v6, v0, v3
	v_mul_hi_u32 v7, v0, v3
	v_mul_hi_u32 v8, v1, v4
	v_mul_lo_u32 v4, v1, v4
	v_mul_hi_u32 v9, v1, v3
	v_mul_lo_u32 v3, v1, v3
	v_add_co_u32 v5, vcc_lo, v5, v6
	v_add_co_ci_u32_e32 v6, vcc_lo, 0, v7, vcc_lo
	s_delay_alu instid0(VALU_DEP_2) | instskip(NEXT) | instid1(VALU_DEP_2)
	v_add_co_u32 v4, vcc_lo, v5, v4
	v_add_co_ci_u32_e32 v4, vcc_lo, v6, v8, vcc_lo
	v_add_co_ci_u32_e32 v5, vcc_lo, 0, v9, vcc_lo
	s_delay_alu instid0(VALU_DEP_2) | instskip(NEXT) | instid1(VALU_DEP_2)
	v_add_co_u32 v3, vcc_lo, v4, v3
	v_add_co_ci_u32_e32 v4, vcc_lo, 0, v5, vcc_lo
	s_delay_alu instid0(VALU_DEP_2) | instskip(NEXT) | instid1(VALU_DEP_2)
	v_add_co_u32 v5, vcc_lo, v0, v3
	v_add_co_ci_u32_e32 v7, vcc_lo, v1, v4, vcc_lo
	s_delay_alu instid0(VALU_DEP_2) | instskip(SKIP_1) | instid1(VALU_DEP_3)
	v_mul_hi_u32 v8, v2, v5
	v_mad_u64_u32 v[3:4], null, s5, v5, 0
	v_mad_u64_u32 v[0:1], null, v2, v7, 0
	;; [unrolled: 1-line block ×3, first 2 shown]
	s_delay_alu instid0(VALU_DEP_2) | instskip(NEXT) | instid1(VALU_DEP_3)
	v_add_co_u32 v0, vcc_lo, v8, v0
	v_add_co_ci_u32_e32 v1, vcc_lo, 0, v1, vcc_lo
	s_delay_alu instid0(VALU_DEP_2) | instskip(NEXT) | instid1(VALU_DEP_2)
	v_add_co_u32 v0, vcc_lo, v0, v3
	v_add_co_ci_u32_e32 v0, vcc_lo, v1, v4, vcc_lo
	v_add_co_ci_u32_e32 v1, vcc_lo, 0, v6, vcc_lo
	s_delay_alu instid0(VALU_DEP_2) | instskip(NEXT) | instid1(VALU_DEP_2)
	v_add_co_u32 v3, vcc_lo, v0, v5
	v_add_co_ci_u32_e32 v4, vcc_lo, 0, v1, vcc_lo
	s_delay_alu instid0(VALU_DEP_2) | instskip(SKIP_1) | instid1(VALU_DEP_3)
	v_mul_lo_u32 v5, s13, v3
	v_mad_u64_u32 v[0:1], null, s12, v3, 0
	v_mul_lo_u32 v6, s12, v4
	s_delay_alu instid0(VALU_DEP_2) | instskip(NEXT) | instid1(VALU_DEP_2)
	v_sub_co_u32 v0, vcc_lo, v2, v0
	v_add3_u32 v1, v1, v6, v5
	s_delay_alu instid0(VALU_DEP_1) | instskip(NEXT) | instid1(VALU_DEP_1)
	v_sub_nc_u32_e32 v5, s5, v1
	v_subrev_co_ci_u32_e64 v5, s2, s13, v5, vcc_lo
	v_add_co_u32 v6, s2, v3, 2
	s_delay_alu instid0(VALU_DEP_1) | instskip(SKIP_3) | instid1(VALU_DEP_3)
	v_add_co_ci_u32_e64 v7, s2, 0, v4, s2
	v_sub_co_u32 v8, s2, v0, s12
	v_sub_co_ci_u32_e32 v1, vcc_lo, s5, v1, vcc_lo
	v_subrev_co_ci_u32_e64 v5, s2, 0, v5, s2
	v_cmp_le_u32_e32 vcc_lo, s12, v8
	s_delay_alu instid0(VALU_DEP_3) | instskip(SKIP_1) | instid1(VALU_DEP_4)
	v_cmp_eq_u32_e64 s2, s13, v1
	v_cndmask_b32_e64 v8, 0, -1, vcc_lo
	v_cmp_le_u32_e32 vcc_lo, s13, v5
	v_cndmask_b32_e64 v9, 0, -1, vcc_lo
	v_cmp_le_u32_e32 vcc_lo, s12, v0
	;; [unrolled: 2-line block ×3, first 2 shown]
	v_cndmask_b32_e64 v10, 0, -1, vcc_lo
	v_cmp_eq_u32_e32 vcc_lo, s13, v5
	s_delay_alu instid0(VALU_DEP_2) | instskip(SKIP_3) | instid1(VALU_DEP_3)
	v_cndmask_b32_e64 v0, v10, v0, s2
	v_cndmask_b32_e32 v5, v9, v8, vcc_lo
	v_add_co_u32 v8, vcc_lo, v3, 1
	v_add_co_ci_u32_e32 v9, vcc_lo, 0, v4, vcc_lo
	v_cmp_ne_u32_e32 vcc_lo, 0, v5
	s_delay_alu instid0(VALU_DEP_2) | instskip(NEXT) | instid1(VALU_DEP_4)
	v_cndmask_b32_e32 v1, v9, v7, vcc_lo
	v_cndmask_b32_e32 v5, v8, v6, vcc_lo
	v_cmp_ne_u32_e32 vcc_lo, 0, v0
	s_delay_alu instid0(VALU_DEP_3) | instskip(NEXT) | instid1(VALU_DEP_3)
	v_cndmask_b32_e32 v0, v4, v1, vcc_lo
	v_cndmask_b32_e32 v1, v3, v5, vcc_lo
	s_delay_alu instid0(VALU_DEP_2) | instskip(NEXT) | instid1(VALU_DEP_2)
	v_xor_b32_e32 v3, s11, v0
	v_xor_b32_e32 v1, s10, v1
	s_delay_alu instid0(VALU_DEP_1) | instskip(NEXT) | instid1(VALU_DEP_3)
	v_sub_co_u32 v0, vcc_lo, v1, s10
	v_subrev_co_ci_u32_e32 v1, vcc_lo, s11, v3, vcc_lo
	s_and_not1_saveexec_b32 s2, s4
	s_cbranch_execz .LBB13_5
.LBB13_8:
	v_cvt_f32_u32_e32 v0, s6
	s_sub_i32 s4, 0, s6
	s_delay_alu instid0(VALU_DEP_1) | instskip(SKIP_2) | instid1(VALU_DEP_1)
	v_rcp_iflag_f32_e32 v0, v0
	s_waitcnt_depctr 0xfff
	v_mul_f32_e32 v0, 0x4f7ffffe, v0
	v_cvt_u32_f32_e32 v0, v0
	s_delay_alu instid0(VALU_DEP_1) | instskip(NEXT) | instid1(VALU_DEP_1)
	v_mul_lo_u32 v1, s4, v0
	v_mul_hi_u32 v1, v0, v1
	s_delay_alu instid0(VALU_DEP_1) | instskip(NEXT) | instid1(VALU_DEP_1)
	v_add_nc_u32_e32 v0, v0, v1
	v_mul_hi_u32 v0, v2, v0
	s_delay_alu instid0(VALU_DEP_1) | instskip(SKIP_1) | instid1(VALU_DEP_2)
	v_mul_lo_u32 v1, v0, s6
	v_add_nc_u32_e32 v3, 1, v0
	v_sub_nc_u32_e32 v1, v2, v1
	s_delay_alu instid0(VALU_DEP_1) | instskip(SKIP_1) | instid1(VALU_DEP_2)
	v_subrev_nc_u32_e32 v4, s6, v1
	v_cmp_le_u32_e32 vcc_lo, s6, v1
	v_dual_cndmask_b32 v1, v1, v4 :: v_dual_cndmask_b32 v0, v0, v3
	s_delay_alu instid0(VALU_DEP_1) | instskip(NEXT) | instid1(VALU_DEP_2)
	v_cmp_le_u32_e32 vcc_lo, s6, v1
	v_add_nc_u32_e32 v3, 1, v0
	s_delay_alu instid0(VALU_DEP_1) | instskip(SKIP_1) | instid1(SALU_CYCLE_1)
	v_dual_mov_b32 v1, 0 :: v_dual_cndmask_b32 v0, v0, v3
	s_or_b32 exec_lo, exec_lo, s2
	s_mov_b32 s2, exec_lo
	s_delay_alu instid0(VALU_DEP_1)
	v_cmpx_gt_i64_e64 s[8:9], v[0:1]
	s_cbranch_execz .LBB13_6
.LBB13_9:
	s_ashr_i32 s2, s3, 31
	s_load_b64 s[10:11], s[0:1], 0x10
	v_mul_lo_u32 v7, v1, s6
	v_mul_lo_u32 v8, v0, s7
	v_mad_u64_u32 v[3:4], null, v0, s6, 0
	v_mul_lo_u32 v9, v1, s3
	v_mul_lo_u32 v10, v0, s2
	v_mad_u64_u32 v[5:6], null, v0, s3, 0
	v_lshlrev_b64 v[0:1], 2, v[0:1]
	v_add3_u32 v4, v4, v8, v7
	v_sub_co_u32 v19, vcc_lo, v2, v3
	s_delay_alu instid0(VALU_DEP_4) | instskip(NEXT) | instid1(VALU_DEP_3)
	v_add3_u32 v6, v6, v10, v9
	v_sub_co_ci_u32_e32 v20, vcc_lo, s5, v4, vcc_lo
	s_load_b128 s[4:7], s[0:1], 0x0
	s_delay_alu instid0(VALU_DEP_3) | instskip(NEXT) | instid1(VALU_DEP_3)
	v_dual_mov_b32 v4, 0 :: v_dual_lshlrev_b32 v3, 5, v19
	v_lshlrev_b64 v[5:6], 1, v[5:6]
	v_mul_lo_u32 v43, v19, s9
	s_load_b32 s0, s[0:1], 0x30
	s_delay_alu instid0(VALU_DEP_3) | instskip(SKIP_1) | instid1(VALU_DEP_3)
	v_lshlrev_b64 v[3:4], 1, v[3:4]
	s_waitcnt lgkmcnt(0)
	v_add_co_u32 v5, vcc_lo, s10, v5
	v_add_co_ci_u32_e32 v6, vcc_lo, s11, v6, vcc_lo
	s_delay_alu instid0(VALU_DEP_2) | instskip(NEXT) | instid1(VALU_DEP_2)
	v_add_co_u32 v15, vcc_lo, v5, v3
	v_add_co_ci_u32_e32 v16, vcc_lo, v6, v4, vcc_lo
	s_clause 0x3
	global_load_b128 v[3:6], v[15:16], off
	global_load_b128 v[7:10], v[15:16], off offset:16
	global_load_b128 v[11:14], v[15:16], off offset:32
	;; [unrolled: 1-line block ×3, first 2 shown]
	s_and_b32 s5, s5, 0xffff
	s_waitcnt vmcnt(3)
	v_and_b32_e32 v21, 0xffff, v3
	v_lshrrev_b32_e32 v3, 16, v3
	v_and_b32_e32 v22, 0xffff, v4
	v_lshrrev_b32_e32 v4, 16, v4
	v_and_b32_e32 v25, 0xffff, v6
	v_cvt_f32_u32_e32 v21, v21
	v_cvt_f32_u32_e32 v23, v3
	;; [unrolled: 1-line block ×3, first 2 shown]
	v_and_b32_e32 v3, 0xffff, v5
	v_lshrrev_b32_e32 v5, 16, v5
	v_cvt_f32_u32_e32 v24, v4
	v_max3_f32 v4, v21, 0x2edbe6ff, v23
	v_lshrrev_b32_e32 v6, 16, v6
	v_cvt_f32_u32_e32 v26, v3
	v_cvt_f32_u32_e32 v5, v5
	;; [unrolled: 1-line block ×3, first 2 shown]
	v_max3_f32 v3, v4, v22, v24
	s_waitcnt vmcnt(2)
	v_and_b32_e32 v4, 0xffff, v7
	v_lshrrev_b32_e32 v7, 16, v7
	v_cvt_f32_u32_e32 v6, v6
	v_and_b32_e32 v27, 0xffff, v8
	v_max3_f32 v3, v3, v26, v5
	v_lshrrev_b32_e32 v8, 16, v8
	v_cvt_f32_u32_e32 v28, v4
	v_cvt_f32_u32_e32 v7, v7
	v_and_b32_e32 v4, 0xffff, v9
	v_max3_f32 v3, v3, v25, v6
	v_lshrrev_b32_e32 v9, 16, v9
	v_cvt_f32_u32_e32 v27, v27
	;; [unrolled: 5-line block ×3, first 2 shown]
	v_cvt_f32_u32_e32 v31, v9
	s_waitcnt vmcnt(1)
	v_and_b32_e32 v4, 0xffff, v11
	v_max3_f32 v3, v3, v27, v29
	v_lshrrev_b32_e32 v9, 16, v11
	v_cvt_f32_u32_e32 v11, v8
	v_cvt_f32_u32_e32 v10, v10
	v_and_b32_e32 v8, 0xffff, v12
	v_max3_f32 v3, v3, v30, v31
	v_lshrrev_b32_e32 v12, 16, v12
	v_cvt_f32_u32_e32 v32, v4
	v_cvt_f32_u32_e32 v33, v9
	;; [unrolled: 5-line block ×4, first 2 shown]
	s_waitcnt vmcnt(0)
	v_and_b32_e32 v4, 0xffff, v15
	v_max3_f32 v3, v3, v13, v12
	v_lshrrev_b32_e32 v9, 16, v15
	v_cvt_f32_u32_e32 v15, v8
	v_cvt_f32_u32_e32 v14, v14
	v_and_b32_e32 v8, 0xffff, v16
	v_max3_f32 v3, v3, v34, v35
	v_lshrrev_b32_e32 v16, 16, v16
	v_cvt_f32_u32_e32 v36, v4
	v_cvt_f32_u32_e32 v37, v9
	;; [unrolled: 5-line block ×4, first 2 shown]
	v_cvt_f32_u32_e32 v40, v8
	v_max3_f32 v3, v3, v17, v16
	v_cvt_f32_u32_e32 v18, v18
	s_delay_alu instid0(VALU_DEP_2) | instskip(NEXT) | instid1(VALU_DEP_1)
	v_max3_f32 v3, v3, v38, v39
	v_max3_f32 v3, v3, v40, v18
	s_delay_alu instid0(VALU_DEP_1) | instskip(NEXT) | instid1(VALU_DEP_1)
	v_mul_f32_e32 v41, 0x3c010204, v3
	v_div_scale_f32 v8, null, v41, v41, 1.0
	v_div_scale_f32 v42, vcc_lo, 1.0, v41, 1.0
	s_delay_alu instid0(VALU_DEP_2) | instskip(SKIP_2) | instid1(VALU_DEP_1)
	v_rcp_f32_e32 v9, v8
	s_waitcnt_depctr 0xfff
	v_fma_f32 v3, -v8, v9, 1.0
	v_fmac_f32_e32 v9, v3, v9
	v_mad_u64_u32 v[3:4], null, v19, s8, 0
	v_mul_lo_u32 v19, v20, s8
	s_delay_alu instid0(VALU_DEP_3) | instskip(NEXT) | instid1(VALU_DEP_1)
	v_mul_f32_e32 v44, v42, v9
	v_fma_f32 v20, -v8, v44, v42
	s_delay_alu instid0(VALU_DEP_3) | instskip(NEXT) | instid1(VALU_DEP_2)
	v_add3_u32 v4, v4, v43, v19
	v_dual_fmac_f32 v44, v20, v9 :: v_dual_lshlrev_b32 v19, 5, v2
	s_delay_alu instid0(VALU_DEP_2) | instskip(NEXT) | instid1(VALU_DEP_2)
	v_lshlrev_b64 v[2:3], 2, v[3:4]
	v_fma_f32 v8, -v8, v44, v42
	s_delay_alu instid0(VALU_DEP_1) | instskip(NEXT) | instid1(VALU_DEP_3)
	v_div_fmas_f32 v4, v8, v9, v44
	v_add_co_u32 v2, vcc_lo, s6, v2
	s_delay_alu instid0(VALU_DEP_4) | instskip(NEXT) | instid1(VALU_DEP_3)
	v_add_co_ci_u32_e32 v3, vcc_lo, s7, v3, vcc_lo
	v_div_fixup_f32 v4, v4, v41, 1.0
	s_delay_alu instid0(VALU_DEP_3) | instskip(NEXT) | instid1(VALU_DEP_3)
	v_add_co_u32 v8, vcc_lo, v2, v0
	v_add_co_ci_u32_e32 v9, vcc_lo, v3, v1, vcc_lo
	s_delay_alu instid0(VALU_DEP_3)
	v_mul_f32_e32 v0, v4, v21
	v_mul_f32_e32 v2, v4, v22
	;; [unrolled: 1-line block ×7, first 2 shown]
	v_cvt_i32_f32_e32 v0, v0
	v_mul_f32_e32 v13, v4, v13
	v_cvt_i32_f32_e32 v2, v2
	v_mul_f32_e32 v15, v4, v15
	v_mul_f32_e32 v1, v4, v23
	;; [unrolled: 1-line block ×3, first 2 shown]
	s_delay_alu instid0(VALU_DEP_4)
	v_dual_mul_f32 v5, v4, v5 :: v_dual_and_b32 v2, 0xff, v2
	v_mul_f32_e32 v7, v4, v7
	v_mul_f32_e32 v23, v4, v27
	;; [unrolled: 1-line block ×13, first 2 shown]
	v_cvt_i32_f32_e32 v11, v11
	v_mul_f32_e32 v6, v4, v6
	v_cvt_i32_f32_e32 v15, v15
	v_mul_f32_e32 v24, v4, v29
	v_mul_f32_e32 v29, v4, v34
	;; [unrolled: 1-line block ×3, first 2 shown]
	v_cvt_i32_f32_e32 v17, v17
	v_mul_f32_e32 v10, v4, v10
	v_and_b32_e32 v0, 0xff, v0
	v_cvt_i32_f32_e32 v13, v13
	v_mul_f32_e32 v12, v4, v12
	v_mul_f32_e32 v4, v4, v18
	v_cvt_i32_f32_e32 v18, v20
	v_cvt_i32_f32_e32 v20, v21
	;; [unrolled: 1-line block ×5, first 2 shown]
	v_and_b32_e32 v15, 0xff, v15
	v_cvt_i32_f32_e32 v23, v24
	v_and_b32_e32 v21, 0xff, v21
	v_and_b32_e32 v20, 0xff, v20
	v_cvt_i32_f32_e32 v24, v25
	v_cvt_i32_f32_e32 v25, v26
	v_lshlrev_b16 v7, 8, v7
	v_and_b32_e32 v13, 0xff, v13
	v_cvt_i32_f32_e32 v12, v12
	v_and_b32_e32 v24, 0xff, v24
	v_lshlrev_b16 v25, 8, v25
	v_or_b32_e32 v7, v21, v7
	v_cvt_i32_f32_e32 v5, v5
	v_lshlrev_b16 v12, 8, v12
	v_and_b32_e32 v18, 0xff, v18
	v_or_b32_e32 v24, v24, v25
	v_cvt_i32_f32_e32 v26, v27
	v_and_b32_e32 v17, 0xff, v17
	v_cvt_i32_f32_e32 v10, v10
	v_or_b32_e32 v12, v13, v12
	v_and_b32_e32 v13, 0xffff, v24
	v_cvt_i32_f32_e32 v27, v28
	v_and_b32_e32 v7, 0xffff, v7
	v_cvt_i32_f32_e32 v14, v14
	v_lshlrev_b16 v10, 8, v10
	v_and_b32_e32 v11, 0xff, v11
	v_lshlrev_b16 v23, 8, v23
	v_and_b32_e32 v22, 0xff, v22
	v_lshlrev_b16 v5, 8, v5
	v_lshlrev_b16 v14, 8, v14
	;; [unrolled: 1-line block ×3, first 2 shown]
	v_and_b32_e32 v26, 0xff, v26
	v_cvt_i32_f32_e32 v28, v29
	v_or_b32_e32 v10, v11, v10
	v_or_b32_e32 v11, v22, v23
	;; [unrolled: 1-line block ×5, first 2 shown]
	v_cvt_i32_f32_e32 v1, v1
	v_cvt_i32_f32_e32 v3, v3
	v_and_b32_e32 v28, 0xff, v28
	v_lshlrev_b32_e32 v11, 16, v11
	v_and_b32_e32 v15, 0xffff, v15
	v_cvt_i32_f32_e32 v4, v4
	v_and_b32_e32 v5, 0xffff, v5
	v_cvt_i32_f32_e32 v29, v30
	v_cvt_i32_f32_e32 v30, v31
	;; [unrolled: 1-line block ×6, first 2 shown]
	v_lshlrev_b16 v1, 8, v1
	v_lshlrev_b16 v3, 8, v3
	;; [unrolled: 1-line block ×3, first 2 shown]
	v_cvt_i32_f32_e32 v6, v6
	v_and_b32_e32 v34, 0xff, v34
	v_or_b32_e32 v0, v0, v1
	v_or_b32_e32 v1, v2, v3
	v_lshlrev_b16 v33, 8, v33
	v_lshlrev_b16 v6, 8, v6
	v_or_b32_e32 v3, v34, v4
	v_and_b32_e32 v32, 0xff, v32
	v_lshlrev_b16 v31, 8, v31
	v_and_b32_e32 v30, 0xff, v30
	v_lshlrev_b16 v29, 8, v29
	v_lshlrev_b32_e32 v21, 16, v3
	v_cvt_i32_f32_e32 v16, v16
	v_or_b32_e32 v6, v20, v6
	v_or_b32_e32 v2, v32, v33
	;; [unrolled: 1-line block ×3, first 2 shown]
	v_lshlrev_b32_e32 v10, 16, v10
	v_lshlrev_b16 v16, 8, v16
	v_lshlrev_b32_e32 v6, 16, v6
	v_and_b32_e32 v0, 0xffff, v0
	v_lshlrev_b32_e32 v18, 16, v1
	v_and_b32_e32 v20, 0xffff, v2
	v_or_b32_e32 v16, v17, v16
	v_or_b32_e32 v17, v28, v29
	v_and_b32_e32 v4, 0xffff, v4
	v_lshlrev_b32_e32 v14, 16, v14
	v_lshlrev_b32_e32 v12, 16, v12
	;; [unrolled: 1-line block ×3, first 2 shown]
	v_and_b32_e32 v17, 0xffff, v17
	v_or_b32_e32 v3, v13, v10
	v_or_b32_e32 v2, v7, v11
	;; [unrolled: 1-line block ×8, first 2 shown]
	s_mov_b32 s7, -1
	s_mov_b32 s6, s0
	global_store_b32 v[8:9], v41, off
	buffer_store_b128 v[0:3], v19, s[4:7], 0 offen
	;;#ASMSTART
	s_nop 0
	;;#ASMEND
	buffer_store_b128 v[4:7], v19, s[4:7], 16 offen
	;;#ASMSTART
	s_nop 0
	;;#ASMEND
	s_nop 0
	s_sendmsg sendmsg(MSG_DEALLOC_VGPRS)
	s_endpgm
	.section	.rodata,"a",@progbits
	.p2align	6, 0x0
	.amdhsa_kernel _ZN5aiter37dynamic_per_group_scaled_quant_kernelItaLi32ELi32ELb1ELi64ELb0EEEvPT0_PfPKT_PKfliilPKii
		.amdhsa_group_segment_fixed_size 0
		.amdhsa_private_segment_fixed_size 0
		.amdhsa_kernarg_size 68
		.amdhsa_user_sgpr_count 15
		.amdhsa_user_sgpr_dispatch_ptr 0
		.amdhsa_user_sgpr_queue_ptr 0
		.amdhsa_user_sgpr_kernarg_segment_ptr 1
		.amdhsa_user_sgpr_dispatch_id 0
		.amdhsa_user_sgpr_private_segment_size 0
		.amdhsa_wavefront_size32 1
		.amdhsa_uses_dynamic_stack 0
		.amdhsa_enable_private_segment 0
		.amdhsa_system_sgpr_workgroup_id_x 1
		.amdhsa_system_sgpr_workgroup_id_y 0
		.amdhsa_system_sgpr_workgroup_id_z 0
		.amdhsa_system_sgpr_workgroup_info 0
		.amdhsa_system_vgpr_workitem_id 0
		.amdhsa_next_free_vgpr 45
		.amdhsa_next_free_sgpr 16
		.amdhsa_reserve_vcc 1
		.amdhsa_float_round_mode_32 0
		.amdhsa_float_round_mode_16_64 0
		.amdhsa_float_denorm_mode_32 3
		.amdhsa_float_denorm_mode_16_64 3
		.amdhsa_dx10_clamp 1
		.amdhsa_ieee_mode 1
		.amdhsa_fp16_overflow 0
		.amdhsa_workgroup_processor_mode 1
		.amdhsa_memory_ordered 1
		.amdhsa_forward_progress 0
		.amdhsa_shared_vgpr_count 0
		.amdhsa_exception_fp_ieee_invalid_op 0
		.amdhsa_exception_fp_denorm_src 0
		.amdhsa_exception_fp_ieee_div_zero 0
		.amdhsa_exception_fp_ieee_overflow 0
		.amdhsa_exception_fp_ieee_underflow 0
		.amdhsa_exception_fp_ieee_inexact 0
		.amdhsa_exception_int_div_zero 0
	.end_amdhsa_kernel
	.section	.text._ZN5aiter37dynamic_per_group_scaled_quant_kernelItaLi32ELi32ELb1ELi64ELb0EEEvPT0_PfPKT_PKfliilPKii,"axG",@progbits,_ZN5aiter37dynamic_per_group_scaled_quant_kernelItaLi32ELi32ELb1ELi64ELb0EEEvPT0_PfPKT_PKfliilPKii,comdat
.Lfunc_end13:
	.size	_ZN5aiter37dynamic_per_group_scaled_quant_kernelItaLi32ELi32ELb1ELi64ELb0EEEvPT0_PfPKT_PKfliilPKii, .Lfunc_end13-_ZN5aiter37dynamic_per_group_scaled_quant_kernelItaLi32ELi32ELb1ELi64ELb0EEEvPT0_PfPKT_PKfliilPKii
                                        ; -- End function
	.section	.AMDGPU.csdata,"",@progbits
; Kernel info:
; codeLenInByte = 2816
; NumSgprs: 18
; NumVgprs: 45
; ScratchSize: 0
; MemoryBound: 0
; FloatMode: 240
; IeeeMode: 1
; LDSByteSize: 0 bytes/workgroup (compile time only)
; SGPRBlocks: 2
; VGPRBlocks: 5
; NumSGPRsForWavesPerEU: 18
; NumVGPRsForWavesPerEU: 45
; Occupancy: 16
; WaveLimiterHint : 0
; COMPUTE_PGM_RSRC2:SCRATCH_EN: 0
; COMPUTE_PGM_RSRC2:USER_SGPR: 15
; COMPUTE_PGM_RSRC2:TRAP_HANDLER: 0
; COMPUTE_PGM_RSRC2:TGID_X_EN: 1
; COMPUTE_PGM_RSRC2:TGID_Y_EN: 0
; COMPUTE_PGM_RSRC2:TGID_Z_EN: 0
; COMPUTE_PGM_RSRC2:TIDIG_COMP_CNT: 0
	.section	.text._ZN5aiter37dynamic_per_group_scaled_quant_kernelIDF16_DB8_Li32ELi32ELb0ELi64ELb0EEEvPT0_PfPKT_PKfliilPKii,"axG",@progbits,_ZN5aiter37dynamic_per_group_scaled_quant_kernelIDF16_DB8_Li32ELi32ELb0ELi64ELb0EEEvPT0_PfPKT_PKfliilPKii,comdat
	.protected	_ZN5aiter37dynamic_per_group_scaled_quant_kernelIDF16_DB8_Li32ELi32ELb0ELi64ELb0EEEvPT0_PfPKT_PKfliilPKii ; -- Begin function _ZN5aiter37dynamic_per_group_scaled_quant_kernelIDF16_DB8_Li32ELi32ELb0ELi64ELb0EEEvPT0_PfPKT_PKfliilPKii
	.globl	_ZN5aiter37dynamic_per_group_scaled_quant_kernelIDF16_DB8_Li32ELi32ELb0ELi64ELb0EEEvPT0_PfPKT_PKfliilPKii
	.p2align	8
	.type	_ZN5aiter37dynamic_per_group_scaled_quant_kernelIDF16_DB8_Li32ELi32ELb0ELi64ELb0EEEvPT0_PfPKT_PKfliilPKii,@function
_ZN5aiter37dynamic_per_group_scaled_quant_kernelIDF16_DB8_Li32ELi32ELb0ELi64ELb0EEEvPT0_PfPKT_PKfliilPKii: ; @_ZN5aiter37dynamic_per_group_scaled_quant_kernelIDF16_DB8_Li32ELi32ELb0ELi64ELb0EEEvPT0_PfPKT_PKfliilPKii
; %bb.0:
	s_load_b64 s[2:3], s[0:1], 0x38
	s_mov_b32 s8, s15
	s_waitcnt lgkmcnt(0)
	s_cmp_eq_u64 s[2:3], 0
	s_cbranch_scc1 .LBB14_2
; %bb.1:
	s_load_b32 s4, s[0:1], 0x40
	s_load_b32 s2, s[2:3], 0x0
	s_waitcnt lgkmcnt(0)
	s_mul_hi_i32 s5, s2, s4
	s_mul_i32 s4, s2, s4
	s_branch .LBB14_3
.LBB14_2:
	s_load_b64 s[4:5], s[0:1], 0x20
.LBB14_3:
	s_load_b64 s[2:3], s[0:1], 0x28
	s_mov_b32 s9, 0
                                        ; implicit-def: $vgpr2_vgpr3
	s_delay_alu instid0(SALU_CYCLE_1) | instskip(NEXT) | instid1(SALU_CYCLE_1)
	s_lshl_b64 s[10:11], s[8:9], 6
	v_or_b32_e32 v0, s10, v0
	v_mov_b32_e32 v1, s11
	s_waitcnt lgkmcnt(0)
	s_ashr_i32 s6, s2, 31
	s_delay_alu instid0(SALU_CYCLE_1) | instskip(NEXT) | instid1(SALU_CYCLE_1)
	s_lshr_b32 s6, s6, 27
	s_add_i32 s2, s2, s6
	s_delay_alu instid0(SALU_CYCLE_1) | instskip(NEXT) | instid1(SALU_CYCLE_1)
	s_ashr_i32 s6, s2, 5
	s_ashr_i32 s7, s6, 31
	s_delay_alu instid0(SALU_CYCLE_1) | instskip(SKIP_1) | instid1(SALU_CYCLE_1)
	s_or_b64 s[12:13], s[10:11], s[6:7]
	s_mov_b32 s12, s9
	s_cmp_lg_u64 s[12:13], 0
	s_cselect_b32 s2, -1, 0
	s_delay_alu instid0(SALU_CYCLE_1) | instskip(NEXT) | instid1(SALU_CYCLE_1)
	s_and_saveexec_b32 s8, s2
	s_xor_b32 s12, exec_lo, s8
	s_cbranch_execnz .LBB14_7
; %bb.4:
	s_and_not1_saveexec_b32 s2, s12
	s_cbranch_execnz .LBB14_8
.LBB14_5:
	s_or_b32 exec_lo, exec_lo, s2
	s_delay_alu instid0(SALU_CYCLE_1)
	s_mov_b32 s2, exec_lo
	v_cmpx_gt_i64_e64 s[4:5], v[2:3]
	s_cbranch_execnz .LBB14_9
.LBB14_6:
	s_endpgm
.LBB14_7:
	s_add_u32 s10, s6, s7
	s_mov_b32 s8, s7
	s_mov_b32 s9, s7
	s_addc_u32 s11, s7, s7
	s_delay_alu instid0(SALU_CYCLE_1) | instskip(NEXT) | instid1(SALU_CYCLE_1)
	s_xor_b64 s[10:11], s[10:11], s[8:9]
	v_cvt_f32_u32_e32 v2, s10
	v_cvt_f32_u32_e32 v3, s11
	s_sub_u32 s2, 0, s10
	s_subb_u32 s7, 0, s11
	s_delay_alu instid0(VALU_DEP_1) | instskip(NEXT) | instid1(VALU_DEP_1)
	v_fmamk_f32 v2, v3, 0x4f800000, v2
	v_rcp_f32_e32 v2, v2
	s_waitcnt_depctr 0xfff
	v_mul_f32_e32 v2, 0x5f7ffffc, v2
	s_delay_alu instid0(VALU_DEP_1) | instskip(NEXT) | instid1(VALU_DEP_1)
	v_mul_f32_e32 v3, 0x2f800000, v2
	v_trunc_f32_e32 v3, v3
	s_delay_alu instid0(VALU_DEP_1) | instskip(SKIP_1) | instid1(VALU_DEP_2)
	v_fmamk_f32 v2, v3, 0xcf800000, v2
	v_cvt_u32_f32_e32 v3, v3
	v_cvt_u32_f32_e32 v2, v2
	s_delay_alu instid0(VALU_DEP_2) | instskip(NEXT) | instid1(VALU_DEP_2)
	v_mul_lo_u32 v4, s2, v3
	v_mul_hi_u32 v5, s2, v2
	v_mul_lo_u32 v6, s7, v2
	s_delay_alu instid0(VALU_DEP_2) | instskip(SKIP_1) | instid1(VALU_DEP_2)
	v_add_nc_u32_e32 v4, v5, v4
	v_mul_lo_u32 v5, s2, v2
	v_add_nc_u32_e32 v4, v4, v6
	s_delay_alu instid0(VALU_DEP_2) | instskip(NEXT) | instid1(VALU_DEP_2)
	v_mul_hi_u32 v6, v2, v5
	v_mul_lo_u32 v7, v2, v4
	v_mul_hi_u32 v8, v2, v4
	v_mul_hi_u32 v9, v3, v5
	v_mul_lo_u32 v5, v3, v5
	v_mul_hi_u32 v10, v3, v4
	v_mul_lo_u32 v4, v3, v4
	v_add_co_u32 v6, vcc_lo, v6, v7
	v_add_co_ci_u32_e32 v7, vcc_lo, 0, v8, vcc_lo
	s_delay_alu instid0(VALU_DEP_2) | instskip(NEXT) | instid1(VALU_DEP_2)
	v_add_co_u32 v5, vcc_lo, v6, v5
	v_add_co_ci_u32_e32 v5, vcc_lo, v7, v9, vcc_lo
	v_add_co_ci_u32_e32 v6, vcc_lo, 0, v10, vcc_lo
	s_delay_alu instid0(VALU_DEP_2) | instskip(NEXT) | instid1(VALU_DEP_2)
	v_add_co_u32 v4, vcc_lo, v5, v4
	v_add_co_ci_u32_e32 v5, vcc_lo, 0, v6, vcc_lo
	s_delay_alu instid0(VALU_DEP_2) | instskip(NEXT) | instid1(VALU_DEP_2)
	v_add_co_u32 v2, vcc_lo, v2, v4
	v_add_co_ci_u32_e32 v3, vcc_lo, v3, v5, vcc_lo
	s_delay_alu instid0(VALU_DEP_2) | instskip(SKIP_1) | instid1(VALU_DEP_3)
	v_mul_hi_u32 v4, s2, v2
	v_mul_lo_u32 v6, s7, v2
	v_mul_lo_u32 v5, s2, v3
	s_delay_alu instid0(VALU_DEP_1) | instskip(SKIP_1) | instid1(VALU_DEP_2)
	v_add_nc_u32_e32 v4, v4, v5
	v_mul_lo_u32 v5, s2, v2
	v_add_nc_u32_e32 v4, v4, v6
	s_delay_alu instid0(VALU_DEP_2) | instskip(NEXT) | instid1(VALU_DEP_2)
	v_mul_hi_u32 v6, v2, v5
	v_mul_lo_u32 v7, v2, v4
	v_mul_hi_u32 v8, v2, v4
	v_mul_hi_u32 v9, v3, v5
	v_mul_lo_u32 v5, v3, v5
	v_mul_hi_u32 v10, v3, v4
	v_mul_lo_u32 v4, v3, v4
	v_add_co_u32 v6, vcc_lo, v6, v7
	v_add_co_ci_u32_e32 v7, vcc_lo, 0, v8, vcc_lo
	s_delay_alu instid0(VALU_DEP_2) | instskip(NEXT) | instid1(VALU_DEP_2)
	v_add_co_u32 v5, vcc_lo, v6, v5
	v_add_co_ci_u32_e32 v5, vcc_lo, v7, v9, vcc_lo
	v_add_co_ci_u32_e32 v6, vcc_lo, 0, v10, vcc_lo
	s_delay_alu instid0(VALU_DEP_2) | instskip(NEXT) | instid1(VALU_DEP_2)
	v_add_co_u32 v4, vcc_lo, v5, v4
	v_add_co_ci_u32_e32 v5, vcc_lo, 0, v6, vcc_lo
	s_delay_alu instid0(VALU_DEP_2) | instskip(NEXT) | instid1(VALU_DEP_2)
	v_add_co_u32 v6, vcc_lo, v2, v4
	v_add_co_ci_u32_e32 v8, vcc_lo, v3, v5, vcc_lo
	s_delay_alu instid0(VALU_DEP_2) | instskip(SKIP_1) | instid1(VALU_DEP_3)
	v_mul_hi_u32 v9, v0, v6
	v_mad_u64_u32 v[4:5], null, v1, v6, 0
	v_mad_u64_u32 v[2:3], null, v0, v8, 0
	;; [unrolled: 1-line block ×3, first 2 shown]
	s_delay_alu instid0(VALU_DEP_2) | instskip(NEXT) | instid1(VALU_DEP_3)
	v_add_co_u32 v2, vcc_lo, v9, v2
	v_add_co_ci_u32_e32 v3, vcc_lo, 0, v3, vcc_lo
	s_delay_alu instid0(VALU_DEP_2) | instskip(NEXT) | instid1(VALU_DEP_2)
	v_add_co_u32 v2, vcc_lo, v2, v4
	v_add_co_ci_u32_e32 v2, vcc_lo, v3, v5, vcc_lo
	v_add_co_ci_u32_e32 v3, vcc_lo, 0, v7, vcc_lo
	s_delay_alu instid0(VALU_DEP_2) | instskip(NEXT) | instid1(VALU_DEP_2)
	v_add_co_u32 v4, vcc_lo, v2, v6
	v_add_co_ci_u32_e32 v5, vcc_lo, 0, v3, vcc_lo
	s_delay_alu instid0(VALU_DEP_2) | instskip(SKIP_1) | instid1(VALU_DEP_3)
	v_mul_lo_u32 v6, s11, v4
	v_mad_u64_u32 v[2:3], null, s10, v4, 0
	v_mul_lo_u32 v7, s10, v5
	s_delay_alu instid0(VALU_DEP_2) | instskip(NEXT) | instid1(VALU_DEP_2)
	v_sub_co_u32 v2, vcc_lo, v0, v2
	v_add3_u32 v3, v3, v7, v6
	s_delay_alu instid0(VALU_DEP_1) | instskip(NEXT) | instid1(VALU_DEP_1)
	v_sub_nc_u32_e32 v6, v1, v3
	v_subrev_co_ci_u32_e64 v6, s2, s11, v6, vcc_lo
	v_add_co_u32 v7, s2, v4, 2
	s_delay_alu instid0(VALU_DEP_1) | instskip(SKIP_3) | instid1(VALU_DEP_3)
	v_add_co_ci_u32_e64 v8, s2, 0, v5, s2
	v_sub_co_u32 v9, s2, v2, s10
	v_sub_co_ci_u32_e32 v3, vcc_lo, v1, v3, vcc_lo
	v_subrev_co_ci_u32_e64 v6, s2, 0, v6, s2
	v_cmp_le_u32_e32 vcc_lo, s10, v9
	s_delay_alu instid0(VALU_DEP_3) | instskip(SKIP_1) | instid1(VALU_DEP_4)
	v_cmp_eq_u32_e64 s2, s11, v3
	v_cndmask_b32_e64 v9, 0, -1, vcc_lo
	v_cmp_le_u32_e32 vcc_lo, s11, v6
	v_cndmask_b32_e64 v10, 0, -1, vcc_lo
	v_cmp_le_u32_e32 vcc_lo, s10, v2
	;; [unrolled: 2-line block ×3, first 2 shown]
	v_cndmask_b32_e64 v11, 0, -1, vcc_lo
	v_cmp_eq_u32_e32 vcc_lo, s11, v6
	s_delay_alu instid0(VALU_DEP_2) | instskip(SKIP_3) | instid1(VALU_DEP_3)
	v_cndmask_b32_e64 v2, v11, v2, s2
	v_cndmask_b32_e32 v6, v10, v9, vcc_lo
	v_add_co_u32 v9, vcc_lo, v4, 1
	v_add_co_ci_u32_e32 v10, vcc_lo, 0, v5, vcc_lo
	v_cmp_ne_u32_e32 vcc_lo, 0, v6
	s_delay_alu instid0(VALU_DEP_2) | instskip(SKIP_1) | instid1(VALU_DEP_2)
	v_dual_cndmask_b32 v3, v10, v8 :: v_dual_cndmask_b32 v6, v9, v7
	v_cmp_ne_u32_e32 vcc_lo, 0, v2
	v_dual_cndmask_b32 v2, v5, v3 :: v_dual_cndmask_b32 v3, v4, v6
	s_delay_alu instid0(VALU_DEP_1) | instskip(NEXT) | instid1(VALU_DEP_2)
	v_xor_b32_e32 v4, s9, v2
	v_xor_b32_e32 v3, s8, v3
	s_delay_alu instid0(VALU_DEP_1) | instskip(NEXT) | instid1(VALU_DEP_3)
	v_sub_co_u32 v2, vcc_lo, v3, s8
	v_subrev_co_ci_u32_e32 v3, vcc_lo, s9, v4, vcc_lo
	s_and_not1_saveexec_b32 s2, s12
	s_cbranch_execz .LBB14_5
.LBB14_8:
	v_cvt_f32_u32_e32 v2, s6
	s_sub_i32 s7, 0, s6
	s_delay_alu instid0(VALU_DEP_1) | instskip(SKIP_2) | instid1(VALU_DEP_1)
	v_rcp_iflag_f32_e32 v2, v2
	s_waitcnt_depctr 0xfff
	v_mul_f32_e32 v2, 0x4f7ffffe, v2
	v_cvt_u32_f32_e32 v2, v2
	s_delay_alu instid0(VALU_DEP_1) | instskip(NEXT) | instid1(VALU_DEP_1)
	v_mul_lo_u32 v3, s7, v2
	v_mul_hi_u32 v3, v2, v3
	s_delay_alu instid0(VALU_DEP_1) | instskip(NEXT) | instid1(VALU_DEP_1)
	v_add_nc_u32_e32 v2, v2, v3
	v_mul_hi_u32 v2, v0, v2
	s_delay_alu instid0(VALU_DEP_1) | instskip(SKIP_1) | instid1(VALU_DEP_2)
	v_mul_lo_u32 v3, v2, s6
	v_add_nc_u32_e32 v4, 1, v2
	v_sub_nc_u32_e32 v3, v0, v3
	s_delay_alu instid0(VALU_DEP_1) | instskip(SKIP_1) | instid1(VALU_DEP_2)
	v_subrev_nc_u32_e32 v5, s6, v3
	v_cmp_le_u32_e32 vcc_lo, s6, v3
	v_dual_cndmask_b32 v3, v3, v5 :: v_dual_cndmask_b32 v2, v2, v4
	s_delay_alu instid0(VALU_DEP_1) | instskip(NEXT) | instid1(VALU_DEP_2)
	v_cmp_le_u32_e32 vcc_lo, s6, v3
	v_dual_mov_b32 v3, 0 :: v_dual_add_nc_u32 v4, 1, v2
	s_delay_alu instid0(VALU_DEP_1) | instskip(SKIP_1) | instid1(SALU_CYCLE_1)
	v_cndmask_b32_e32 v2, v2, v4, vcc_lo
	s_or_b32 exec_lo, exec_lo, s2
	s_mov_b32 s2, exec_lo
	s_delay_alu instid0(VALU_DEP_1)
	v_cmpx_gt_i64_e64 s[4:5], v[2:3]
	s_cbranch_execz .LBB14_6
.LBB14_9:
	s_ashr_i32 s2, s3, 31
	s_load_b64 s[4:5], s[0:1], 0x10
	v_mul_lo_u32 v5, v2, s6
	v_mul_lo_u32 v6, v3, s3
	v_mad_u64_u32 v[3:4], null, v2, s3, 0
	v_mul_lo_u32 v2, v2, s2
	v_mov_b32_e32 v39, 0xc3e00000
	v_sub_nc_u32_e32 v5, v0, v5
	s_delay_alu instid0(VALU_DEP_3) | instskip(NEXT) | instid1(VALU_DEP_2)
	v_add3_u32 v4, v4, v2, v6
	v_dual_mov_b32 v6, 0 :: v_dual_lshlrev_b32 v5, 5, v5
	s_delay_alu instid0(VALU_DEP_2) | instskip(NEXT) | instid1(VALU_DEP_2)
	v_lshlrev_b64 v[2:3], 1, v[3:4]
	v_lshlrev_b64 v[4:5], 1, v[5:6]
	s_waitcnt lgkmcnt(0)
	s_delay_alu instid0(VALU_DEP_2) | instskip(NEXT) | instid1(VALU_DEP_3)
	v_add_co_u32 v2, vcc_lo, s4, v2
	v_add_co_ci_u32_e32 v3, vcc_lo, s5, v3, vcc_lo
	s_load_b128 s[4:7], s[0:1], 0x0
	s_delay_alu instid0(VALU_DEP_2) | instskip(NEXT) | instid1(VALU_DEP_2)
	v_add_co_u32 v14, vcc_lo, v2, v4
	v_add_co_ci_u32_e32 v15, vcc_lo, v3, v5, vcc_lo
	s_clause 0x3
	global_load_b128 v[2:5], v[14:15], off
	global_load_b128 v[6:9], v[14:15], off offset:16
	global_load_b128 v[10:13], v[14:15], off offset:32
	;; [unrolled: 1-line block ×3, first 2 shown]
	s_load_b32 s0, s[0:1], 0x30
	s_waitcnt lgkmcnt(0)
	s_and_b32 s5, s5, 0xffff
	s_waitcnt vmcnt(3)
	v_lshrrev_b32_e32 v20, 16, v2
	v_cvt_f32_f16_e64 v18, |v2|
	v_lshrrev_b32_e32 v21, 16, v3
	v_cvt_f32_f16_e64 v22, |v3|
	;; [unrolled: 2-line block ×4, first 2 shown]
	v_cvt_f32_f16_e32 v2, v2
	v_cvt_f32_f16_e64 v26, |v23|
	v_max3_f32 v18, v18, 0x2edbe6ff, v19
	v_cvt_f32_f16_e64 v19, |v4|
	v_cvt_f32_f16_e64 v27, |v25|
	v_cvt_f32_f16_e32 v20, v20
	v_cvt_f32_f16_e32 v3, v3
	v_max3_f32 v18, v18, v22, v24
	v_cvt_f32_f16_e64 v22, |v5|
	s_waitcnt vmcnt(2)
	v_lshrrev_b32_e32 v24, 16, v6
	v_cvt_f32_f16_e32 v21, v21
	v_cvt_f32_f16_e32 v25, v25
	v_max3_f32 v18, v18, v19, v26
	v_cvt_f32_f16_e64 v19, |v6|
	v_lshrrev_b32_e32 v26, 16, v7
	v_cvt_f32_f16_e64 v28, |v24|
	v_cvt_f32_f16_e32 v4, v4
	v_max3_f32 v18, v18, v22, v27
	v_cvt_f32_f16_e64 v22, |v7|
	v_lshrrev_b32_e32 v27, 16, v8
	v_cvt_f32_f16_e64 v29, |v26|
	;; [unrolled: 5-line block ×3, first 2 shown]
	v_cvt_f32_f16_e32 v6, v6
	v_max3_f32 v18, v18, v22, v29
	v_cvt_f32_f16_e64 v22, |v9|
	s_waitcnt vmcnt(1)
	v_lshrrev_b32_e32 v29, 16, v10
	v_cvt_f32_f16_e64 v31, |v28|
	v_cvt_f32_f16_e32 v28, v28
	v_max3_f32 v18, v18, v19, v30
	v_cvt_f32_f16_e64 v19, |v10|
	v_lshrrev_b32_e32 v30, 16, v11
	v_cvt_f32_f16_e64 v32, |v29|
	v_cvt_f32_f16_e32 v23, v23
	v_max3_f32 v18, v18, v22, v31
	v_cvt_f32_f16_e64 v22, |v11|
	;; [unrolled: 5-line block ×4, first 2 shown]
	s_waitcnt vmcnt(0)
	v_lshrrev_b32_e32 v33, 16, v14
	v_cvt_f32_f16_e64 v35, |v32|
	v_cvt_f32_f16_e32 v26, v26
	v_max3_f32 v18, v18, v19, v34
	v_cvt_f32_f16_e64 v19, |v14|
	v_lshrrev_b32_e32 v34, 16, v15
	v_cvt_f32_f16_e64 v36, |v33|
	v_cvt_f32_f16_e32 v8, v8
	v_max3_f32 v18, v18, v22, v35
	v_cvt_f32_f16_e64 v22, |v15|
	;; [unrolled: 5-line block ×4, first 2 shown]
	v_cvt_f32_f16_e64 v37, |v36|
	v_cvt_f32_f16_e32 v10, v10
	v_cvt_f32_f16_e32 v29, v29
	v_max3_f32 v18, v18, v19, v38
	v_lshlrev_b32_e32 v38, 5, v0
	v_cvt_f32_f16_e32 v11, v11
	v_cvt_f32_f16_e32 v12, v12
	;; [unrolled: 1-line block ×3, first 2 shown]
	v_max3_f32 v18, v18, v22, v37
	v_cvt_f32_f16_e32 v14, v14
	v_cvt_f32_f16_e32 v15, v15
	;; [unrolled: 1-line block ×4, first 2 shown]
	v_mul_f32_e32 v22, 0x3b124925, v18
	v_lshlrev_b64 v[18:19], 2, v[0:1]
	s_delay_alu instid0(VALU_DEP_2) | instskip(NEXT) | instid1(VALU_DEP_2)
	v_div_scale_f32 v37, null, v22, v22, 1.0
	v_add_co_u32 v0, vcc_lo, s6, v18
	s_delay_alu instid0(VALU_DEP_3) | instskip(NEXT) | instid1(VALU_DEP_3)
	v_add_co_ci_u32_e32 v1, vcc_lo, s7, v19, vcc_lo
	v_rcp_f32_e32 v41, v37
	s_mov_b32 s7, -1
	s_mov_b32 s6, s0
	s_waitcnt_depctr 0xfff
	v_fma_f32 v18, -v37, v41, 1.0
	s_delay_alu instid0(VALU_DEP_1) | instskip(SKIP_3) | instid1(VALU_DEP_1)
	v_fmac_f32_e32 v41, v18, v41
	v_div_scale_f32 v19, vcc_lo, 1.0, v22, 1.0
	global_store_b32 v[0:1], v22, off
	v_mul_f32_e32 v18, v19, v41
	v_fma_f32 v42, -v37, v18, v19
	s_delay_alu instid0(VALU_DEP_1) | instskip(NEXT) | instid1(VALU_DEP_1)
	v_fmac_f32_e32 v18, v42, v41
	v_fma_f32 v19, -v37, v18, v19
	s_delay_alu instid0(VALU_DEP_1)
	v_div_fmas_f32 v18, v19, v41, v18
	v_cvt_f32_f16_e32 v19, v30
	v_cvt_f32_f16_e32 v30, v31
	;; [unrolled: 1-line block ×4, first 2 shown]
	v_div_fixup_f32 v18, v18, v22, 1.0
	v_mov_b32_e32 v40, 0x43e00000
	v_cvt_f32_f16_e32 v33, v34
	v_cvt_f32_f16_e32 v34, v35
	;; [unrolled: 1-line block ×3, first 2 shown]
	v_mul_f32_e32 v1, v18, v20
	v_mul_f32_e32 v0, v18, v2
	;; [unrolled: 1-line block ×7, first 2 shown]
	;;#ASMSTART
	v_med3_f32 v0, v0, v39, v40
v_med3_f32 v1, v1, v39, v40
v_cvt_pk_fp8_f32 v31, v0, v1
	;;#ASMEND
	v_mul_f32_e32 v4, v18, v4
	v_mul_f32_e32 v20, v18, v23
	;; [unrolled: 1-line block ×5, first 2 shown]
	;;#ASMSTART
	v_med3_f32 v2, v2, v39, v40
v_med3_f32 v3, v3, v39, v40
v_cvt_pk_fp8_f32 v0, v2, v3
	;;#ASMEND
	;;#ASMSTART
	v_med3_f32 v4, v4, v39, v40
v_med3_f32 v20, v20, v39, v40
v_cvt_pk_fp8_f32 v1, v4, v20
	;;#ASMEND
	;; [unrolled: 5-line block ×4, first 2 shown]
	v_perm_b32 v6, v0, v31, 0x5040100
	v_mul_f32_e32 v7, v18, v7
	v_mul_f32_e32 v23, v18, v26
	;; [unrolled: 1-line block ×5, first 2 shown]
	;;#ASMSTART
	v_med3_f32 v7, v7, v39, v40
v_med3_f32 v23, v23, v39, v40
v_cvt_pk_fp8_f32 v4, v7, v23
	;;#ASMEND
	;;#ASMSTART
	v_med3_f32 v8, v8, v39, v40
v_med3_f32 v24, v24, v39, v40
v_cvt_pk_fp8_f32 v5, v8, v24
	;;#ASMEND
	;; [unrolled: 5-line block ×3, first 2 shown]
	v_perm_b32 v1, v1, v2, 0x1000504
	v_perm_b32 v2, v3, v4, 0x1000504
	;; [unrolled: 1-line block ×4, first 2 shown]
	v_mul_f32_e32 v10, v18, v10
	v_mul_f32_e32 v26, v18, v29
	;; [unrolled: 1-line block ×4, first 2 shown]
	buffer_store_b128 v[0:3], v38, s[4:7], 0 offen
	;;#ASMSTART
	s_nop 0
	;;#ASMEND
	;;#ASMSTART
	v_med3_f32 v10, v10, v39, v40
v_med3_f32 v26, v26, v39, v40
v_cvt_pk_fp8_f32 v0, v10, v26
	;;#ASMEND
	;;#ASMSTART
	v_med3_f32 v11, v11, v39, v40
v_med3_f32 v19, v19, v39, v40
v_cvt_pk_fp8_f32 v8, v11, v19
	;;#ASMEND
	v_perm_b32 v0, v8, v0, 0x5040100
	v_mul_f32_e32 v12, v18, v12
	v_mul_f32_e32 v27, v18, v30
	;; [unrolled: 1-line block ×11, first 2 shown]
	;;#ASMSTART
	v_med3_f32 v12, v12, v39, v40
v_med3_f32 v27, v27, v39, v40
v_cvt_pk_fp8_f32 v1, v12, v27
	;;#ASMEND
	;;#ASMSTART
	v_med3_f32 v13, v13, v39, v40
v_med3_f32 v28, v28, v39, v40
v_cvt_pk_fp8_f32 v2, v13, v28
	;;#ASMEND
	;; [unrolled: 5-line block ×6, first 2 shown]
	v_perm_b32 v1, v1, v2, 0x1000504
	v_perm_b32 v2, v3, v9, 0x1000504
	;; [unrolled: 1-line block ×4, first 2 shown]
	buffer_store_b128 v[0:3], v38, s[4:7], 16 offen
	;;#ASMSTART
	s_nop 0
	;;#ASMEND
	s_nop 0
	s_sendmsg sendmsg(MSG_DEALLOC_VGPRS)
	s_endpgm
	.section	.rodata,"a",@progbits
	.p2align	6, 0x0
	.amdhsa_kernel _ZN5aiter37dynamic_per_group_scaled_quant_kernelIDF16_DB8_Li32ELi32ELb0ELi64ELb0EEEvPT0_PfPKT_PKfliilPKii
		.amdhsa_group_segment_fixed_size 0
		.amdhsa_private_segment_fixed_size 0
		.amdhsa_kernarg_size 68
		.amdhsa_user_sgpr_count 15
		.amdhsa_user_sgpr_dispatch_ptr 0
		.amdhsa_user_sgpr_queue_ptr 0
		.amdhsa_user_sgpr_kernarg_segment_ptr 1
		.amdhsa_user_sgpr_dispatch_id 0
		.amdhsa_user_sgpr_private_segment_size 0
		.amdhsa_wavefront_size32 1
		.amdhsa_uses_dynamic_stack 0
		.amdhsa_enable_private_segment 0
		.amdhsa_system_sgpr_workgroup_id_x 1
		.amdhsa_system_sgpr_workgroup_id_y 0
		.amdhsa_system_sgpr_workgroup_id_z 0
		.amdhsa_system_sgpr_workgroup_info 0
		.amdhsa_system_vgpr_workitem_id 0
		.amdhsa_next_free_vgpr 43
		.amdhsa_next_free_sgpr 16
		.amdhsa_reserve_vcc 1
		.amdhsa_float_round_mode_32 0
		.amdhsa_float_round_mode_16_64 0
		.amdhsa_float_denorm_mode_32 3
		.amdhsa_float_denorm_mode_16_64 3
		.amdhsa_dx10_clamp 1
		.amdhsa_ieee_mode 1
		.amdhsa_fp16_overflow 0
		.amdhsa_workgroup_processor_mode 1
		.amdhsa_memory_ordered 1
		.amdhsa_forward_progress 0
		.amdhsa_shared_vgpr_count 0
		.amdhsa_exception_fp_ieee_invalid_op 0
		.amdhsa_exception_fp_denorm_src 0
		.amdhsa_exception_fp_ieee_div_zero 0
		.amdhsa_exception_fp_ieee_overflow 0
		.amdhsa_exception_fp_ieee_underflow 0
		.amdhsa_exception_fp_ieee_inexact 0
		.amdhsa_exception_int_div_zero 0
	.end_amdhsa_kernel
	.section	.text._ZN5aiter37dynamic_per_group_scaled_quant_kernelIDF16_DB8_Li32ELi32ELb0ELi64ELb0EEEvPT0_PfPKT_PKfliilPKii,"axG",@progbits,_ZN5aiter37dynamic_per_group_scaled_quant_kernelIDF16_DB8_Li32ELi32ELb0ELi64ELb0EEEvPT0_PfPKT_PKfliilPKii,comdat
.Lfunc_end14:
	.size	_ZN5aiter37dynamic_per_group_scaled_quant_kernelIDF16_DB8_Li32ELi32ELb0ELi64ELb0EEEvPT0_PfPKT_PKfliilPKii, .Lfunc_end14-_ZN5aiter37dynamic_per_group_scaled_quant_kernelIDF16_DB8_Li32ELi32ELb0ELi64ELb0EEEvPT0_PfPKT_PKfliilPKii
                                        ; -- End function
	.section	.AMDGPU.csdata,"",@progbits
; Kernel info:
; codeLenInByte = 3368
; NumSgprs: 18
; NumVgprs: 43
; ScratchSize: 0
; MemoryBound: 0
; FloatMode: 240
; IeeeMode: 1
; LDSByteSize: 0 bytes/workgroup (compile time only)
; SGPRBlocks: 2
; VGPRBlocks: 5
; NumSGPRsForWavesPerEU: 18
; NumVGPRsForWavesPerEU: 43
; Occupancy: 16
; WaveLimiterHint : 0
; COMPUTE_PGM_RSRC2:SCRATCH_EN: 0
; COMPUTE_PGM_RSRC2:USER_SGPR: 15
; COMPUTE_PGM_RSRC2:TRAP_HANDLER: 0
; COMPUTE_PGM_RSRC2:TGID_X_EN: 1
; COMPUTE_PGM_RSRC2:TGID_Y_EN: 0
; COMPUTE_PGM_RSRC2:TGID_Z_EN: 0
; COMPUTE_PGM_RSRC2:TIDIG_COMP_CNT: 0
	.section	.text._ZN5aiter37dynamic_per_group_scaled_quant_kernelItDB8_Li32ELi32ELb0ELi64ELb0EEEvPT0_PfPKT_PKfliilPKii,"axG",@progbits,_ZN5aiter37dynamic_per_group_scaled_quant_kernelItDB8_Li32ELi32ELb0ELi64ELb0EEEvPT0_PfPKT_PKfliilPKii,comdat
	.protected	_ZN5aiter37dynamic_per_group_scaled_quant_kernelItDB8_Li32ELi32ELb0ELi64ELb0EEEvPT0_PfPKT_PKfliilPKii ; -- Begin function _ZN5aiter37dynamic_per_group_scaled_quant_kernelItDB8_Li32ELi32ELb0ELi64ELb0EEEvPT0_PfPKT_PKfliilPKii
	.globl	_ZN5aiter37dynamic_per_group_scaled_quant_kernelItDB8_Li32ELi32ELb0ELi64ELb0EEEvPT0_PfPKT_PKfliilPKii
	.p2align	8
	.type	_ZN5aiter37dynamic_per_group_scaled_quant_kernelItDB8_Li32ELi32ELb0ELi64ELb0EEEvPT0_PfPKT_PKfliilPKii,@function
_ZN5aiter37dynamic_per_group_scaled_quant_kernelItDB8_Li32ELi32ELb0ELi64ELb0EEEvPT0_PfPKT_PKfliilPKii: ; @_ZN5aiter37dynamic_per_group_scaled_quant_kernelItDB8_Li32ELi32ELb0ELi64ELb0EEEvPT0_PfPKT_PKfliilPKii
; %bb.0:
	s_load_b64 s[2:3], s[0:1], 0x38
	s_mov_b32 s8, s15
	s_waitcnt lgkmcnt(0)
	s_cmp_eq_u64 s[2:3], 0
	s_cbranch_scc1 .LBB15_2
; %bb.1:
	s_load_b32 s4, s[0:1], 0x40
	s_load_b32 s2, s[2:3], 0x0
	s_waitcnt lgkmcnt(0)
	s_mul_hi_i32 s5, s2, s4
	s_mul_i32 s4, s2, s4
	s_branch .LBB15_3
.LBB15_2:
	s_load_b64 s[4:5], s[0:1], 0x20
.LBB15_3:
	s_load_b64 s[2:3], s[0:1], 0x28
	s_mov_b32 s9, 0
                                        ; implicit-def: $vgpr2_vgpr3
	s_delay_alu instid0(SALU_CYCLE_1) | instskip(NEXT) | instid1(SALU_CYCLE_1)
	s_lshl_b64 s[10:11], s[8:9], 6
	v_or_b32_e32 v0, s10, v0
	v_mov_b32_e32 v1, s11
	s_waitcnt lgkmcnt(0)
	s_ashr_i32 s6, s2, 31
	s_delay_alu instid0(SALU_CYCLE_1) | instskip(NEXT) | instid1(SALU_CYCLE_1)
	s_lshr_b32 s6, s6, 27
	s_add_i32 s2, s2, s6
	s_delay_alu instid0(SALU_CYCLE_1) | instskip(NEXT) | instid1(SALU_CYCLE_1)
	s_ashr_i32 s6, s2, 5
	s_ashr_i32 s7, s6, 31
	s_delay_alu instid0(SALU_CYCLE_1) | instskip(SKIP_1) | instid1(SALU_CYCLE_1)
	s_or_b64 s[12:13], s[10:11], s[6:7]
	s_mov_b32 s12, s9
	s_cmp_lg_u64 s[12:13], 0
	s_cselect_b32 s2, -1, 0
	s_delay_alu instid0(SALU_CYCLE_1) | instskip(NEXT) | instid1(SALU_CYCLE_1)
	s_and_saveexec_b32 s8, s2
	s_xor_b32 s12, exec_lo, s8
	s_cbranch_execnz .LBB15_7
; %bb.4:
	s_and_not1_saveexec_b32 s2, s12
	s_cbranch_execnz .LBB15_8
.LBB15_5:
	s_or_b32 exec_lo, exec_lo, s2
	s_delay_alu instid0(SALU_CYCLE_1)
	s_mov_b32 s2, exec_lo
	v_cmpx_gt_i64_e64 s[4:5], v[2:3]
	s_cbranch_execnz .LBB15_9
.LBB15_6:
	s_endpgm
.LBB15_7:
	s_add_u32 s10, s6, s7
	s_mov_b32 s8, s7
	s_mov_b32 s9, s7
	s_addc_u32 s11, s7, s7
	s_delay_alu instid0(SALU_CYCLE_1) | instskip(NEXT) | instid1(SALU_CYCLE_1)
	s_xor_b64 s[10:11], s[10:11], s[8:9]
	v_cvt_f32_u32_e32 v2, s10
	v_cvt_f32_u32_e32 v3, s11
	s_sub_u32 s2, 0, s10
	s_subb_u32 s7, 0, s11
	s_delay_alu instid0(VALU_DEP_1) | instskip(NEXT) | instid1(VALU_DEP_1)
	v_fmamk_f32 v2, v3, 0x4f800000, v2
	v_rcp_f32_e32 v2, v2
	s_waitcnt_depctr 0xfff
	v_mul_f32_e32 v2, 0x5f7ffffc, v2
	s_delay_alu instid0(VALU_DEP_1) | instskip(NEXT) | instid1(VALU_DEP_1)
	v_mul_f32_e32 v3, 0x2f800000, v2
	v_trunc_f32_e32 v3, v3
	s_delay_alu instid0(VALU_DEP_1) | instskip(SKIP_1) | instid1(VALU_DEP_2)
	v_fmamk_f32 v2, v3, 0xcf800000, v2
	v_cvt_u32_f32_e32 v3, v3
	v_cvt_u32_f32_e32 v2, v2
	s_delay_alu instid0(VALU_DEP_2) | instskip(NEXT) | instid1(VALU_DEP_2)
	v_mul_lo_u32 v4, s2, v3
	v_mul_hi_u32 v5, s2, v2
	v_mul_lo_u32 v6, s7, v2
	s_delay_alu instid0(VALU_DEP_2) | instskip(SKIP_1) | instid1(VALU_DEP_2)
	v_add_nc_u32_e32 v4, v5, v4
	v_mul_lo_u32 v5, s2, v2
	v_add_nc_u32_e32 v4, v4, v6
	s_delay_alu instid0(VALU_DEP_2) | instskip(NEXT) | instid1(VALU_DEP_2)
	v_mul_hi_u32 v6, v2, v5
	v_mul_lo_u32 v7, v2, v4
	v_mul_hi_u32 v8, v2, v4
	v_mul_hi_u32 v9, v3, v5
	v_mul_lo_u32 v5, v3, v5
	v_mul_hi_u32 v10, v3, v4
	v_mul_lo_u32 v4, v3, v4
	v_add_co_u32 v6, vcc_lo, v6, v7
	v_add_co_ci_u32_e32 v7, vcc_lo, 0, v8, vcc_lo
	s_delay_alu instid0(VALU_DEP_2) | instskip(NEXT) | instid1(VALU_DEP_2)
	v_add_co_u32 v5, vcc_lo, v6, v5
	v_add_co_ci_u32_e32 v5, vcc_lo, v7, v9, vcc_lo
	v_add_co_ci_u32_e32 v6, vcc_lo, 0, v10, vcc_lo
	s_delay_alu instid0(VALU_DEP_2) | instskip(NEXT) | instid1(VALU_DEP_2)
	v_add_co_u32 v4, vcc_lo, v5, v4
	v_add_co_ci_u32_e32 v5, vcc_lo, 0, v6, vcc_lo
	s_delay_alu instid0(VALU_DEP_2) | instskip(NEXT) | instid1(VALU_DEP_2)
	v_add_co_u32 v2, vcc_lo, v2, v4
	v_add_co_ci_u32_e32 v3, vcc_lo, v3, v5, vcc_lo
	s_delay_alu instid0(VALU_DEP_2) | instskip(SKIP_1) | instid1(VALU_DEP_3)
	v_mul_hi_u32 v4, s2, v2
	v_mul_lo_u32 v6, s7, v2
	v_mul_lo_u32 v5, s2, v3
	s_delay_alu instid0(VALU_DEP_1) | instskip(SKIP_1) | instid1(VALU_DEP_2)
	v_add_nc_u32_e32 v4, v4, v5
	v_mul_lo_u32 v5, s2, v2
	v_add_nc_u32_e32 v4, v4, v6
	s_delay_alu instid0(VALU_DEP_2) | instskip(NEXT) | instid1(VALU_DEP_2)
	v_mul_hi_u32 v6, v2, v5
	v_mul_lo_u32 v7, v2, v4
	v_mul_hi_u32 v8, v2, v4
	v_mul_hi_u32 v9, v3, v5
	v_mul_lo_u32 v5, v3, v5
	v_mul_hi_u32 v10, v3, v4
	v_mul_lo_u32 v4, v3, v4
	v_add_co_u32 v6, vcc_lo, v6, v7
	v_add_co_ci_u32_e32 v7, vcc_lo, 0, v8, vcc_lo
	s_delay_alu instid0(VALU_DEP_2) | instskip(NEXT) | instid1(VALU_DEP_2)
	v_add_co_u32 v5, vcc_lo, v6, v5
	v_add_co_ci_u32_e32 v5, vcc_lo, v7, v9, vcc_lo
	v_add_co_ci_u32_e32 v6, vcc_lo, 0, v10, vcc_lo
	s_delay_alu instid0(VALU_DEP_2) | instskip(NEXT) | instid1(VALU_DEP_2)
	v_add_co_u32 v4, vcc_lo, v5, v4
	v_add_co_ci_u32_e32 v5, vcc_lo, 0, v6, vcc_lo
	s_delay_alu instid0(VALU_DEP_2) | instskip(NEXT) | instid1(VALU_DEP_2)
	v_add_co_u32 v6, vcc_lo, v2, v4
	v_add_co_ci_u32_e32 v8, vcc_lo, v3, v5, vcc_lo
	s_delay_alu instid0(VALU_DEP_2) | instskip(SKIP_1) | instid1(VALU_DEP_3)
	v_mul_hi_u32 v9, v0, v6
	v_mad_u64_u32 v[4:5], null, v1, v6, 0
	v_mad_u64_u32 v[2:3], null, v0, v8, 0
	;; [unrolled: 1-line block ×3, first 2 shown]
	s_delay_alu instid0(VALU_DEP_2) | instskip(NEXT) | instid1(VALU_DEP_3)
	v_add_co_u32 v2, vcc_lo, v9, v2
	v_add_co_ci_u32_e32 v3, vcc_lo, 0, v3, vcc_lo
	s_delay_alu instid0(VALU_DEP_2) | instskip(NEXT) | instid1(VALU_DEP_2)
	v_add_co_u32 v2, vcc_lo, v2, v4
	v_add_co_ci_u32_e32 v2, vcc_lo, v3, v5, vcc_lo
	v_add_co_ci_u32_e32 v3, vcc_lo, 0, v7, vcc_lo
	s_delay_alu instid0(VALU_DEP_2) | instskip(NEXT) | instid1(VALU_DEP_2)
	v_add_co_u32 v4, vcc_lo, v2, v6
	v_add_co_ci_u32_e32 v5, vcc_lo, 0, v3, vcc_lo
	s_delay_alu instid0(VALU_DEP_2) | instskip(SKIP_1) | instid1(VALU_DEP_3)
	v_mul_lo_u32 v6, s11, v4
	v_mad_u64_u32 v[2:3], null, s10, v4, 0
	v_mul_lo_u32 v7, s10, v5
	s_delay_alu instid0(VALU_DEP_2) | instskip(NEXT) | instid1(VALU_DEP_2)
	v_sub_co_u32 v2, vcc_lo, v0, v2
	v_add3_u32 v3, v3, v7, v6
	s_delay_alu instid0(VALU_DEP_1) | instskip(NEXT) | instid1(VALU_DEP_1)
	v_sub_nc_u32_e32 v6, v1, v3
	v_subrev_co_ci_u32_e64 v6, s2, s11, v6, vcc_lo
	v_add_co_u32 v7, s2, v4, 2
	s_delay_alu instid0(VALU_DEP_1) | instskip(SKIP_3) | instid1(VALU_DEP_3)
	v_add_co_ci_u32_e64 v8, s2, 0, v5, s2
	v_sub_co_u32 v9, s2, v2, s10
	v_sub_co_ci_u32_e32 v3, vcc_lo, v1, v3, vcc_lo
	v_subrev_co_ci_u32_e64 v6, s2, 0, v6, s2
	v_cmp_le_u32_e32 vcc_lo, s10, v9
	s_delay_alu instid0(VALU_DEP_3) | instskip(SKIP_1) | instid1(VALU_DEP_4)
	v_cmp_eq_u32_e64 s2, s11, v3
	v_cndmask_b32_e64 v9, 0, -1, vcc_lo
	v_cmp_le_u32_e32 vcc_lo, s11, v6
	v_cndmask_b32_e64 v10, 0, -1, vcc_lo
	v_cmp_le_u32_e32 vcc_lo, s10, v2
	;; [unrolled: 2-line block ×3, first 2 shown]
	v_cndmask_b32_e64 v11, 0, -1, vcc_lo
	v_cmp_eq_u32_e32 vcc_lo, s11, v6
	s_delay_alu instid0(VALU_DEP_2) | instskip(SKIP_3) | instid1(VALU_DEP_3)
	v_cndmask_b32_e64 v2, v11, v2, s2
	v_cndmask_b32_e32 v6, v10, v9, vcc_lo
	v_add_co_u32 v9, vcc_lo, v4, 1
	v_add_co_ci_u32_e32 v10, vcc_lo, 0, v5, vcc_lo
	v_cmp_ne_u32_e32 vcc_lo, 0, v6
	s_delay_alu instid0(VALU_DEP_2) | instskip(SKIP_1) | instid1(VALU_DEP_2)
	v_dual_cndmask_b32 v3, v10, v8 :: v_dual_cndmask_b32 v6, v9, v7
	v_cmp_ne_u32_e32 vcc_lo, 0, v2
	v_dual_cndmask_b32 v2, v5, v3 :: v_dual_cndmask_b32 v3, v4, v6
	s_delay_alu instid0(VALU_DEP_1) | instskip(NEXT) | instid1(VALU_DEP_2)
	v_xor_b32_e32 v4, s9, v2
	v_xor_b32_e32 v3, s8, v3
	s_delay_alu instid0(VALU_DEP_1) | instskip(NEXT) | instid1(VALU_DEP_3)
	v_sub_co_u32 v2, vcc_lo, v3, s8
	v_subrev_co_ci_u32_e32 v3, vcc_lo, s9, v4, vcc_lo
	s_and_not1_saveexec_b32 s2, s12
	s_cbranch_execz .LBB15_5
.LBB15_8:
	v_cvt_f32_u32_e32 v2, s6
	s_sub_i32 s7, 0, s6
	s_delay_alu instid0(VALU_DEP_1) | instskip(SKIP_2) | instid1(VALU_DEP_1)
	v_rcp_iflag_f32_e32 v2, v2
	s_waitcnt_depctr 0xfff
	v_mul_f32_e32 v2, 0x4f7ffffe, v2
	v_cvt_u32_f32_e32 v2, v2
	s_delay_alu instid0(VALU_DEP_1) | instskip(NEXT) | instid1(VALU_DEP_1)
	v_mul_lo_u32 v3, s7, v2
	v_mul_hi_u32 v3, v2, v3
	s_delay_alu instid0(VALU_DEP_1) | instskip(NEXT) | instid1(VALU_DEP_1)
	v_add_nc_u32_e32 v2, v2, v3
	v_mul_hi_u32 v2, v0, v2
	s_delay_alu instid0(VALU_DEP_1) | instskip(SKIP_1) | instid1(VALU_DEP_2)
	v_mul_lo_u32 v3, v2, s6
	v_add_nc_u32_e32 v4, 1, v2
	v_sub_nc_u32_e32 v3, v0, v3
	s_delay_alu instid0(VALU_DEP_1) | instskip(SKIP_1) | instid1(VALU_DEP_2)
	v_subrev_nc_u32_e32 v5, s6, v3
	v_cmp_le_u32_e32 vcc_lo, s6, v3
	v_dual_cndmask_b32 v3, v3, v5 :: v_dual_cndmask_b32 v2, v2, v4
	s_delay_alu instid0(VALU_DEP_1) | instskip(NEXT) | instid1(VALU_DEP_2)
	v_cmp_le_u32_e32 vcc_lo, s6, v3
	v_dual_mov_b32 v3, 0 :: v_dual_add_nc_u32 v4, 1, v2
	s_delay_alu instid0(VALU_DEP_1) | instskip(SKIP_1) | instid1(SALU_CYCLE_1)
	v_cndmask_b32_e32 v2, v2, v4, vcc_lo
	s_or_b32 exec_lo, exec_lo, s2
	s_mov_b32 s2, exec_lo
	s_delay_alu instid0(VALU_DEP_1)
	v_cmpx_gt_i64_e64 s[4:5], v[2:3]
	s_cbranch_execz .LBB15_6
.LBB15_9:
	s_ashr_i32 s2, s3, 31
	s_load_b64 s[4:5], s[0:1], 0x10
	v_mul_lo_u32 v5, v2, s6
	v_mul_lo_u32 v6, v3, s3
	v_mad_u64_u32 v[3:4], null, v2, s3, 0
	v_mul_lo_u32 v2, v2, s2
	v_lshlrev_b32_e32 v40, 5, v0
	v_sub_nc_u32_e32 v5, v0, v5
	s_delay_alu instid0(VALU_DEP_3) | instskip(NEXT) | instid1(VALU_DEP_2)
	v_add3_u32 v4, v4, v2, v6
	v_dual_mov_b32 v6, 0 :: v_dual_lshlrev_b32 v5, 5, v5
	s_delay_alu instid0(VALU_DEP_2) | instskip(NEXT) | instid1(VALU_DEP_2)
	v_lshlrev_b64 v[2:3], 1, v[3:4]
	v_lshlrev_b64 v[4:5], 1, v[5:6]
	s_waitcnt lgkmcnt(0)
	s_delay_alu instid0(VALU_DEP_2) | instskip(NEXT) | instid1(VALU_DEP_3)
	v_add_co_u32 v2, vcc_lo, s4, v2
	v_add_co_ci_u32_e32 v3, vcc_lo, s5, v3, vcc_lo
	s_load_b128 s[4:7], s[0:1], 0x0
	s_delay_alu instid0(VALU_DEP_2) | instskip(NEXT) | instid1(VALU_DEP_2)
	v_add_co_u32 v14, vcc_lo, v2, v4
	v_add_co_ci_u32_e32 v15, vcc_lo, v3, v5, vcc_lo
	s_clause 0x3
	global_load_b128 v[2:5], v[14:15], off
	global_load_b128 v[6:9], v[14:15], off offset:16
	global_load_b128 v[10:13], v[14:15], off offset:32
	;; [unrolled: 1-line block ×3, first 2 shown]
	s_load_b32 s0, s[0:1], 0x30
	s_waitcnt lgkmcnt(0)
	s_and_b32 s5, s5, 0xffff
	s_waitcnt vmcnt(3)
	v_and_b32_e32 v18, 0xffff, v2
	v_lshrrev_b32_e32 v2, 16, v2
	s_waitcnt vmcnt(2)
	v_and_b32_e32 v24, 0xffff, v7
	v_lshrrev_b32_e32 v7, 16, v7
	v_cvt_f32_u32_e32 v18, v18
	v_and_b32_e32 v19, 0xffff, v3
	v_lshrrev_b32_e32 v3, 16, v3
	v_cvt_f32_u32_e32 v20, v2
	;; [unrolled: 3-line block ×3, first 2 shown]
	v_cvt_f32_u32_e32 v3, v3
	v_max3_f32 v21, v18, 0x2edbe6ff, v20
	v_and_b32_e32 v22, 0xffff, v5
	v_lshrrev_b32_e32 v5, 16, v5
	v_cvt_f32_u32_e32 v23, v2
	v_cvt_f32_u32_e32 v4, v4
	v_max3_f32 v2, v21, v19, v3
	v_and_b32_e32 v21, 0xffff, v6
	v_lshrrev_b32_e32 v6, 16, v6
	v_cvt_f32_u32_e32 v22, v22
	v_cvt_f32_u32_e32 v5, v5
	v_max3_f32 v2, v2, v23, v4
	v_cvt_f32_u32_e32 v21, v21
	v_cvt_f32_u32_e32 v6, v6
	v_and_b32_e32 v25, 0xffff, v8
	v_lshrrev_b32_e32 v8, 16, v8
	v_max3_f32 v2, v2, v22, v5
	v_cvt_f32_u32_e32 v24, v24
	v_cvt_f32_u32_e32 v7, v7
	v_and_b32_e32 v26, 0xffff, v9
	v_lshrrev_b32_e32 v9, 16, v9
	v_max3_f32 v2, v2, v21, v6
	v_cvt_f32_u32_e32 v25, v25
	v_cvt_f32_u32_e32 v8, v8
	s_waitcnt vmcnt(1)
	v_and_b32_e32 v27, 0xffff, v10
	v_lshrrev_b32_e32 v10, 16, v10
	v_max3_f32 v2, v2, v24, v7
	v_cvt_f32_u32_e32 v26, v26
	v_cvt_f32_u32_e32 v9, v9
	v_and_b32_e32 v28, 0xffff, v11
	v_lshrrev_b32_e32 v11, 16, v11
	v_max3_f32 v2, v2, v25, v8
	v_cvt_f32_u32_e32 v27, v27
	v_cvt_f32_u32_e32 v10, v10
	;; [unrolled: 5-line block ×4, first 2 shown]
	s_waitcnt vmcnt(0)
	v_and_b32_e32 v31, 0xffff, v14
	v_lshrrev_b32_e32 v14, 16, v14
	v_max3_f32 v2, v2, v28, v11
	v_cvt_f32_u32_e32 v30, v30
	v_cvt_f32_u32_e32 v13, v13
	v_and_b32_e32 v32, 0xffff, v15
	v_lshrrev_b32_e32 v15, 16, v15
	v_max3_f32 v2, v2, v29, v12
	v_cvt_f32_u32_e32 v31, v31
	v_cvt_f32_u32_e32 v14, v14
	;; [unrolled: 5-line block ×4, first 2 shown]
	v_cvt_f32_u32_e32 v34, v34
	v_cvt_f32_u32_e32 v17, v17
	v_max3_f32 v2, v2, v32, v15
	s_delay_alu instid0(VALU_DEP_1) | instskip(NEXT) | instid1(VALU_DEP_1)
	v_max3_f32 v2, v2, v33, v16
	v_max3_f32 v2, v2, v34, v17
	s_delay_alu instid0(VALU_DEP_1) | instskip(NEXT) | instid1(VALU_DEP_1)
	v_mul_f32_e32 v35, 0x3b124925, v2
	v_div_scale_f32 v36, null, v35, v35, 1.0
	v_div_scale_f32 v38, vcc_lo, 1.0, v35, 1.0
	s_delay_alu instid0(VALU_DEP_2) | instskip(SKIP_2) | instid1(VALU_DEP_1)
	v_rcp_f32_e32 v37, v36
	s_waitcnt_depctr 0xfff
	v_fma_f32 v2, -v36, v37, 1.0
	v_fmac_f32_e32 v37, v2, v37
	s_delay_alu instid0(VALU_DEP_1) | instskip(NEXT) | instid1(VALU_DEP_1)
	v_mul_f32_e32 v39, v38, v37
	v_fma_f32 v2, -v36, v39, v38
	s_delay_alu instid0(VALU_DEP_1) | instskip(SKIP_1) | instid1(VALU_DEP_2)
	v_fmac_f32_e32 v39, v2, v37
	v_lshlrev_b64 v[1:2], 2, v[0:1]
	v_fma_f32 v0, -v36, v39, v38
	s_delay_alu instid0(VALU_DEP_1) | instskip(NEXT) | instid1(VALU_DEP_3)
	v_div_fmas_f32 v37, v0, v37, v39
	v_add_co_u32 v0, vcc_lo, s6, v1
	s_delay_alu instid0(VALU_DEP_4) | instskip(NEXT) | instid1(VALU_DEP_3)
	v_add_co_ci_u32_e32 v1, vcc_lo, s7, v2, vcc_lo
	v_div_fixup_f32 v37, v37, v35, 1.0
	v_mov_b32_e32 v36, 0xc3e00000
	v_mov_b32_e32 v38, 0x43e00000
	global_store_b32 v[0:1], v35, off
	s_mov_b32 s7, -1
	v_mul_f32_e32 v9, v37, v9
	v_mul_f32_e32 v0, v37, v18
	;; [unrolled: 1-line block ×11, first 2 shown]
	;;#ASMSTART
	v_med3_f32 v0, v0, v36, v38
v_med3_f32 v1, v1, v36, v38
v_cvt_pk_fp8_f32 v30, v0, v1
	;;#ASMEND
	v_mul_f32_e32 v4, v37, v4
	v_mul_f32_e32 v19, v37, v22
	;; [unrolled: 1-line block ×4, first 2 shown]
	;;#ASMSTART
	v_med3_f32 v2, v2, v36, v38
v_med3_f32 v3, v3, v36, v38
v_cvt_pk_fp8_f32 v0, v2, v3
	;;#ASMEND
	;;#ASMSTART
	v_med3_f32 v18, v18, v36, v38
v_med3_f32 v4, v4, v36, v38
v_cvt_pk_fp8_f32 v1, v18, v4
	;;#ASMEND
	;; [unrolled: 5-line block ×4, first 2 shown]
	v_perm_b32 v6, v0, v30, 0x5040100
	v_mul_f32_e32 v7, v37, v7
	v_mul_f32_e32 v22, v37, v25
	;; [unrolled: 1-line block ×3, first 2 shown]
	;;#ASMSTART
	v_med3_f32 v21, v21, v36, v38
v_med3_f32 v7, v7, v36, v38
v_cvt_pk_fp8_f32 v4, v21, v7
	;;#ASMEND
	;;#ASMSTART
	v_med3_f32 v22, v22, v36, v38
v_med3_f32 v8, v8, v36, v38
v_cvt_pk_fp8_f32 v5, v22, v8
	;;#ASMEND
	;; [unrolled: 5-line block ×3, first 2 shown]
	v_perm_b32 v1, v1, v2, 0x1000504
	v_perm_b32 v2, v3, v4, 0x1000504
	;; [unrolled: 1-line block ×4, first 2 shown]
	s_mov_b32 s6, s0
	v_mul_f32_e32 v10, v37, v10
	v_mul_f32_e32 v25, v37, v28
	;; [unrolled: 1-line block ×3, first 2 shown]
	buffer_store_b128 v[0:3], v40, s[4:7], 0 offen
	;;#ASMSTART
	s_nop 0
	;;#ASMEND
	;;#ASMSTART
	v_med3_f32 v24, v24, v36, v38
v_med3_f32 v10, v10, v36, v38
v_cvt_pk_fp8_f32 v0, v24, v10
	;;#ASMEND
	;;#ASMSTART
	v_med3_f32 v25, v25, v36, v38
v_med3_f32 v11, v11, v36, v38
v_cvt_pk_fp8_f32 v8, v25, v11
	;;#ASMEND
	v_perm_b32 v0, v8, v0, 0x5040100
	v_mul_f32_e32 v26, v37, v29
	v_mul_f32_e32 v12, v37, v12
	;; [unrolled: 1-line block ×11, first 2 shown]
	;;#ASMSTART
	v_med3_f32 v26, v26, v36, v38
v_med3_f32 v12, v12, v36, v38
v_cvt_pk_fp8_f32 v1, v26, v12
	;;#ASMEND
	;;#ASMSTART
	v_med3_f32 v27, v27, v36, v38
v_med3_f32 v13, v13, v36, v38
v_cvt_pk_fp8_f32 v2, v27, v13
	;;#ASMEND
	;; [unrolled: 5-line block ×6, first 2 shown]
	v_perm_b32 v1, v1, v2, 0x1000504
	v_perm_b32 v2, v3, v9, 0x1000504
	;; [unrolled: 1-line block ×4, first 2 shown]
	buffer_store_b128 v[0:3], v40, s[4:7], 16 offen
	;;#ASMSTART
	s_nop 0
	;;#ASMEND
	s_nop 0
	s_sendmsg sendmsg(MSG_DEALLOC_VGPRS)
	s_endpgm
	.section	.rodata,"a",@progbits
	.p2align	6, 0x0
	.amdhsa_kernel _ZN5aiter37dynamic_per_group_scaled_quant_kernelItDB8_Li32ELi32ELb0ELi64ELb0EEEvPT0_PfPKT_PKfliilPKii
		.amdhsa_group_segment_fixed_size 0
		.amdhsa_private_segment_fixed_size 0
		.amdhsa_kernarg_size 68
		.amdhsa_user_sgpr_count 15
		.amdhsa_user_sgpr_dispatch_ptr 0
		.amdhsa_user_sgpr_queue_ptr 0
		.amdhsa_user_sgpr_kernarg_segment_ptr 1
		.amdhsa_user_sgpr_dispatch_id 0
		.amdhsa_user_sgpr_private_segment_size 0
		.amdhsa_wavefront_size32 1
		.amdhsa_uses_dynamic_stack 0
		.amdhsa_enable_private_segment 0
		.amdhsa_system_sgpr_workgroup_id_x 1
		.amdhsa_system_sgpr_workgroup_id_y 0
		.amdhsa_system_sgpr_workgroup_id_z 0
		.amdhsa_system_sgpr_workgroup_info 0
		.amdhsa_system_vgpr_workitem_id 0
		.amdhsa_next_free_vgpr 41
		.amdhsa_next_free_sgpr 16
		.amdhsa_reserve_vcc 1
		.amdhsa_float_round_mode_32 0
		.amdhsa_float_round_mode_16_64 0
		.amdhsa_float_denorm_mode_32 3
		.amdhsa_float_denorm_mode_16_64 3
		.amdhsa_dx10_clamp 1
		.amdhsa_ieee_mode 1
		.amdhsa_fp16_overflow 0
		.amdhsa_workgroup_processor_mode 1
		.amdhsa_memory_ordered 1
		.amdhsa_forward_progress 0
		.amdhsa_shared_vgpr_count 0
		.amdhsa_exception_fp_ieee_invalid_op 0
		.amdhsa_exception_fp_denorm_src 0
		.amdhsa_exception_fp_ieee_div_zero 0
		.amdhsa_exception_fp_ieee_overflow 0
		.amdhsa_exception_fp_ieee_underflow 0
		.amdhsa_exception_fp_ieee_inexact 0
		.amdhsa_exception_int_div_zero 0
	.end_amdhsa_kernel
	.section	.text._ZN5aiter37dynamic_per_group_scaled_quant_kernelItDB8_Li32ELi32ELb0ELi64ELb0EEEvPT0_PfPKT_PKfliilPKii,"axG",@progbits,_ZN5aiter37dynamic_per_group_scaled_quant_kernelItDB8_Li32ELi32ELb0ELi64ELb0EEEvPT0_PfPKT_PKfliilPKii,comdat
.Lfunc_end15:
	.size	_ZN5aiter37dynamic_per_group_scaled_quant_kernelItDB8_Li32ELi32ELb0ELi64ELb0EEEvPT0_PfPKT_PKfliilPKii, .Lfunc_end15-_ZN5aiter37dynamic_per_group_scaled_quant_kernelItDB8_Li32ELi32ELb0ELi64ELb0EEEvPT0_PfPKT_PKfliilPKii
                                        ; -- End function
	.section	.AMDGPU.csdata,"",@progbits
; Kernel info:
; codeLenInByte = 3248
; NumSgprs: 18
; NumVgprs: 41
; ScratchSize: 0
; MemoryBound: 0
; FloatMode: 240
; IeeeMode: 1
; LDSByteSize: 0 bytes/workgroup (compile time only)
; SGPRBlocks: 2
; VGPRBlocks: 5
; NumSGPRsForWavesPerEU: 18
; NumVGPRsForWavesPerEU: 41
; Occupancy: 16
; WaveLimiterHint : 0
; COMPUTE_PGM_RSRC2:SCRATCH_EN: 0
; COMPUTE_PGM_RSRC2:USER_SGPR: 15
; COMPUTE_PGM_RSRC2:TRAP_HANDLER: 0
; COMPUTE_PGM_RSRC2:TGID_X_EN: 1
; COMPUTE_PGM_RSRC2:TGID_Y_EN: 0
; COMPUTE_PGM_RSRC2:TGID_Z_EN: 0
; COMPUTE_PGM_RSRC2:TIDIG_COMP_CNT: 0
	.section	.text._ZN5aiter37dynamic_per_group_scaled_quant_kernelIDF16_aLi32ELi32ELb0ELi64ELb0EEEvPT0_PfPKT_PKfliilPKii,"axG",@progbits,_ZN5aiter37dynamic_per_group_scaled_quant_kernelIDF16_aLi32ELi32ELb0ELi64ELb0EEEvPT0_PfPKT_PKfliilPKii,comdat
	.protected	_ZN5aiter37dynamic_per_group_scaled_quant_kernelIDF16_aLi32ELi32ELb0ELi64ELb0EEEvPT0_PfPKT_PKfliilPKii ; -- Begin function _ZN5aiter37dynamic_per_group_scaled_quant_kernelIDF16_aLi32ELi32ELb0ELi64ELb0EEEvPT0_PfPKT_PKfliilPKii
	.globl	_ZN5aiter37dynamic_per_group_scaled_quant_kernelIDF16_aLi32ELi32ELb0ELi64ELb0EEEvPT0_PfPKT_PKfliilPKii
	.p2align	8
	.type	_ZN5aiter37dynamic_per_group_scaled_quant_kernelIDF16_aLi32ELi32ELb0ELi64ELb0EEEvPT0_PfPKT_PKfliilPKii,@function
_ZN5aiter37dynamic_per_group_scaled_quant_kernelIDF16_aLi32ELi32ELb0ELi64ELb0EEEvPT0_PfPKT_PKfliilPKii: ; @_ZN5aiter37dynamic_per_group_scaled_quant_kernelIDF16_aLi32ELi32ELb0ELi64ELb0EEEvPT0_PfPKT_PKfliilPKii
; %bb.0:
	s_load_b64 s[2:3], s[0:1], 0x38
	s_mov_b32 s8, s15
	s_waitcnt lgkmcnt(0)
	s_cmp_eq_u64 s[2:3], 0
	s_cbranch_scc1 .LBB16_2
; %bb.1:
	s_load_b32 s4, s[0:1], 0x40
	s_load_b32 s2, s[2:3], 0x0
	s_waitcnt lgkmcnt(0)
	s_mul_hi_i32 s5, s2, s4
	s_mul_i32 s4, s2, s4
	s_branch .LBB16_3
.LBB16_2:
	s_load_b64 s[4:5], s[0:1], 0x20
.LBB16_3:
	s_load_b64 s[2:3], s[0:1], 0x28
	s_mov_b32 s9, 0
                                        ; implicit-def: $vgpr2_vgpr3
	s_delay_alu instid0(SALU_CYCLE_1) | instskip(NEXT) | instid1(SALU_CYCLE_1)
	s_lshl_b64 s[10:11], s[8:9], 6
	v_or_b32_e32 v0, s10, v0
	v_mov_b32_e32 v1, s11
	s_waitcnt lgkmcnt(0)
	s_ashr_i32 s6, s2, 31
	s_delay_alu instid0(SALU_CYCLE_1) | instskip(NEXT) | instid1(SALU_CYCLE_1)
	s_lshr_b32 s6, s6, 27
	s_add_i32 s2, s2, s6
	s_delay_alu instid0(SALU_CYCLE_1) | instskip(NEXT) | instid1(SALU_CYCLE_1)
	s_ashr_i32 s6, s2, 5
	s_ashr_i32 s7, s6, 31
	s_delay_alu instid0(SALU_CYCLE_1) | instskip(SKIP_1) | instid1(SALU_CYCLE_1)
	s_or_b64 s[12:13], s[10:11], s[6:7]
	s_mov_b32 s12, s9
	s_cmp_lg_u64 s[12:13], 0
	s_cselect_b32 s2, -1, 0
	s_delay_alu instid0(SALU_CYCLE_1) | instskip(NEXT) | instid1(SALU_CYCLE_1)
	s_and_saveexec_b32 s8, s2
	s_xor_b32 s12, exec_lo, s8
	s_cbranch_execnz .LBB16_7
; %bb.4:
	s_and_not1_saveexec_b32 s2, s12
	s_cbranch_execnz .LBB16_8
.LBB16_5:
	s_or_b32 exec_lo, exec_lo, s2
	s_delay_alu instid0(SALU_CYCLE_1)
	s_mov_b32 s2, exec_lo
	v_cmpx_gt_i64_e64 s[4:5], v[2:3]
	s_cbranch_execnz .LBB16_9
.LBB16_6:
	s_endpgm
.LBB16_7:
	s_add_u32 s10, s6, s7
	s_mov_b32 s8, s7
	s_mov_b32 s9, s7
	s_addc_u32 s11, s7, s7
	s_delay_alu instid0(SALU_CYCLE_1) | instskip(NEXT) | instid1(SALU_CYCLE_1)
	s_xor_b64 s[10:11], s[10:11], s[8:9]
	v_cvt_f32_u32_e32 v2, s10
	v_cvt_f32_u32_e32 v3, s11
	s_sub_u32 s2, 0, s10
	s_subb_u32 s7, 0, s11
	s_delay_alu instid0(VALU_DEP_1) | instskip(NEXT) | instid1(VALU_DEP_1)
	v_fmamk_f32 v2, v3, 0x4f800000, v2
	v_rcp_f32_e32 v2, v2
	s_waitcnt_depctr 0xfff
	v_mul_f32_e32 v2, 0x5f7ffffc, v2
	s_delay_alu instid0(VALU_DEP_1) | instskip(NEXT) | instid1(VALU_DEP_1)
	v_mul_f32_e32 v3, 0x2f800000, v2
	v_trunc_f32_e32 v3, v3
	s_delay_alu instid0(VALU_DEP_1) | instskip(SKIP_1) | instid1(VALU_DEP_2)
	v_fmamk_f32 v2, v3, 0xcf800000, v2
	v_cvt_u32_f32_e32 v3, v3
	v_cvt_u32_f32_e32 v2, v2
	s_delay_alu instid0(VALU_DEP_2) | instskip(NEXT) | instid1(VALU_DEP_2)
	v_mul_lo_u32 v4, s2, v3
	v_mul_hi_u32 v5, s2, v2
	v_mul_lo_u32 v6, s7, v2
	s_delay_alu instid0(VALU_DEP_2) | instskip(SKIP_1) | instid1(VALU_DEP_2)
	v_add_nc_u32_e32 v4, v5, v4
	v_mul_lo_u32 v5, s2, v2
	v_add_nc_u32_e32 v4, v4, v6
	s_delay_alu instid0(VALU_DEP_2) | instskip(NEXT) | instid1(VALU_DEP_2)
	v_mul_hi_u32 v6, v2, v5
	v_mul_lo_u32 v7, v2, v4
	v_mul_hi_u32 v8, v2, v4
	v_mul_hi_u32 v9, v3, v5
	v_mul_lo_u32 v5, v3, v5
	v_mul_hi_u32 v10, v3, v4
	v_mul_lo_u32 v4, v3, v4
	v_add_co_u32 v6, vcc_lo, v6, v7
	v_add_co_ci_u32_e32 v7, vcc_lo, 0, v8, vcc_lo
	s_delay_alu instid0(VALU_DEP_2) | instskip(NEXT) | instid1(VALU_DEP_2)
	v_add_co_u32 v5, vcc_lo, v6, v5
	v_add_co_ci_u32_e32 v5, vcc_lo, v7, v9, vcc_lo
	v_add_co_ci_u32_e32 v6, vcc_lo, 0, v10, vcc_lo
	s_delay_alu instid0(VALU_DEP_2) | instskip(NEXT) | instid1(VALU_DEP_2)
	v_add_co_u32 v4, vcc_lo, v5, v4
	v_add_co_ci_u32_e32 v5, vcc_lo, 0, v6, vcc_lo
	s_delay_alu instid0(VALU_DEP_2) | instskip(NEXT) | instid1(VALU_DEP_2)
	v_add_co_u32 v2, vcc_lo, v2, v4
	v_add_co_ci_u32_e32 v3, vcc_lo, v3, v5, vcc_lo
	s_delay_alu instid0(VALU_DEP_2) | instskip(SKIP_1) | instid1(VALU_DEP_3)
	v_mul_hi_u32 v4, s2, v2
	v_mul_lo_u32 v6, s7, v2
	v_mul_lo_u32 v5, s2, v3
	s_delay_alu instid0(VALU_DEP_1) | instskip(SKIP_1) | instid1(VALU_DEP_2)
	v_add_nc_u32_e32 v4, v4, v5
	v_mul_lo_u32 v5, s2, v2
	v_add_nc_u32_e32 v4, v4, v6
	s_delay_alu instid0(VALU_DEP_2) | instskip(NEXT) | instid1(VALU_DEP_2)
	v_mul_hi_u32 v6, v2, v5
	v_mul_lo_u32 v7, v2, v4
	v_mul_hi_u32 v8, v2, v4
	v_mul_hi_u32 v9, v3, v5
	v_mul_lo_u32 v5, v3, v5
	v_mul_hi_u32 v10, v3, v4
	v_mul_lo_u32 v4, v3, v4
	v_add_co_u32 v6, vcc_lo, v6, v7
	v_add_co_ci_u32_e32 v7, vcc_lo, 0, v8, vcc_lo
	s_delay_alu instid0(VALU_DEP_2) | instskip(NEXT) | instid1(VALU_DEP_2)
	v_add_co_u32 v5, vcc_lo, v6, v5
	v_add_co_ci_u32_e32 v5, vcc_lo, v7, v9, vcc_lo
	v_add_co_ci_u32_e32 v6, vcc_lo, 0, v10, vcc_lo
	s_delay_alu instid0(VALU_DEP_2) | instskip(NEXT) | instid1(VALU_DEP_2)
	v_add_co_u32 v4, vcc_lo, v5, v4
	v_add_co_ci_u32_e32 v5, vcc_lo, 0, v6, vcc_lo
	s_delay_alu instid0(VALU_DEP_2) | instskip(NEXT) | instid1(VALU_DEP_2)
	v_add_co_u32 v6, vcc_lo, v2, v4
	v_add_co_ci_u32_e32 v8, vcc_lo, v3, v5, vcc_lo
	s_delay_alu instid0(VALU_DEP_2) | instskip(SKIP_1) | instid1(VALU_DEP_3)
	v_mul_hi_u32 v9, v0, v6
	v_mad_u64_u32 v[4:5], null, v1, v6, 0
	v_mad_u64_u32 v[2:3], null, v0, v8, 0
	;; [unrolled: 1-line block ×3, first 2 shown]
	s_delay_alu instid0(VALU_DEP_2) | instskip(NEXT) | instid1(VALU_DEP_3)
	v_add_co_u32 v2, vcc_lo, v9, v2
	v_add_co_ci_u32_e32 v3, vcc_lo, 0, v3, vcc_lo
	s_delay_alu instid0(VALU_DEP_2) | instskip(NEXT) | instid1(VALU_DEP_2)
	v_add_co_u32 v2, vcc_lo, v2, v4
	v_add_co_ci_u32_e32 v2, vcc_lo, v3, v5, vcc_lo
	v_add_co_ci_u32_e32 v3, vcc_lo, 0, v7, vcc_lo
	s_delay_alu instid0(VALU_DEP_2) | instskip(NEXT) | instid1(VALU_DEP_2)
	v_add_co_u32 v4, vcc_lo, v2, v6
	v_add_co_ci_u32_e32 v5, vcc_lo, 0, v3, vcc_lo
	s_delay_alu instid0(VALU_DEP_2) | instskip(SKIP_1) | instid1(VALU_DEP_3)
	v_mul_lo_u32 v6, s11, v4
	v_mad_u64_u32 v[2:3], null, s10, v4, 0
	v_mul_lo_u32 v7, s10, v5
	s_delay_alu instid0(VALU_DEP_2) | instskip(NEXT) | instid1(VALU_DEP_2)
	v_sub_co_u32 v2, vcc_lo, v0, v2
	v_add3_u32 v3, v3, v7, v6
	s_delay_alu instid0(VALU_DEP_1) | instskip(NEXT) | instid1(VALU_DEP_1)
	v_sub_nc_u32_e32 v6, v1, v3
	v_subrev_co_ci_u32_e64 v6, s2, s11, v6, vcc_lo
	v_add_co_u32 v7, s2, v4, 2
	s_delay_alu instid0(VALU_DEP_1) | instskip(SKIP_3) | instid1(VALU_DEP_3)
	v_add_co_ci_u32_e64 v8, s2, 0, v5, s2
	v_sub_co_u32 v9, s2, v2, s10
	v_sub_co_ci_u32_e32 v3, vcc_lo, v1, v3, vcc_lo
	v_subrev_co_ci_u32_e64 v6, s2, 0, v6, s2
	v_cmp_le_u32_e32 vcc_lo, s10, v9
	s_delay_alu instid0(VALU_DEP_3) | instskip(SKIP_1) | instid1(VALU_DEP_4)
	v_cmp_eq_u32_e64 s2, s11, v3
	v_cndmask_b32_e64 v9, 0, -1, vcc_lo
	v_cmp_le_u32_e32 vcc_lo, s11, v6
	v_cndmask_b32_e64 v10, 0, -1, vcc_lo
	v_cmp_le_u32_e32 vcc_lo, s10, v2
	;; [unrolled: 2-line block ×3, first 2 shown]
	v_cndmask_b32_e64 v11, 0, -1, vcc_lo
	v_cmp_eq_u32_e32 vcc_lo, s11, v6
	s_delay_alu instid0(VALU_DEP_2) | instskip(SKIP_3) | instid1(VALU_DEP_3)
	v_cndmask_b32_e64 v2, v11, v2, s2
	v_cndmask_b32_e32 v6, v10, v9, vcc_lo
	v_add_co_u32 v9, vcc_lo, v4, 1
	v_add_co_ci_u32_e32 v10, vcc_lo, 0, v5, vcc_lo
	v_cmp_ne_u32_e32 vcc_lo, 0, v6
	s_delay_alu instid0(VALU_DEP_2) | instskip(SKIP_1) | instid1(VALU_DEP_2)
	v_dual_cndmask_b32 v3, v10, v8 :: v_dual_cndmask_b32 v6, v9, v7
	v_cmp_ne_u32_e32 vcc_lo, 0, v2
	v_dual_cndmask_b32 v2, v5, v3 :: v_dual_cndmask_b32 v3, v4, v6
	s_delay_alu instid0(VALU_DEP_1) | instskip(NEXT) | instid1(VALU_DEP_2)
	v_xor_b32_e32 v4, s9, v2
	v_xor_b32_e32 v3, s8, v3
	s_delay_alu instid0(VALU_DEP_1) | instskip(NEXT) | instid1(VALU_DEP_3)
	v_sub_co_u32 v2, vcc_lo, v3, s8
	v_subrev_co_ci_u32_e32 v3, vcc_lo, s9, v4, vcc_lo
	s_and_not1_saveexec_b32 s2, s12
	s_cbranch_execz .LBB16_5
.LBB16_8:
	v_cvt_f32_u32_e32 v2, s6
	s_sub_i32 s7, 0, s6
	s_delay_alu instid0(VALU_DEP_1) | instskip(SKIP_2) | instid1(VALU_DEP_1)
	v_rcp_iflag_f32_e32 v2, v2
	s_waitcnt_depctr 0xfff
	v_mul_f32_e32 v2, 0x4f7ffffe, v2
	v_cvt_u32_f32_e32 v2, v2
	s_delay_alu instid0(VALU_DEP_1) | instskip(NEXT) | instid1(VALU_DEP_1)
	v_mul_lo_u32 v3, s7, v2
	v_mul_hi_u32 v3, v2, v3
	s_delay_alu instid0(VALU_DEP_1) | instskip(NEXT) | instid1(VALU_DEP_1)
	v_add_nc_u32_e32 v2, v2, v3
	v_mul_hi_u32 v2, v0, v2
	s_delay_alu instid0(VALU_DEP_1) | instskip(SKIP_1) | instid1(VALU_DEP_2)
	v_mul_lo_u32 v3, v2, s6
	v_add_nc_u32_e32 v4, 1, v2
	v_sub_nc_u32_e32 v3, v0, v3
	s_delay_alu instid0(VALU_DEP_1) | instskip(SKIP_1) | instid1(VALU_DEP_2)
	v_subrev_nc_u32_e32 v5, s6, v3
	v_cmp_le_u32_e32 vcc_lo, s6, v3
	v_dual_cndmask_b32 v3, v3, v5 :: v_dual_cndmask_b32 v2, v2, v4
	s_delay_alu instid0(VALU_DEP_1) | instskip(NEXT) | instid1(VALU_DEP_2)
	v_cmp_le_u32_e32 vcc_lo, s6, v3
	v_dual_mov_b32 v3, 0 :: v_dual_add_nc_u32 v4, 1, v2
	s_delay_alu instid0(VALU_DEP_1) | instskip(SKIP_1) | instid1(SALU_CYCLE_1)
	v_cndmask_b32_e32 v2, v2, v4, vcc_lo
	s_or_b32 exec_lo, exec_lo, s2
	s_mov_b32 s2, exec_lo
	s_delay_alu instid0(VALU_DEP_1)
	v_cmpx_gt_i64_e64 s[4:5], v[2:3]
	s_cbranch_execz .LBB16_6
.LBB16_9:
	s_ashr_i32 s2, s3, 31
	s_load_b64 s[4:5], s[0:1], 0x10
	v_mul_lo_u32 v5, v2, s6
	v_mul_lo_u32 v6, v3, s3
	v_mad_u64_u32 v[3:4], null, v2, s3, 0
	v_mul_lo_u32 v2, v2, s2
	s_delay_alu instid0(VALU_DEP_4) | instskip(NEXT) | instid1(VALU_DEP_2)
	v_sub_nc_u32_e32 v5, v0, v5
	v_add3_u32 v4, v4, v2, v6
	s_delay_alu instid0(VALU_DEP_2) | instskip(NEXT) | instid1(VALU_DEP_2)
	v_dual_mov_b32 v6, 0 :: v_dual_lshlrev_b32 v5, 5, v5
	v_lshlrev_b64 v[2:3], 1, v[3:4]
	s_delay_alu instid0(VALU_DEP_2) | instskip(SKIP_1) | instid1(VALU_DEP_2)
	v_lshlrev_b64 v[4:5], 1, v[5:6]
	s_waitcnt lgkmcnt(0)
	v_add_co_u32 v2, vcc_lo, s4, v2
	s_delay_alu instid0(VALU_DEP_3) | instskip(SKIP_1) | instid1(VALU_DEP_2)
	v_add_co_ci_u32_e32 v3, vcc_lo, s5, v3, vcc_lo
	s_load_b128 s[4:7], s[0:1], 0x0
	v_add_co_u32 v14, vcc_lo, v2, v4
	s_delay_alu instid0(VALU_DEP_2)
	v_add_co_ci_u32_e32 v15, vcc_lo, v3, v5, vcc_lo
	s_clause 0x3
	global_load_b128 v[2:5], v[14:15], off
	global_load_b128 v[6:9], v[14:15], off offset:16
	global_load_b128 v[10:13], v[14:15], off offset:32
	;; [unrolled: 1-line block ×3, first 2 shown]
	s_load_b32 s0, s[0:1], 0x30
	s_waitcnt lgkmcnt(0)
	s_and_b32 s5, s5, 0xffff
	s_waitcnt vmcnt(3)
	v_lshrrev_b32_e32 v20, 16, v2
	v_cvt_f32_f16_e64 v18, |v2|
	v_lshrrev_b32_e32 v21, 16, v3
	v_cvt_f32_f16_e64 v22, |v3|
	;; [unrolled: 2-line block ×4, first 2 shown]
	v_cvt_f32_f16_e32 v21, v21
	v_cvt_f32_f16_e64 v26, |v23|
	v_max3_f32 v18, v18, 0x2edbe6ff, v19
	v_cvt_f32_f16_e64 v19, |v4|
	v_cvt_f32_f16_e64 v27, |v25|
	v_cvt_f32_f16_e32 v20, v20
	v_cvt_f32_f16_e32 v23, v23
	v_max3_f32 v18, v18, v22, v24
	v_cvt_f32_f16_e64 v22, |v5|
	s_waitcnt vmcnt(2)
	v_lshrrev_b32_e32 v24, 16, v6
	v_cvt_f32_f16_e32 v25, v25
	v_max3_f32 v18, v18, v19, v26
	v_cvt_f32_f16_e64 v19, |v6|
	v_lshrrev_b32_e32 v26, 16, v7
	v_cvt_f32_f16_e64 v28, |v24|
	v_cvt_f32_f16_e32 v6, v6
	v_max3_f32 v18, v18, v22, v27
	v_cvt_f32_f16_e64 v22, |v7|
	v_lshrrev_b32_e32 v27, 16, v8
	v_cvt_f32_f16_e64 v29, |v26|
	;; [unrolled: 5-line block ×3, first 2 shown]
	v_cvt_f32_f16_e32 v26, v26
	v_max3_f32 v18, v18, v22, v29
	v_cvt_f32_f16_e64 v22, |v9|
	s_waitcnt vmcnt(1)
	v_lshrrev_b32_e32 v29, 16, v10
	v_cvt_f32_f16_e64 v31, |v28|
	v_cvt_f32_f16_e32 v27, v27
	v_max3_f32 v18, v18, v19, v30
	v_cvt_f32_f16_e64 v19, |v10|
	v_lshrrev_b32_e32 v30, 16, v11
	v_cvt_f32_f16_e64 v32, |v29|
	v_cvt_f32_f16_e32 v24, v24
	v_max3_f32 v18, v18, v22, v31
	v_cvt_f32_f16_e64 v22, |v11|
	;; [unrolled: 5-line block ×4, first 2 shown]
	s_waitcnt vmcnt(0)
	v_lshrrev_b32_e32 v33, 16, v14
	v_cvt_f32_f16_e64 v35, |v32|
	v_cvt_f32_f16_e32 v13, v13
	v_max3_f32 v18, v18, v19, v34
	v_cvt_f32_f16_e64 v19, |v14|
	v_lshrrev_b32_e32 v34, 16, v15
	v_cvt_f32_f16_e64 v36, |v33|
	v_cvt_f32_f16_e32 v14, v14
	v_max3_f32 v18, v18, v22, v35
	v_cvt_f32_f16_e64 v22, |v15|
	;; [unrolled: 5-line block ×4, first 2 shown]
	v_cvt_f32_f16_e64 v37, |v36|
	v_cvt_f32_f16_e32 v17, v17
	s_delay_alu instid0(VALU_DEP_4) | instskip(NEXT) | instid1(VALU_DEP_1)
	v_max3_f32 v18, v18, v19, v38
	v_max3_f32 v18, v18, v22, v37
	s_delay_alu instid0(VALU_DEP_1)
	v_mul_f32_e32 v22, 0x3c010204, v18
	v_lshlrev_b64 v[18:19], 2, v[0:1]
	v_cvt_f32_f16_e32 v1, v2
	v_lshlrev_b32_e32 v38, 5, v0
	v_cvt_f32_f16_e32 v2, v3
	v_div_scale_f32 v37, null, v22, v22, 1.0
	v_cvt_f32_f16_e32 v3, v4
	v_cvt_f32_f16_e32 v4, v5
	v_add_co_u32 v18, vcc_lo, s6, v18
	s_delay_alu instid0(VALU_DEP_4)
	v_rcp_f32_e32 v0, v37
	v_add_co_ci_u32_e32 v19, vcc_lo, s7, v19, vcc_lo
	v_div_scale_f32 v39, vcc_lo, 1.0, v22, 1.0
	s_mov_b32 s7, -1
	s_mov_b32 s6, s0
	s_waitcnt_depctr 0xfff
	v_fma_f32 v5, -v37, v0, 1.0
	s_delay_alu instid0(VALU_DEP_1)
	v_fmac_f32_e32 v0, v5, v0
	v_cvt_f32_f16_e32 v5, v8
	v_cvt_f32_f16_e32 v8, v9
	;; [unrolled: 1-line block ×4, first 2 shown]
	v_mul_f32_e32 v11, v39, v0
	global_store_b32 v[18:19], v22, off
	v_fma_f32 v40, -v37, v11, v39
	s_delay_alu instid0(VALU_DEP_1) | instskip(NEXT) | instid1(VALU_DEP_1)
	v_fmac_f32_e32 v11, v40, v0
	v_fma_f32 v37, -v37, v11, v39
	s_delay_alu instid0(VALU_DEP_1)
	v_div_fmas_f32 v0, v37, v0, v11
	v_cvt_f32_f16_e32 v11, v29
	v_cvt_f32_f16_e32 v29, v30
	v_cvt_f32_f16_e32 v30, v31
	v_cvt_f32_f16_e32 v31, v32
	v_div_fixup_f32 v0, v0, v22, 1.0
	v_cvt_f32_f16_e32 v32, v33
	v_cvt_f32_f16_e32 v33, v34
	;; [unrolled: 1-line block ×4, first 2 shown]
	v_mul_f32_e32 v1, v0, v1
	v_mul_f32_e32 v9, v0, v9
	;; [unrolled: 1-line block ×5, first 2 shown]
	v_cvt_i32_f32_e32 v1, v1
	v_mul_f32_e32 v4, v0, v4
	v_cvt_i32_f32_e32 v9, v9
	v_mul_f32_e32 v8, v0, v8
	v_cvt_i32_f32_e32 v14, v14
	v_and_b32_e32 v1, 0xff, v1
	v_cvt_i32_f32_e32 v4, v4
	v_and_b32_e32 v9, 0xff, v9
	v_mul_f32_e32 v3, v0, v3
	v_dual_mul_f32 v7, v0, v7 :: v_dual_and_b32 v14, 0xff, v14
	v_cvt_i32_f32_e32 v8, v8
	v_dual_mul_f32 v21, v0, v21 :: v_dual_and_b32 v4, 0xff, v4
	s_delay_alu instid0(VALU_DEP_4)
	v_cvt_i32_f32_e32 v3, v3
	v_mul_f32_e32 v2, v0, v2
	v_cvt_i32_f32_e32 v7, v7
	v_mul_f32_e32 v20, v0, v20
	v_and_b32_e32 v8, 0xff, v8
	v_cvt_i32_f32_e32 v21, v21
	v_and_b32_e32 v3, 0xff, v3
	v_and_b32_e32 v7, 0xff, v7
	v_cvt_i32_f32_e32 v2, v2
	v_mul_f32_e32 v23, v0, v23
	v_cvt_i32_f32_e32 v20, v20
	v_lshlrev_b16 v21, 8, v21
	v_cvt_i32_f32_e32 v16, v16
	v_dual_mul_f32 v25, v0, v25 :: v_dual_and_b32 v2, 0xff, v2
	s_delay_alu instid0(VALU_DEP_4) | instskip(SKIP_1) | instid1(VALU_DEP_4)
	v_lshlrev_b16 v20, 8, v20
	v_cvt_i32_f32_e32 v15, v15
	v_and_b32_e32 v16, 0xff, v16
	s_delay_alu instid0(VALU_DEP_4)
	v_or_b32_e32 v2, v2, v21
	v_mul_f32_e32 v13, v0, v13
	v_or_b32_e32 v1, v1, v20
	v_cvt_i32_f32_e32 v25, v25
	v_dual_mul_f32 v24, v0, v24 :: v_dual_and_b32 v15, 0xff, v15
	v_lshlrev_b32_e32 v20, 16, v2
	v_cvt_i32_f32_e32 v13, v13
	v_mul_f32_e32 v26, v0, v26
	v_lshlrev_b16 v25, 8, v25
	v_cvt_i32_f32_e32 v24, v24
	v_cvt_i32_f32_e32 v23, v23
	v_and_b32_e32 v13, 0xff, v13
	v_cvt_i32_f32_e32 v26, v26
	v_or_b32_e32 v4, v4, v25
	v_mul_f32_e32 v29, v0, v29
	v_lshlrev_b16 v24, 8, v24
	v_lshlrev_b16 v23, 8, v23
	;; [unrolled: 1-line block ×3, first 2 shown]
	v_lshlrev_b32_e32 v4, 16, v4
	v_cvt_i32_f32_e32 v29, v29
	v_mul_f32_e32 v33, v0, v33
	v_or_b32_e32 v3, v3, v23
	v_or_b32_e32 v7, v7, v26
	v_mul_f32_e32 v10, v0, v10
	v_lshlrev_b16 v29, 8, v29
	v_mul_f32_e32 v12, v0, v12
	v_cvt_i32_f32_e32 v33, v33
	v_lshlrev_b32_e32 v7, 16, v7
	v_cvt_i32_f32_e32 v10, v10
	v_mul_f32_e32 v27, v0, v27
	v_mul_f32_e32 v30, v0, v30
	v_lshlrev_b16 v33, 8, v33
	s_delay_alu instid0(VALU_DEP_4) | instskip(NEXT) | instid1(VALU_DEP_4)
	v_and_b32_e32 v10, 0xff, v10
	v_cvt_i32_f32_e32 v27, v27
	s_delay_alu instid0(VALU_DEP_3) | instskip(SKIP_1) | instid1(VALU_DEP_4)
	v_or_b32_e32 v15, v15, v33
	v_mul_f32_e32 v32, v0, v32
	v_or_b32_e32 v10, v10, v29
	v_mul_f32_e32 v17, v0, v17
	v_lshlrev_b16 v27, 8, v27
	v_lshlrev_b32_e32 v15, 16, v15
	v_cvt_i32_f32_e32 v32, v32
	v_lshlrev_b32_e32 v10, 16, v10
	v_cvt_i32_f32_e32 v17, v17
	v_mul_f32_e32 v6, v0, v6
	s_delay_alu instid0(VALU_DEP_4) | instskip(NEXT) | instid1(VALU_DEP_3)
	v_lshlrev_b16 v32, 8, v32
	v_and_b32_e32 v17, 0xff, v17
	s_delay_alu instid0(VALU_DEP_3) | instskip(NEXT) | instid1(VALU_DEP_3)
	v_cvt_i32_f32_e32 v6, v6
	v_or_b32_e32 v14, v14, v32
	s_delay_alu instid0(VALU_DEP_2) | instskip(NEXT) | instid1(VALU_DEP_2)
	v_and_b32_e32 v6, 0xff, v6
	v_and_b32_e32 v14, 0xffff, v14
	s_delay_alu instid0(VALU_DEP_2) | instskip(NEXT) | instid1(VALU_DEP_1)
	v_or_b32_e32 v6, v6, v24
	v_dual_mul_f32 v11, v0, v11 :: v_dual_and_b32 v6, 0xffff, v6
	s_delay_alu instid0(VALU_DEP_1) | instskip(NEXT) | instid1(VALU_DEP_2)
	v_cvt_i32_f32_e32 v11, v11
	v_or_b32_e32 v2, v6, v7
	s_delay_alu instid0(VALU_DEP_2) | instskip(SKIP_1) | instid1(VALU_DEP_2)
	v_lshlrev_b16 v11, 8, v11
	v_or_b32_e32 v6, v14, v15
	v_or_b32_e32 v9, v9, v11
	v_dual_mul_f32 v34, v0, v34 :: v_dual_and_b32 v11, 0xffff, v3
	v_cvt_i32_f32_e32 v12, v12
	v_mul_f32_e32 v5, v0, v5
	s_delay_alu instid0(VALU_DEP_4) | instskip(NEXT) | instid1(VALU_DEP_4)
	v_and_b32_e32 v9, 0xffff, v9
	v_cvt_i32_f32_e32 v34, v34
	s_delay_alu instid0(VALU_DEP_4) | instskip(NEXT) | instid1(VALU_DEP_4)
	v_and_b32_e32 v12, 0xff, v12
	v_cvt_i32_f32_e32 v5, v5
	s_delay_alu instid0(VALU_DEP_3) | instskip(NEXT) | instid1(VALU_DEP_2)
	v_lshlrev_b16 v34, 8, v34
	v_and_b32_e32 v5, 0xff, v5
	s_delay_alu instid0(VALU_DEP_2) | instskip(SKIP_1) | instid1(VALU_DEP_3)
	v_or_b32_e32 v16, v16, v34
	v_mul_f32_e32 v31, v0, v31
	v_or_b32_e32 v5, v5, v27
	v_mul_f32_e32 v28, v0, v28
	v_mul_f32_e32 v0, v0, v35
	v_and_b32_e32 v16, 0xffff, v16
	v_cvt_i32_f32_e32 v31, v31
	v_and_b32_e32 v5, 0xffff, v5
	v_cvt_i32_f32_e32 v28, v28
	v_cvt_i32_f32_e32 v0, v0
	s_delay_alu instid0(VALU_DEP_4) | instskip(NEXT) | instid1(VALU_DEP_3)
	v_lshlrev_b16 v31, 8, v31
	v_lshlrev_b16 v28, 8, v28
	s_delay_alu instid0(VALU_DEP_3) | instskip(NEXT) | instid1(VALU_DEP_3)
	v_lshlrev_b16 v0, 8, v0
	v_or_b32_e32 v13, v13, v31
	s_delay_alu instid0(VALU_DEP_3) | instskip(NEXT) | instid1(VALU_DEP_3)
	v_or_b32_e32 v8, v8, v28
	v_or_b32_e32 v0, v17, v0
	v_and_b32_e32 v17, 0xffff, v1
	v_cvt_i32_f32_e32 v30, v30
	v_lshlrev_b32_e32 v13, 16, v13
	v_lshlrev_b32_e32 v8, 16, v8
	;; [unrolled: 1-line block ×3, first 2 shown]
	v_or_b32_e32 v1, v11, v4
	v_lshlrev_b16 v30, 8, v30
	v_or_b32_e32 v0, v17, v20
	v_or_b32_e32 v3, v5, v8
	;; [unrolled: 1-line block ×5, first 2 shown]
	buffer_store_b128 v[0:3], v38, s[4:7], 0 offen
	;;#ASMSTART
	s_nop 0
	;;#ASMEND
	v_and_b32_e32 v12, 0xffff, v12
	s_delay_alu instid0(VALU_DEP_1)
	v_or_b32_e32 v5, v12, v13
	buffer_store_b128 v[4:7], v38, s[4:7], 16 offen
	;;#ASMSTART
	s_nop 0
	;;#ASMEND
	s_nop 0
	s_sendmsg sendmsg(MSG_DEALLOC_VGPRS)
	s_endpgm
	.section	.rodata,"a",@progbits
	.p2align	6, 0x0
	.amdhsa_kernel _ZN5aiter37dynamic_per_group_scaled_quant_kernelIDF16_aLi32ELi32ELb0ELi64ELb0EEEvPT0_PfPKT_PKfliilPKii
		.amdhsa_group_segment_fixed_size 0
		.amdhsa_private_segment_fixed_size 0
		.amdhsa_kernarg_size 68
		.amdhsa_user_sgpr_count 15
		.amdhsa_user_sgpr_dispatch_ptr 0
		.amdhsa_user_sgpr_queue_ptr 0
		.amdhsa_user_sgpr_kernarg_segment_ptr 1
		.amdhsa_user_sgpr_dispatch_id 0
		.amdhsa_user_sgpr_private_segment_size 0
		.amdhsa_wavefront_size32 1
		.amdhsa_uses_dynamic_stack 0
		.amdhsa_enable_private_segment 0
		.amdhsa_system_sgpr_workgroup_id_x 1
		.amdhsa_system_sgpr_workgroup_id_y 0
		.amdhsa_system_sgpr_workgroup_id_z 0
		.amdhsa_system_sgpr_workgroup_info 0
		.amdhsa_system_vgpr_workitem_id 0
		.amdhsa_next_free_vgpr 41
		.amdhsa_next_free_sgpr 16
		.amdhsa_reserve_vcc 1
		.amdhsa_float_round_mode_32 0
		.amdhsa_float_round_mode_16_64 0
		.amdhsa_float_denorm_mode_32 3
		.amdhsa_float_denorm_mode_16_64 3
		.amdhsa_dx10_clamp 1
		.amdhsa_ieee_mode 1
		.amdhsa_fp16_overflow 0
		.amdhsa_workgroup_processor_mode 1
		.amdhsa_memory_ordered 1
		.amdhsa_forward_progress 0
		.amdhsa_shared_vgpr_count 0
		.amdhsa_exception_fp_ieee_invalid_op 0
		.amdhsa_exception_fp_denorm_src 0
		.amdhsa_exception_fp_ieee_div_zero 0
		.amdhsa_exception_fp_ieee_overflow 0
		.amdhsa_exception_fp_ieee_underflow 0
		.amdhsa_exception_fp_ieee_inexact 0
		.amdhsa_exception_int_div_zero 0
	.end_amdhsa_kernel
	.section	.text._ZN5aiter37dynamic_per_group_scaled_quant_kernelIDF16_aLi32ELi32ELb0ELi64ELb0EEEvPT0_PfPKT_PKfliilPKii,"axG",@progbits,_ZN5aiter37dynamic_per_group_scaled_quant_kernelIDF16_aLi32ELi32ELb0ELi64ELb0EEEvPT0_PfPKT_PKfliilPKii,comdat
.Lfunc_end16:
	.size	_ZN5aiter37dynamic_per_group_scaled_quant_kernelIDF16_aLi32ELi32ELb0ELi64ELb0EEEvPT0_PfPKT_PKfliilPKii, .Lfunc_end16-_ZN5aiter37dynamic_per_group_scaled_quant_kernelIDF16_aLi32ELi32ELb0ELi64ELb0EEEvPT0_PfPKT_PKfliilPKii
                                        ; -- End function
	.section	.AMDGPU.csdata,"",@progbits
; Kernel info:
; codeLenInByte = 2932
; NumSgprs: 18
; NumVgprs: 41
; ScratchSize: 0
; MemoryBound: 0
; FloatMode: 240
; IeeeMode: 1
; LDSByteSize: 0 bytes/workgroup (compile time only)
; SGPRBlocks: 2
; VGPRBlocks: 5
; NumSGPRsForWavesPerEU: 18
; NumVGPRsForWavesPerEU: 41
; Occupancy: 16
; WaveLimiterHint : 0
; COMPUTE_PGM_RSRC2:SCRATCH_EN: 0
; COMPUTE_PGM_RSRC2:USER_SGPR: 15
; COMPUTE_PGM_RSRC2:TRAP_HANDLER: 0
; COMPUTE_PGM_RSRC2:TGID_X_EN: 1
; COMPUTE_PGM_RSRC2:TGID_Y_EN: 0
; COMPUTE_PGM_RSRC2:TGID_Z_EN: 0
; COMPUTE_PGM_RSRC2:TIDIG_COMP_CNT: 0
	.section	.text._ZN5aiter37dynamic_per_group_scaled_quant_kernelItaLi32ELi32ELb0ELi64ELb0EEEvPT0_PfPKT_PKfliilPKii,"axG",@progbits,_ZN5aiter37dynamic_per_group_scaled_quant_kernelItaLi32ELi32ELb0ELi64ELb0EEEvPT0_PfPKT_PKfliilPKii,comdat
	.protected	_ZN5aiter37dynamic_per_group_scaled_quant_kernelItaLi32ELi32ELb0ELi64ELb0EEEvPT0_PfPKT_PKfliilPKii ; -- Begin function _ZN5aiter37dynamic_per_group_scaled_quant_kernelItaLi32ELi32ELb0ELi64ELb0EEEvPT0_PfPKT_PKfliilPKii
	.globl	_ZN5aiter37dynamic_per_group_scaled_quant_kernelItaLi32ELi32ELb0ELi64ELb0EEEvPT0_PfPKT_PKfliilPKii
	.p2align	8
	.type	_ZN5aiter37dynamic_per_group_scaled_quant_kernelItaLi32ELi32ELb0ELi64ELb0EEEvPT0_PfPKT_PKfliilPKii,@function
_ZN5aiter37dynamic_per_group_scaled_quant_kernelItaLi32ELi32ELb0ELi64ELb0EEEvPT0_PfPKT_PKfliilPKii: ; @_ZN5aiter37dynamic_per_group_scaled_quant_kernelItaLi32ELi32ELb0ELi64ELb0EEEvPT0_PfPKT_PKfliilPKii
; %bb.0:
	s_load_b64 s[2:3], s[0:1], 0x38
	s_mov_b32 s8, s15
	s_waitcnt lgkmcnt(0)
	s_cmp_eq_u64 s[2:3], 0
	s_cbranch_scc1 .LBB17_2
; %bb.1:
	s_load_b32 s4, s[0:1], 0x40
	s_load_b32 s2, s[2:3], 0x0
	s_waitcnt lgkmcnt(0)
	s_mul_hi_i32 s5, s2, s4
	s_mul_i32 s4, s2, s4
	s_branch .LBB17_3
.LBB17_2:
	s_load_b64 s[4:5], s[0:1], 0x20
.LBB17_3:
	s_load_b64 s[2:3], s[0:1], 0x28
	s_mov_b32 s9, 0
                                        ; implicit-def: $vgpr2_vgpr3
	s_delay_alu instid0(SALU_CYCLE_1) | instskip(NEXT) | instid1(SALU_CYCLE_1)
	s_lshl_b64 s[10:11], s[8:9], 6
	v_or_b32_e32 v0, s10, v0
	v_mov_b32_e32 v1, s11
	s_waitcnt lgkmcnt(0)
	s_ashr_i32 s6, s2, 31
	s_delay_alu instid0(SALU_CYCLE_1) | instskip(NEXT) | instid1(SALU_CYCLE_1)
	s_lshr_b32 s6, s6, 27
	s_add_i32 s2, s2, s6
	s_delay_alu instid0(SALU_CYCLE_1) | instskip(NEXT) | instid1(SALU_CYCLE_1)
	s_ashr_i32 s6, s2, 5
	s_ashr_i32 s7, s6, 31
	s_delay_alu instid0(SALU_CYCLE_1) | instskip(SKIP_1) | instid1(SALU_CYCLE_1)
	s_or_b64 s[12:13], s[10:11], s[6:7]
	s_mov_b32 s12, s9
	s_cmp_lg_u64 s[12:13], 0
	s_cselect_b32 s2, -1, 0
	s_delay_alu instid0(SALU_CYCLE_1) | instskip(NEXT) | instid1(SALU_CYCLE_1)
	s_and_saveexec_b32 s8, s2
	s_xor_b32 s12, exec_lo, s8
	s_cbranch_execnz .LBB17_7
; %bb.4:
	s_and_not1_saveexec_b32 s2, s12
	s_cbranch_execnz .LBB17_8
.LBB17_5:
	s_or_b32 exec_lo, exec_lo, s2
	s_delay_alu instid0(SALU_CYCLE_1)
	s_mov_b32 s2, exec_lo
	v_cmpx_gt_i64_e64 s[4:5], v[2:3]
	s_cbranch_execnz .LBB17_9
.LBB17_6:
	s_endpgm
.LBB17_7:
	s_add_u32 s10, s6, s7
	s_mov_b32 s8, s7
	s_mov_b32 s9, s7
	s_addc_u32 s11, s7, s7
	s_delay_alu instid0(SALU_CYCLE_1) | instskip(NEXT) | instid1(SALU_CYCLE_1)
	s_xor_b64 s[10:11], s[10:11], s[8:9]
	v_cvt_f32_u32_e32 v2, s10
	v_cvt_f32_u32_e32 v3, s11
	s_sub_u32 s2, 0, s10
	s_subb_u32 s7, 0, s11
	s_delay_alu instid0(VALU_DEP_1) | instskip(NEXT) | instid1(VALU_DEP_1)
	v_fmamk_f32 v2, v3, 0x4f800000, v2
	v_rcp_f32_e32 v2, v2
	s_waitcnt_depctr 0xfff
	v_mul_f32_e32 v2, 0x5f7ffffc, v2
	s_delay_alu instid0(VALU_DEP_1) | instskip(NEXT) | instid1(VALU_DEP_1)
	v_mul_f32_e32 v3, 0x2f800000, v2
	v_trunc_f32_e32 v3, v3
	s_delay_alu instid0(VALU_DEP_1) | instskip(SKIP_1) | instid1(VALU_DEP_2)
	v_fmamk_f32 v2, v3, 0xcf800000, v2
	v_cvt_u32_f32_e32 v3, v3
	v_cvt_u32_f32_e32 v2, v2
	s_delay_alu instid0(VALU_DEP_2) | instskip(NEXT) | instid1(VALU_DEP_2)
	v_mul_lo_u32 v4, s2, v3
	v_mul_hi_u32 v5, s2, v2
	v_mul_lo_u32 v6, s7, v2
	s_delay_alu instid0(VALU_DEP_2) | instskip(SKIP_1) | instid1(VALU_DEP_2)
	v_add_nc_u32_e32 v4, v5, v4
	v_mul_lo_u32 v5, s2, v2
	v_add_nc_u32_e32 v4, v4, v6
	s_delay_alu instid0(VALU_DEP_2) | instskip(NEXT) | instid1(VALU_DEP_2)
	v_mul_hi_u32 v6, v2, v5
	v_mul_lo_u32 v7, v2, v4
	v_mul_hi_u32 v8, v2, v4
	v_mul_hi_u32 v9, v3, v5
	v_mul_lo_u32 v5, v3, v5
	v_mul_hi_u32 v10, v3, v4
	v_mul_lo_u32 v4, v3, v4
	v_add_co_u32 v6, vcc_lo, v6, v7
	v_add_co_ci_u32_e32 v7, vcc_lo, 0, v8, vcc_lo
	s_delay_alu instid0(VALU_DEP_2) | instskip(NEXT) | instid1(VALU_DEP_2)
	v_add_co_u32 v5, vcc_lo, v6, v5
	v_add_co_ci_u32_e32 v5, vcc_lo, v7, v9, vcc_lo
	v_add_co_ci_u32_e32 v6, vcc_lo, 0, v10, vcc_lo
	s_delay_alu instid0(VALU_DEP_2) | instskip(NEXT) | instid1(VALU_DEP_2)
	v_add_co_u32 v4, vcc_lo, v5, v4
	v_add_co_ci_u32_e32 v5, vcc_lo, 0, v6, vcc_lo
	s_delay_alu instid0(VALU_DEP_2) | instskip(NEXT) | instid1(VALU_DEP_2)
	v_add_co_u32 v2, vcc_lo, v2, v4
	v_add_co_ci_u32_e32 v3, vcc_lo, v3, v5, vcc_lo
	s_delay_alu instid0(VALU_DEP_2) | instskip(SKIP_1) | instid1(VALU_DEP_3)
	v_mul_hi_u32 v4, s2, v2
	v_mul_lo_u32 v6, s7, v2
	v_mul_lo_u32 v5, s2, v3
	s_delay_alu instid0(VALU_DEP_1) | instskip(SKIP_1) | instid1(VALU_DEP_2)
	v_add_nc_u32_e32 v4, v4, v5
	v_mul_lo_u32 v5, s2, v2
	v_add_nc_u32_e32 v4, v4, v6
	s_delay_alu instid0(VALU_DEP_2) | instskip(NEXT) | instid1(VALU_DEP_2)
	v_mul_hi_u32 v6, v2, v5
	v_mul_lo_u32 v7, v2, v4
	v_mul_hi_u32 v8, v2, v4
	v_mul_hi_u32 v9, v3, v5
	v_mul_lo_u32 v5, v3, v5
	v_mul_hi_u32 v10, v3, v4
	v_mul_lo_u32 v4, v3, v4
	v_add_co_u32 v6, vcc_lo, v6, v7
	v_add_co_ci_u32_e32 v7, vcc_lo, 0, v8, vcc_lo
	s_delay_alu instid0(VALU_DEP_2) | instskip(NEXT) | instid1(VALU_DEP_2)
	v_add_co_u32 v5, vcc_lo, v6, v5
	v_add_co_ci_u32_e32 v5, vcc_lo, v7, v9, vcc_lo
	v_add_co_ci_u32_e32 v6, vcc_lo, 0, v10, vcc_lo
	s_delay_alu instid0(VALU_DEP_2) | instskip(NEXT) | instid1(VALU_DEP_2)
	v_add_co_u32 v4, vcc_lo, v5, v4
	v_add_co_ci_u32_e32 v5, vcc_lo, 0, v6, vcc_lo
	s_delay_alu instid0(VALU_DEP_2) | instskip(NEXT) | instid1(VALU_DEP_2)
	v_add_co_u32 v6, vcc_lo, v2, v4
	v_add_co_ci_u32_e32 v8, vcc_lo, v3, v5, vcc_lo
	s_delay_alu instid0(VALU_DEP_2) | instskip(SKIP_1) | instid1(VALU_DEP_3)
	v_mul_hi_u32 v9, v0, v6
	v_mad_u64_u32 v[4:5], null, v1, v6, 0
	v_mad_u64_u32 v[2:3], null, v0, v8, 0
	v_mad_u64_u32 v[6:7], null, v1, v8, 0
	s_delay_alu instid0(VALU_DEP_2) | instskip(NEXT) | instid1(VALU_DEP_3)
	v_add_co_u32 v2, vcc_lo, v9, v2
	v_add_co_ci_u32_e32 v3, vcc_lo, 0, v3, vcc_lo
	s_delay_alu instid0(VALU_DEP_2) | instskip(NEXT) | instid1(VALU_DEP_2)
	v_add_co_u32 v2, vcc_lo, v2, v4
	v_add_co_ci_u32_e32 v2, vcc_lo, v3, v5, vcc_lo
	v_add_co_ci_u32_e32 v3, vcc_lo, 0, v7, vcc_lo
	s_delay_alu instid0(VALU_DEP_2) | instskip(NEXT) | instid1(VALU_DEP_2)
	v_add_co_u32 v4, vcc_lo, v2, v6
	v_add_co_ci_u32_e32 v5, vcc_lo, 0, v3, vcc_lo
	s_delay_alu instid0(VALU_DEP_2) | instskip(SKIP_1) | instid1(VALU_DEP_3)
	v_mul_lo_u32 v6, s11, v4
	v_mad_u64_u32 v[2:3], null, s10, v4, 0
	v_mul_lo_u32 v7, s10, v5
	s_delay_alu instid0(VALU_DEP_2) | instskip(NEXT) | instid1(VALU_DEP_2)
	v_sub_co_u32 v2, vcc_lo, v0, v2
	v_add3_u32 v3, v3, v7, v6
	s_delay_alu instid0(VALU_DEP_1) | instskip(NEXT) | instid1(VALU_DEP_1)
	v_sub_nc_u32_e32 v6, v1, v3
	v_subrev_co_ci_u32_e64 v6, s2, s11, v6, vcc_lo
	v_add_co_u32 v7, s2, v4, 2
	s_delay_alu instid0(VALU_DEP_1) | instskip(SKIP_3) | instid1(VALU_DEP_3)
	v_add_co_ci_u32_e64 v8, s2, 0, v5, s2
	v_sub_co_u32 v9, s2, v2, s10
	v_sub_co_ci_u32_e32 v3, vcc_lo, v1, v3, vcc_lo
	v_subrev_co_ci_u32_e64 v6, s2, 0, v6, s2
	v_cmp_le_u32_e32 vcc_lo, s10, v9
	s_delay_alu instid0(VALU_DEP_3) | instskip(SKIP_1) | instid1(VALU_DEP_4)
	v_cmp_eq_u32_e64 s2, s11, v3
	v_cndmask_b32_e64 v9, 0, -1, vcc_lo
	v_cmp_le_u32_e32 vcc_lo, s11, v6
	v_cndmask_b32_e64 v10, 0, -1, vcc_lo
	v_cmp_le_u32_e32 vcc_lo, s10, v2
	;; [unrolled: 2-line block ×3, first 2 shown]
	v_cndmask_b32_e64 v11, 0, -1, vcc_lo
	v_cmp_eq_u32_e32 vcc_lo, s11, v6
	s_delay_alu instid0(VALU_DEP_2) | instskip(SKIP_3) | instid1(VALU_DEP_3)
	v_cndmask_b32_e64 v2, v11, v2, s2
	v_cndmask_b32_e32 v6, v10, v9, vcc_lo
	v_add_co_u32 v9, vcc_lo, v4, 1
	v_add_co_ci_u32_e32 v10, vcc_lo, 0, v5, vcc_lo
	v_cmp_ne_u32_e32 vcc_lo, 0, v6
	s_delay_alu instid0(VALU_DEP_2) | instskip(SKIP_1) | instid1(VALU_DEP_2)
	v_dual_cndmask_b32 v3, v10, v8 :: v_dual_cndmask_b32 v6, v9, v7
	v_cmp_ne_u32_e32 vcc_lo, 0, v2
	v_dual_cndmask_b32 v2, v5, v3 :: v_dual_cndmask_b32 v3, v4, v6
	s_delay_alu instid0(VALU_DEP_1) | instskip(NEXT) | instid1(VALU_DEP_2)
	v_xor_b32_e32 v4, s9, v2
	v_xor_b32_e32 v3, s8, v3
	s_delay_alu instid0(VALU_DEP_1) | instskip(NEXT) | instid1(VALU_DEP_3)
	v_sub_co_u32 v2, vcc_lo, v3, s8
	v_subrev_co_ci_u32_e32 v3, vcc_lo, s9, v4, vcc_lo
	s_and_not1_saveexec_b32 s2, s12
	s_cbranch_execz .LBB17_5
.LBB17_8:
	v_cvt_f32_u32_e32 v2, s6
	s_sub_i32 s7, 0, s6
	s_delay_alu instid0(VALU_DEP_1) | instskip(SKIP_2) | instid1(VALU_DEP_1)
	v_rcp_iflag_f32_e32 v2, v2
	s_waitcnt_depctr 0xfff
	v_mul_f32_e32 v2, 0x4f7ffffe, v2
	v_cvt_u32_f32_e32 v2, v2
	s_delay_alu instid0(VALU_DEP_1) | instskip(NEXT) | instid1(VALU_DEP_1)
	v_mul_lo_u32 v3, s7, v2
	v_mul_hi_u32 v3, v2, v3
	s_delay_alu instid0(VALU_DEP_1) | instskip(NEXT) | instid1(VALU_DEP_1)
	v_add_nc_u32_e32 v2, v2, v3
	v_mul_hi_u32 v2, v0, v2
	s_delay_alu instid0(VALU_DEP_1) | instskip(SKIP_1) | instid1(VALU_DEP_2)
	v_mul_lo_u32 v3, v2, s6
	v_add_nc_u32_e32 v4, 1, v2
	v_sub_nc_u32_e32 v3, v0, v3
	s_delay_alu instid0(VALU_DEP_1) | instskip(SKIP_1) | instid1(VALU_DEP_2)
	v_subrev_nc_u32_e32 v5, s6, v3
	v_cmp_le_u32_e32 vcc_lo, s6, v3
	v_dual_cndmask_b32 v3, v3, v5 :: v_dual_cndmask_b32 v2, v2, v4
	s_delay_alu instid0(VALU_DEP_1) | instskip(NEXT) | instid1(VALU_DEP_2)
	v_cmp_le_u32_e32 vcc_lo, s6, v3
	v_dual_mov_b32 v3, 0 :: v_dual_add_nc_u32 v4, 1, v2
	s_delay_alu instid0(VALU_DEP_1) | instskip(SKIP_1) | instid1(SALU_CYCLE_1)
	v_cndmask_b32_e32 v2, v2, v4, vcc_lo
	s_or_b32 exec_lo, exec_lo, s2
	s_mov_b32 s2, exec_lo
	s_delay_alu instid0(VALU_DEP_1)
	v_cmpx_gt_i64_e64 s[4:5], v[2:3]
	s_cbranch_execz .LBB17_6
.LBB17_9:
	s_ashr_i32 s2, s3, 31
	s_load_b64 s[4:5], s[0:1], 0x10
	v_mul_lo_u32 v5, v2, s6
	v_mul_lo_u32 v6, v3, s3
	v_mad_u64_u32 v[3:4], null, v2, s3, 0
	v_mul_lo_u32 v2, v2, s2
	s_delay_alu instid0(VALU_DEP_4) | instskip(NEXT) | instid1(VALU_DEP_2)
	v_sub_nc_u32_e32 v5, v0, v5
	v_add3_u32 v4, v4, v2, v6
	s_delay_alu instid0(VALU_DEP_2) | instskip(NEXT) | instid1(VALU_DEP_2)
	v_dual_mov_b32 v6, 0 :: v_dual_lshlrev_b32 v5, 5, v5
	v_lshlrev_b64 v[2:3], 1, v[3:4]
	s_delay_alu instid0(VALU_DEP_2) | instskip(SKIP_1) | instid1(VALU_DEP_2)
	v_lshlrev_b64 v[4:5], 1, v[5:6]
	s_waitcnt lgkmcnt(0)
	v_add_co_u32 v2, vcc_lo, s4, v2
	s_delay_alu instid0(VALU_DEP_3) | instskip(SKIP_1) | instid1(VALU_DEP_2)
	v_add_co_ci_u32_e32 v3, vcc_lo, s5, v3, vcc_lo
	s_load_b128 s[4:7], s[0:1], 0x0
	v_add_co_u32 v14, vcc_lo, v2, v4
	s_delay_alu instid0(VALU_DEP_2)
	v_add_co_ci_u32_e32 v15, vcc_lo, v3, v5, vcc_lo
	s_clause 0x3
	global_load_b128 v[2:5], v[14:15], off
	global_load_b128 v[6:9], v[14:15], off offset:16
	global_load_b128 v[10:13], v[14:15], off offset:32
	global_load_b128 v[14:17], v[14:15], off offset:48
	s_load_b32 s0, s[0:1], 0x30
	s_waitcnt lgkmcnt(0)
	s_and_b32 s5, s5, 0xffff
	s_waitcnt vmcnt(3)
	v_and_b32_e32 v18, 0xffff, v2
	v_lshrrev_b32_e32 v2, 16, v2
	v_and_b32_e32 v19, 0xffff, v3
	v_lshrrev_b32_e32 v3, 16, v3
	v_and_b32_e32 v22, 0xffff, v5
	v_cvt_f32_u32_e32 v18, v18
	v_cvt_f32_u32_e32 v20, v2
	v_and_b32_e32 v2, 0xffff, v4
	v_lshrrev_b32_e32 v4, 16, v4
	v_cvt_f32_u32_e32 v19, v19
	v_cvt_f32_u32_e32 v3, v3
	v_max3_f32 v21, v18, 0x2edbe6ff, v20
	v_lshrrev_b32_e32 v5, 16, v5
	v_cvt_f32_u32_e32 v23, v2
	v_cvt_f32_u32_e32 v4, v4
	;; [unrolled: 1-line block ×3, first 2 shown]
	v_max3_f32 v2, v21, v19, v3
	s_waitcnt vmcnt(2)
	v_and_b32_e32 v21, 0xffff, v6
	v_lshrrev_b32_e32 v6, 16, v6
	v_cvt_f32_u32_e32 v5, v5
	v_and_b32_e32 v24, 0xffff, v7
	v_max3_f32 v2, v2, v23, v4
	v_lshrrev_b32_e32 v7, 16, v7
	v_cvt_f32_u32_e32 v21, v21
	v_cvt_f32_u32_e32 v6, v6
	v_and_b32_e32 v25, 0xffff, v8
	v_max3_f32 v2, v2, v22, v5
	v_lshrrev_b32_e32 v8, 16, v8
	v_cvt_f32_u32_e32 v24, v24
	;; [unrolled: 5-line block ×3, first 2 shown]
	v_cvt_f32_u32_e32 v27, v8
	s_waitcnt vmcnt(1)
	v_and_b32_e32 v8, 0xffff, v10
	v_max3_f32 v2, v2, v24, v7
	v_lshrrev_b32_e32 v10, 16, v10
	v_cvt_f32_u32_e32 v26, v26
	v_cvt_f32_u32_e32 v28, v9
	v_and_b32_e32 v9, 0xffff, v11
	v_max3_f32 v2, v2, v25, v27
	v_lshrrev_b32_e32 v11, 16, v11
	v_cvt_f32_u32_e32 v29, v8
	v_cvt_f32_u32_e32 v10, v10
	v_and_b32_e32 v8, 0xffff, v12
	v_max3_f32 v2, v2, v26, v28
	v_lshrrev_b32_e32 v12, 16, v12
	v_cvt_f32_u32_e32 v30, v9
	v_cvt_f32_u32_e32 v11, v11
	v_and_b32_e32 v9, 0xffff, v13
	v_max3_f32 v2, v2, v29, v10
	v_lshrrev_b32_e32 v13, 16, v13
	v_cvt_f32_u32_e32 v31, v8
	v_cvt_f32_u32_e32 v12, v12
	s_waitcnt vmcnt(0)
	v_and_b32_e32 v8, 0xffff, v14
	v_max3_f32 v2, v2, v30, v11
	v_lshrrev_b32_e32 v14, 16, v14
	v_cvt_f32_u32_e32 v32, v9
	v_cvt_f32_u32_e32 v13, v13
	v_and_b32_e32 v9, 0xffff, v15
	v_max3_f32 v2, v2, v31, v12
	v_lshrrev_b32_e32 v15, 16, v15
	v_cvt_f32_u32_e32 v33, v8
	v_cvt_f32_u32_e32 v14, v14
	;; [unrolled: 5-line block ×4, first 2 shown]
	v_cvt_f32_u32_e32 v36, v9
	v_max3_f32 v2, v2, v34, v15
	v_cvt_f32_u32_e32 v17, v17
	s_delay_alu instid0(VALU_DEP_2) | instskip(NEXT) | instid1(VALU_DEP_1)
	v_max3_f32 v2, v2, v35, v16
	v_max3_f32 v2, v2, v36, v17
	s_delay_alu instid0(VALU_DEP_1) | instskip(NEXT) | instid1(VALU_DEP_1)
	v_mul_f32_e32 v37, 0x3c010204, v2
	v_div_scale_f32 v2, null, v37, v37, 1.0
	v_div_scale_f32 v38, vcc_lo, 1.0, v37, 1.0
	s_delay_alu instid0(VALU_DEP_2) | instskip(SKIP_2) | instid1(VALU_DEP_1)
	v_rcp_f32_e32 v8, v2
	s_waitcnt_depctr 0xfff
	v_fma_f32 v9, -v2, v8, 1.0
	v_fmac_f32_e32 v8, v9, v8
	s_delay_alu instid0(VALU_DEP_1) | instskip(NEXT) | instid1(VALU_DEP_1)
	v_mul_f32_e32 v9, v38, v8
	v_fma_f32 v39, -v2, v9, v38
	s_delay_alu instid0(VALU_DEP_1) | instskip(NEXT) | instid1(VALU_DEP_1)
	v_fmac_f32_e32 v9, v39, v8
	v_fma_f32 v2, -v2, v9, v38
	v_lshlrev_b32_e32 v38, 5, v0
	s_delay_alu instid0(VALU_DEP_2) | instskip(SKIP_1) | instid1(VALU_DEP_2)
	v_div_fmas_f32 v8, v2, v8, v9
	v_lshlrev_b64 v[1:2], 2, v[0:1]
	v_div_fixup_f32 v0, v8, v37, 1.0
	s_delay_alu instid0(VALU_DEP_2) | instskip(NEXT) | instid1(VALU_DEP_3)
	v_add_co_u32 v8, vcc_lo, s6, v1
	v_add_co_ci_u32_e32 v9, vcc_lo, s7, v2, vcc_lo
	s_delay_alu instid0(VALU_DEP_3)
	v_mul_f32_e32 v1, v0, v18
	v_mul_f32_e32 v2, v0, v20
	;; [unrolled: 1-line block ×30, first 2 shown]
	v_cvt_i32_f32_e32 v1, v1
	v_mul_f32_e32 v10, v0, v10
	v_mul_f32_e32 v0, v0, v17
	v_cvt_i32_f32_e32 v17, v18
	v_cvt_i32_f32_e32 v18, v19
	;; [unrolled: 1-line block ×9, first 2 shown]
	v_and_b32_e32 v21, 0xff, v21
	v_cvt_i32_f32_e32 v23, v24
	v_cvt_i32_f32_e32 v24, v25
	v_lshlrev_b16 v7, 8, v7
	v_and_b32_e32 v19, 0xff, v19
	v_cvt_i32_f32_e32 v25, v26
	v_cvt_i32_f32_e32 v5, v5
	v_lshlrev_b16 v23, 8, v23
	v_and_b32_e32 v22, 0xff, v22
	v_cvt_i32_f32_e32 v26, v27
	v_lshlrev_b16 v25, 8, v25
	v_and_b32_e32 v24, 0xff, v24
	v_lshlrev_b16 v2, 8, v2
	v_and_b32_e32 v1, 0xff, v1
	v_lshlrev_b16 v3, 8, v3
	v_and_b32_e32 v17, 0xff, v17
	v_cvt_i32_f32_e32 v27, v28
	v_or_b32_e32 v7, v21, v7
	v_and_b32_e32 v18, 0xff, v18
	v_cvt_i32_f32_e32 v28, v29
	v_cvt_i32_f32_e32 v29, v30
	;; [unrolled: 1-line block ×3, first 2 shown]
	v_lshlrev_b16 v5, 8, v5
	v_and_b32_e32 v26, 0xff, v26
	v_and_b32_e32 v27, 0xff, v27
	v_cvt_i32_f32_e32 v31, v32
	v_cvt_i32_f32_e32 v32, v33
	v_or_b32_e32 v22, v22, v23
	v_or_b32_e32 v23, v24, v25
	;; [unrolled: 1-line block ×4, first 2 shown]
	v_lshlrev_b32_e32 v7, 16, v7
	v_cvt_i32_f32_e32 v33, v34
	v_cvt_i32_f32_e32 v4, v4
	;; [unrolled: 1-line block ×4, first 2 shown]
	v_and_b32_e32 v20, 0xff, v20
	v_cvt_i32_f32_e32 v11, v11
	v_and_b32_e32 v32, 0xff, v32
	v_cvt_i32_f32_e32 v13, v13
	;; [unrolled: 2-line block ×5, first 2 shown]
	v_or_b32_e32 v5, v19, v5
	v_lshlrev_b32_e32 v19, 16, v2
	v_cvt_i32_f32_e32 v0, v0
	v_lshlrev_b32_e32 v17, 16, v23
	v_cvt_i32_f32_e32 v16, v16
	v_lshlrev_b16 v6, 8, v6
	v_lshlrev_b16 v4, 8, v4
	;; [unrolled: 1-line block ×5, first 2 shown]
	v_and_b32_e32 v30, 0xff, v30
	v_lshlrev_b16 v15, 8, v15
	v_and_b32_e32 v31, 0xff, v31
	v_lshlrev_b16 v12, 8, v12
	v_lshlrev_b16 v13, 8, v13
	;; [unrolled: 1-line block ×4, first 2 shown]
	v_or_b32_e32 v6, v20, v6
	v_or_b32_e32 v4, v18, v4
	v_or_b32_e32 v3, v32, v16
	v_or_b32_e32 v0, v33, v0
	v_or_b32_e32 v14, v30, v14
	v_or_b32_e32 v15, v31, v15
	v_or_b32_e32 v12, v28, v12
	v_or_b32_e32 v13, v29, v13
	v_or_b32_e32 v10, v26, v10
	v_or_b32_e32 v11, v27, v11
	v_and_b32_e32 v16, 0xffff, v22
	v_and_b32_e32 v6, 0xffff, v6
	;; [unrolled: 1-line block ×3, first 2 shown]
	v_lshlrev_b32_e32 v5, 16, v5
	v_and_b32_e32 v18, 0xffff, v1
	v_and_b32_e32 v20, 0xffff, v3
	v_lshlrev_b32_e32 v21, 16, v0
	v_and_b32_e32 v14, 0xffff, v14
	v_lshlrev_b32_e32 v15, 16, v15
	;; [unrolled: 2-line block ×4, first 2 shown]
	v_or_b32_e32 v3, v16, v17
	v_or_b32_e32 v2, v6, v7
	;; [unrolled: 1-line block ×8, first 2 shown]
	s_mov_b32 s7, -1
	s_mov_b32 s6, s0
	global_store_b32 v[8:9], v37, off
	buffer_store_b128 v[0:3], v38, s[4:7], 0 offen
	;;#ASMSTART
	s_nop 0
	;;#ASMEND
	buffer_store_b128 v[4:7], v38, s[4:7], 16 offen
	;;#ASMSTART
	s_nop 0
	;;#ASMEND
	s_nop 0
	s_sendmsg sendmsg(MSG_DEALLOC_VGPRS)
	s_endpgm
	.section	.rodata,"a",@progbits
	.p2align	6, 0x0
	.amdhsa_kernel _ZN5aiter37dynamic_per_group_scaled_quant_kernelItaLi32ELi32ELb0ELi64ELb0EEEvPT0_PfPKT_PKfliilPKii
		.amdhsa_group_segment_fixed_size 0
		.amdhsa_private_segment_fixed_size 0
		.amdhsa_kernarg_size 68
		.amdhsa_user_sgpr_count 15
		.amdhsa_user_sgpr_dispatch_ptr 0
		.amdhsa_user_sgpr_queue_ptr 0
		.amdhsa_user_sgpr_kernarg_segment_ptr 1
		.amdhsa_user_sgpr_dispatch_id 0
		.amdhsa_user_sgpr_private_segment_size 0
		.amdhsa_wavefront_size32 1
		.amdhsa_uses_dynamic_stack 0
		.amdhsa_enable_private_segment 0
		.amdhsa_system_sgpr_workgroup_id_x 1
		.amdhsa_system_sgpr_workgroup_id_y 0
		.amdhsa_system_sgpr_workgroup_id_z 0
		.amdhsa_system_sgpr_workgroup_info 0
		.amdhsa_system_vgpr_workitem_id 0
		.amdhsa_next_free_vgpr 40
		.amdhsa_next_free_sgpr 16
		.amdhsa_reserve_vcc 1
		.amdhsa_float_round_mode_32 0
		.amdhsa_float_round_mode_16_64 0
		.amdhsa_float_denorm_mode_32 3
		.amdhsa_float_denorm_mode_16_64 3
		.amdhsa_dx10_clamp 1
		.amdhsa_ieee_mode 1
		.amdhsa_fp16_overflow 0
		.amdhsa_workgroup_processor_mode 1
		.amdhsa_memory_ordered 1
		.amdhsa_forward_progress 0
		.amdhsa_shared_vgpr_count 0
		.amdhsa_exception_fp_ieee_invalid_op 0
		.amdhsa_exception_fp_denorm_src 0
		.amdhsa_exception_fp_ieee_div_zero 0
		.amdhsa_exception_fp_ieee_overflow 0
		.amdhsa_exception_fp_ieee_underflow 0
		.amdhsa_exception_fp_ieee_inexact 0
		.amdhsa_exception_int_div_zero 0
	.end_amdhsa_kernel
	.section	.text._ZN5aiter37dynamic_per_group_scaled_quant_kernelItaLi32ELi32ELb0ELi64ELb0EEEvPT0_PfPKT_PKfliilPKii,"axG",@progbits,_ZN5aiter37dynamic_per_group_scaled_quant_kernelItaLi32ELi32ELb0ELi64ELb0EEEvPT0_PfPKT_PKfliilPKii,comdat
.Lfunc_end17:
	.size	_ZN5aiter37dynamic_per_group_scaled_quant_kernelItaLi32ELi32ELb0ELi64ELb0EEEvPT0_PfPKT_PKfliilPKii, .Lfunc_end17-_ZN5aiter37dynamic_per_group_scaled_quant_kernelItaLi32ELi32ELb0ELi64ELb0EEEvPT0_PfPKT_PKfliilPKii
                                        ; -- End function
	.section	.AMDGPU.csdata,"",@progbits
; Kernel info:
; codeLenInByte = 2736
; NumSgprs: 18
; NumVgprs: 40
; ScratchSize: 0
; MemoryBound: 0
; FloatMode: 240
; IeeeMode: 1
; LDSByteSize: 0 bytes/workgroup (compile time only)
; SGPRBlocks: 2
; VGPRBlocks: 4
; NumSGPRsForWavesPerEU: 18
; NumVGPRsForWavesPerEU: 40
; Occupancy: 16
; WaveLimiterHint : 0
; COMPUTE_PGM_RSRC2:SCRATCH_EN: 0
; COMPUTE_PGM_RSRC2:USER_SGPR: 15
; COMPUTE_PGM_RSRC2:TRAP_HANDLER: 0
; COMPUTE_PGM_RSRC2:TGID_X_EN: 1
; COMPUTE_PGM_RSRC2:TGID_Y_EN: 0
; COMPUTE_PGM_RSRC2:TGID_Z_EN: 0
; COMPUTE_PGM_RSRC2:TIDIG_COMP_CNT: 0
	.section	.text._ZN5aiter37dynamic_per_group_scaled_quant_kernelIDF16_DB8_Li32ELi64ELb1ELi64ELb0EEEvPT0_PfPKT_PKfliilPKii,"axG",@progbits,_ZN5aiter37dynamic_per_group_scaled_quant_kernelIDF16_DB8_Li32ELi64ELb1ELi64ELb0EEEvPT0_PfPKT_PKfliilPKii,comdat
	.protected	_ZN5aiter37dynamic_per_group_scaled_quant_kernelIDF16_DB8_Li32ELi64ELb1ELi64ELb0EEEvPT0_PfPKT_PKfliilPKii ; -- Begin function _ZN5aiter37dynamic_per_group_scaled_quant_kernelIDF16_DB8_Li32ELi64ELb1ELi64ELb0EEEvPT0_PfPKT_PKfliilPKii
	.globl	_ZN5aiter37dynamic_per_group_scaled_quant_kernelIDF16_DB8_Li32ELi64ELb1ELi64ELb0EEEvPT0_PfPKT_PKfliilPKii
	.p2align	8
	.type	_ZN5aiter37dynamic_per_group_scaled_quant_kernelIDF16_DB8_Li32ELi64ELb1ELi64ELb0EEEvPT0_PfPKT_PKfliilPKii,@function
_ZN5aiter37dynamic_per_group_scaled_quant_kernelIDF16_DB8_Li32ELi64ELb1ELi64ELb0EEEvPT0_PfPKT_PKfliilPKii: ; @_ZN5aiter37dynamic_per_group_scaled_quant_kernelIDF16_DB8_Li32ELi64ELb1ELi64ELb0EEEvPT0_PfPKT_PKfliilPKii
; %bb.0:
	s_load_b64 s[2:3], s[0:1], 0x38
	s_mov_b32 s4, s15
	s_waitcnt lgkmcnt(0)
	s_cmp_eq_u64 s[2:3], 0
	s_cbranch_scc1 .LBB18_2
; %bb.1:
	s_load_b32 s5, s[0:1], 0x40
	s_load_b32 s2, s[2:3], 0x0
	s_waitcnt lgkmcnt(0)
	s_mul_hi_i32 s7, s2, s5
	s_mul_i32 s6, s2, s5
	s_branch .LBB18_3
.LBB18_2:
	s_load_b64 s[6:7], s[0:1], 0x20
.LBB18_3:
	s_load_b64 s[2:3], s[0:1], 0x28
	s_mov_b32 s5, 0
                                        ; implicit-def: $vgpr19_vgpr20
	v_mov_b32_e32 v3, 0
	s_lshl_b64 s[4:5], s[4:5], 6
	s_delay_alu instid0(SALU_CYCLE_1) | instskip(SKIP_1) | instid1(VALU_DEP_1)
	v_or_b32_e32 v1, s4, v0
	v_mov_b32_e32 v2, s5
	v_lshrrev_b64 v[17:18], 1, v[1:2]
	s_waitcnt lgkmcnt(0)
	s_ashr_i32 s4, s2, 31
	s_delay_alu instid0(SALU_CYCLE_1) | instskip(NEXT) | instid1(SALU_CYCLE_1)
	s_lshr_b32 s4, s4, 26
	s_add_i32 s2, s2, s4
	s_delay_alu instid0(SALU_CYCLE_1) | instskip(SKIP_2) | instid1(SALU_CYCLE_1)
	s_ashr_i32 s10, s2, 6
	s_mov_b32 s2, exec_lo
	s_ashr_i32 s11, s10, 31
	v_or_b32_e32 v4, s11, v18
	s_delay_alu instid0(VALU_DEP_1)
	v_cmpx_ne_u64_e32 0, v[3:4]
	s_xor_b32 s12, exec_lo, s2
	s_cbranch_execnz .LBB18_7
; %bb.4:
	s_and_not1_saveexec_b32 s2, s12
	s_cbranch_execnz .LBB18_8
.LBB18_5:
	s_or_b32 exec_lo, exec_lo, s2
	s_delay_alu instid0(SALU_CYCLE_1)
	s_mov_b32 s2, exec_lo
	v_cmpx_gt_i64_e64 s[6:7], v[19:20]
	s_cbranch_execnz .LBB18_9
.LBB18_6:
	s_endpgm
.LBB18_7:
	s_add_u32 s8, s10, s11
	s_mov_b32 s4, s11
	s_mov_b32 s5, s11
	s_addc_u32 s9, s11, s11
	s_delay_alu instid0(SALU_CYCLE_1) | instskip(NEXT) | instid1(SALU_CYCLE_1)
	s_xor_b64 s[8:9], s[8:9], s[4:5]
	v_cvt_f32_u32_e32 v1, s8
	v_cvt_f32_u32_e32 v2, s9
	s_sub_u32 s2, 0, s8
	s_subb_u32 s13, 0, s9
	s_delay_alu instid0(VALU_DEP_1) | instskip(NEXT) | instid1(VALU_DEP_1)
	v_fmamk_f32 v1, v2, 0x4f800000, v1
	v_rcp_f32_e32 v1, v1
	s_waitcnt_depctr 0xfff
	v_mul_f32_e32 v1, 0x5f7ffffc, v1
	s_delay_alu instid0(VALU_DEP_1) | instskip(NEXT) | instid1(VALU_DEP_1)
	v_mul_f32_e32 v2, 0x2f800000, v1
	v_trunc_f32_e32 v2, v2
	s_delay_alu instid0(VALU_DEP_1) | instskip(SKIP_1) | instid1(VALU_DEP_2)
	v_fmamk_f32 v1, v2, 0xcf800000, v1
	v_cvt_u32_f32_e32 v2, v2
	v_cvt_u32_f32_e32 v1, v1
	s_delay_alu instid0(VALU_DEP_2) | instskip(NEXT) | instid1(VALU_DEP_2)
	v_mul_lo_u32 v3, s2, v2
	v_mul_hi_u32 v4, s2, v1
	v_mul_lo_u32 v5, s13, v1
	s_delay_alu instid0(VALU_DEP_2) | instskip(SKIP_1) | instid1(VALU_DEP_2)
	v_add_nc_u32_e32 v3, v4, v3
	v_mul_lo_u32 v4, s2, v1
	v_add_nc_u32_e32 v3, v3, v5
	s_delay_alu instid0(VALU_DEP_2) | instskip(NEXT) | instid1(VALU_DEP_2)
	v_mul_hi_u32 v5, v1, v4
	v_mul_lo_u32 v6, v1, v3
	v_mul_hi_u32 v7, v1, v3
	v_mul_hi_u32 v8, v2, v4
	v_mul_lo_u32 v4, v2, v4
	v_mul_hi_u32 v9, v2, v3
	v_mul_lo_u32 v3, v2, v3
	v_add_co_u32 v5, vcc_lo, v5, v6
	v_add_co_ci_u32_e32 v6, vcc_lo, 0, v7, vcc_lo
	s_delay_alu instid0(VALU_DEP_2) | instskip(NEXT) | instid1(VALU_DEP_2)
	v_add_co_u32 v4, vcc_lo, v5, v4
	v_add_co_ci_u32_e32 v4, vcc_lo, v6, v8, vcc_lo
	v_add_co_ci_u32_e32 v5, vcc_lo, 0, v9, vcc_lo
	s_delay_alu instid0(VALU_DEP_2) | instskip(NEXT) | instid1(VALU_DEP_2)
	v_add_co_u32 v3, vcc_lo, v4, v3
	v_add_co_ci_u32_e32 v4, vcc_lo, 0, v5, vcc_lo
	s_delay_alu instid0(VALU_DEP_2) | instskip(NEXT) | instid1(VALU_DEP_2)
	v_add_co_u32 v1, vcc_lo, v1, v3
	v_add_co_ci_u32_e32 v2, vcc_lo, v2, v4, vcc_lo
	s_delay_alu instid0(VALU_DEP_2) | instskip(SKIP_1) | instid1(VALU_DEP_3)
	v_mul_hi_u32 v3, s2, v1
	v_mul_lo_u32 v5, s13, v1
	v_mul_lo_u32 v4, s2, v2
	s_delay_alu instid0(VALU_DEP_1) | instskip(SKIP_1) | instid1(VALU_DEP_2)
	v_add_nc_u32_e32 v3, v3, v4
	v_mul_lo_u32 v4, s2, v1
	v_add_nc_u32_e32 v3, v3, v5
	s_delay_alu instid0(VALU_DEP_2) | instskip(NEXT) | instid1(VALU_DEP_2)
	v_mul_hi_u32 v5, v1, v4
	v_mul_lo_u32 v6, v1, v3
	v_mul_hi_u32 v7, v1, v3
	v_mul_hi_u32 v8, v2, v4
	v_mul_lo_u32 v4, v2, v4
	v_mul_hi_u32 v9, v2, v3
	v_mul_lo_u32 v3, v2, v3
	v_add_co_u32 v5, vcc_lo, v5, v6
	v_add_co_ci_u32_e32 v6, vcc_lo, 0, v7, vcc_lo
	s_delay_alu instid0(VALU_DEP_2) | instskip(NEXT) | instid1(VALU_DEP_2)
	v_add_co_u32 v4, vcc_lo, v5, v4
	v_add_co_ci_u32_e32 v4, vcc_lo, v6, v8, vcc_lo
	v_add_co_ci_u32_e32 v5, vcc_lo, 0, v9, vcc_lo
	s_delay_alu instid0(VALU_DEP_2) | instskip(NEXT) | instid1(VALU_DEP_2)
	v_add_co_u32 v3, vcc_lo, v4, v3
	v_add_co_ci_u32_e32 v4, vcc_lo, 0, v5, vcc_lo
	s_delay_alu instid0(VALU_DEP_2) | instskip(NEXT) | instid1(VALU_DEP_2)
	v_add_co_u32 v5, vcc_lo, v1, v3
	v_add_co_ci_u32_e32 v7, vcc_lo, v2, v4, vcc_lo
	s_delay_alu instid0(VALU_DEP_2) | instskip(SKIP_1) | instid1(VALU_DEP_3)
	v_mul_hi_u32 v8, v17, v5
	v_mad_u64_u32 v[3:4], null, v18, v5, 0
	v_mad_u64_u32 v[1:2], null, v17, v7, 0
	;; [unrolled: 1-line block ×3, first 2 shown]
	s_delay_alu instid0(VALU_DEP_2) | instskip(NEXT) | instid1(VALU_DEP_3)
	v_add_co_u32 v1, vcc_lo, v8, v1
	v_add_co_ci_u32_e32 v2, vcc_lo, 0, v2, vcc_lo
	s_delay_alu instid0(VALU_DEP_2) | instskip(NEXT) | instid1(VALU_DEP_2)
	v_add_co_u32 v1, vcc_lo, v1, v3
	v_add_co_ci_u32_e32 v1, vcc_lo, v2, v4, vcc_lo
	v_add_co_ci_u32_e32 v2, vcc_lo, 0, v6, vcc_lo
	s_delay_alu instid0(VALU_DEP_2) | instskip(NEXT) | instid1(VALU_DEP_2)
	v_add_co_u32 v3, vcc_lo, v1, v5
	v_add_co_ci_u32_e32 v4, vcc_lo, 0, v2, vcc_lo
	s_delay_alu instid0(VALU_DEP_2) | instskip(SKIP_1) | instid1(VALU_DEP_3)
	v_mul_lo_u32 v5, s9, v3
	v_mad_u64_u32 v[1:2], null, s8, v3, 0
	v_mul_lo_u32 v6, s8, v4
	s_delay_alu instid0(VALU_DEP_2) | instskip(NEXT) | instid1(VALU_DEP_2)
	v_sub_co_u32 v1, vcc_lo, v17, v1
	v_add3_u32 v2, v2, v6, v5
	s_delay_alu instid0(VALU_DEP_1) | instskip(NEXT) | instid1(VALU_DEP_1)
	v_sub_nc_u32_e32 v5, v18, v2
	v_subrev_co_ci_u32_e64 v5, s2, s9, v5, vcc_lo
	v_add_co_u32 v6, s2, v3, 2
	s_delay_alu instid0(VALU_DEP_1) | instskip(SKIP_3) | instid1(VALU_DEP_3)
	v_add_co_ci_u32_e64 v7, s2, 0, v4, s2
	v_sub_co_u32 v8, s2, v1, s8
	v_sub_co_ci_u32_e32 v2, vcc_lo, v18, v2, vcc_lo
	v_subrev_co_ci_u32_e64 v5, s2, 0, v5, s2
	v_cmp_le_u32_e32 vcc_lo, s8, v8
	s_delay_alu instid0(VALU_DEP_3) | instskip(SKIP_1) | instid1(VALU_DEP_4)
	v_cmp_eq_u32_e64 s2, s9, v2
	v_cndmask_b32_e64 v8, 0, -1, vcc_lo
	v_cmp_le_u32_e32 vcc_lo, s9, v5
	v_cndmask_b32_e64 v9, 0, -1, vcc_lo
	v_cmp_le_u32_e32 vcc_lo, s8, v1
	;; [unrolled: 2-line block ×3, first 2 shown]
	v_cndmask_b32_e64 v10, 0, -1, vcc_lo
	v_cmp_eq_u32_e32 vcc_lo, s9, v5
	s_delay_alu instid0(VALU_DEP_2) | instskip(SKIP_3) | instid1(VALU_DEP_3)
	v_cndmask_b32_e64 v1, v10, v1, s2
	v_cndmask_b32_e32 v5, v9, v8, vcc_lo
	v_add_co_u32 v8, vcc_lo, v3, 1
	v_add_co_ci_u32_e32 v9, vcc_lo, 0, v4, vcc_lo
	v_cmp_ne_u32_e32 vcc_lo, 0, v5
	s_delay_alu instid0(VALU_DEP_2) | instskip(SKIP_1) | instid1(VALU_DEP_2)
	v_dual_cndmask_b32 v2, v9, v7 :: v_dual_cndmask_b32 v5, v8, v6
	v_cmp_ne_u32_e32 vcc_lo, 0, v1
	v_dual_cndmask_b32 v1, v4, v2 :: v_dual_cndmask_b32 v2, v3, v5
	s_delay_alu instid0(VALU_DEP_1) | instskip(NEXT) | instid1(VALU_DEP_2)
	v_xor_b32_e32 v1, s5, v1
	v_xor_b32_e32 v2, s4, v2
	s_delay_alu instid0(VALU_DEP_1) | instskip(NEXT) | instid1(VALU_DEP_3)
	v_sub_co_u32 v19, vcc_lo, v2, s4
	v_subrev_co_ci_u32_e32 v20, vcc_lo, s5, v1, vcc_lo
                                        ; implicit-def: $vgpr1_vgpr2
	s_and_not1_saveexec_b32 s2, s12
	s_cbranch_execz .LBB18_5
.LBB18_8:
	v_cvt_f32_u32_e32 v3, s10
	s_sub_i32 s4, 0, s10
	v_alignbit_b32 v1, v2, v1, 1
	v_mov_b32_e32 v20, 0
	s_delay_alu instid0(VALU_DEP_3) | instskip(SKIP_2) | instid1(VALU_DEP_1)
	v_rcp_iflag_f32_e32 v3, v3
	s_waitcnt_depctr 0xfff
	v_mul_f32_e32 v3, 0x4f7ffffe, v3
	v_cvt_u32_f32_e32 v3, v3
	s_delay_alu instid0(VALU_DEP_1) | instskip(NEXT) | instid1(VALU_DEP_1)
	v_mul_lo_u32 v4, s4, v3
	v_mul_hi_u32 v4, v3, v4
	s_delay_alu instid0(VALU_DEP_1) | instskip(NEXT) | instid1(VALU_DEP_1)
	v_add_nc_u32_e32 v2, v3, v4
	v_mul_hi_u32 v2, v1, v2
	s_delay_alu instid0(VALU_DEP_1) | instskip(NEXT) | instid1(VALU_DEP_1)
	v_mul_lo_u32 v3, v2, s10
	v_sub_nc_u32_e32 v1, v1, v3
	v_add_nc_u32_e32 v3, 1, v2
	s_delay_alu instid0(VALU_DEP_2) | instskip(SKIP_1) | instid1(VALU_DEP_2)
	v_subrev_nc_u32_e32 v4, s10, v1
	v_cmp_le_u32_e32 vcc_lo, s10, v1
	v_dual_cndmask_b32 v1, v1, v4 :: v_dual_cndmask_b32 v2, v2, v3
	s_delay_alu instid0(VALU_DEP_1) | instskip(NEXT) | instid1(VALU_DEP_2)
	v_cmp_le_u32_e32 vcc_lo, s10, v1
	v_add_nc_u32_e32 v3, 1, v2
	s_delay_alu instid0(VALU_DEP_1) | instskip(SKIP_1) | instid1(SALU_CYCLE_1)
	v_cndmask_b32_e32 v19, v2, v3, vcc_lo
	s_or_b32 exec_lo, exec_lo, s2
	s_mov_b32 s2, exec_lo
	s_delay_alu instid0(VALU_DEP_1)
	v_cmpx_gt_i64_e64 s[6:7], v[19:20]
	s_cbranch_execz .LBB18_6
.LBB18_9:
	s_ashr_i32 s2, s3, 31
	s_load_b64 s[4:5], s[0:1], 0x10
	v_mul_lo_u32 v5, v20, s10
	v_mul_lo_u32 v6, v19, s11
	v_mad_u64_u32 v[1:2], null, v19, s10, 0
	v_mul_lo_u32 v7, v20, s3
	v_mul_lo_u32 v8, v19, s2
	v_mad_u64_u32 v[3:4], null, v19, s3, 0
	v_and_b32_e32 v39, 1, v0
	s_mov_b32 s2, exec_lo
	v_add3_u32 v2, v2, v6, v5
	v_sub_co_u32 v28, vcc_lo, v17, v1
	s_delay_alu instid0(VALU_DEP_3) | instskip(SKIP_1) | instid1(VALU_DEP_4)
	v_lshlrev_b32_e32 v5, 6, v39
	v_add3_u32 v4, v4, v8, v7
	v_sub_co_ci_u32_e32 v29, vcc_lo, v18, v2, vcc_lo
	s_delay_alu instid0(VALU_DEP_4) | instskip(NEXT) | instid1(VALU_DEP_3)
	v_dual_mov_b32 v2, 0 :: v_dual_lshlrev_b32 v1, 6, v28
	v_lshlrev_b64 v[3:4], 1, v[3:4]
	s_delay_alu instid0(VALU_DEP_2) | instskip(SKIP_1) | instid1(VALU_DEP_2)
	v_lshlrev_b64 v[1:2], 1, v[1:2]
	s_waitcnt lgkmcnt(0)
	v_add_co_u32 v3, vcc_lo, s4, v3
	s_delay_alu instid0(VALU_DEP_3) | instskip(SKIP_1) | instid1(VALU_DEP_2)
	v_add_co_ci_u32_e32 v4, vcc_lo, s5, v4, vcc_lo
	s_load_b64 s[4:5], s[0:1], 0x0
	v_add_co_u32 v1, vcc_lo, v3, v1
	s_delay_alu instid0(VALU_DEP_2) | instskip(NEXT) | instid1(VALU_DEP_2)
	v_add_co_ci_u32_e32 v2, vcc_lo, v4, v2, vcc_lo
	v_add_co_u32 v1, vcc_lo, v1, v5
	s_delay_alu instid0(VALU_DEP_2)
	v_add_co_ci_u32_e32 v2, vcc_lo, 0, v2, vcc_lo
	s_clause 0x3
	global_load_b128 v[9:12], v[1:2], off
	global_load_b128 v[13:16], v[1:2], off offset:16
	global_load_b128 v[5:8], v[1:2], off offset:32
	;; [unrolled: 1-line block ×3, first 2 shown]
	s_waitcnt vmcnt(3)
	v_lshrrev_b32_e32 v30, 16, v9
	v_cvt_f32_f16_e64 v18, |v9|
	v_lshrrev_b32_e32 v31, 16, v10
	v_cvt_f32_f16_e64 v22, |v10|
	;; [unrolled: 2-line block ×4, first 2 shown]
	s_waitcnt vmcnt(2)
	v_lshrrev_b32_e32 v34, 16, v13
	v_cvt_f32_f16_e64 v24, |v32|
	v_max3_f32 v18, v18, 0x2edbe6ff, v21
	v_cvt_f32_f16_e64 v21, |v11|
	v_lshrrev_b32_e32 v35, 16, v14
	v_lshrrev_b32_e32 v36, 16, v15
	v_lshrrev_b32_e32 v37, 16, v16
	v_max3_f32 v18, v18, v22, v23
	v_cvt_f32_f16_e64 v22, |v12|
	v_cvt_f32_f16_e64 v23, |v33|
	;; [unrolled: 1-line block ×4, first 2 shown]
	v_max3_f32 v18, v18, v21, v24
	v_cvt_f32_f16_e64 v21, |v13|
	v_cvt_f32_f16_e64 v24, |v34|
	s_waitcnt vmcnt(1)
	v_cvt_f32_f16_e64 v38, |v7|
	v_max3_f32 v18, v18, v22, v23
	v_cvt_f32_f16_e64 v22, |v14|
	v_cvt_f32_f16_e64 v23, |v35|
	s_delay_alu instid0(VALU_DEP_3) | instskip(SKIP_2) | instid1(VALU_DEP_3)
	v_max3_f32 v18, v18, v21, v24
	v_cvt_f32_f16_e64 v24, |v15|
	v_lshrrev_b32_e32 v21, 16, v5
	v_max3_f32 v18, v18, v22, v23
	v_cvt_f32_f16_e64 v23, |v16|
	v_lshrrev_b32_e32 v22, 16, v6
	s_delay_alu instid0(VALU_DEP_4) | instskip(NEXT) | instid1(VALU_DEP_4)
	v_cvt_f32_f16_e64 v27, |v21|
	v_max3_f32 v18, v18, v24, v25
	v_cvt_f32_f16_e64 v25, |v5|
	v_lshrrev_b32_e32 v24, 16, v7
	s_delay_alu instid0(VALU_DEP_3) | instskip(SKIP_2) | instid1(VALU_DEP_4)
	v_max3_f32 v18, v18, v23, v26
	v_cvt_f32_f16_e64 v23, |v6|
	v_cvt_f32_f16_e64 v26, |v22|
	;; [unrolled: 1-line block ×3, first 2 shown]
	s_delay_alu instid0(VALU_DEP_4) | instskip(SKIP_3) | instid1(VALU_DEP_3)
	v_max3_f32 v18, v18, v25, v27
	v_lshrrev_b32_e32 v25, 16, v8
	s_waitcnt vmcnt(0)
	v_lshrrev_b32_e32 v27, 16, v1
	v_max3_f32 v18, v18, v23, v26
	v_cvt_f32_f16_e64 v26, |v8|
	v_cvt_f32_f16_e64 v41, |v25|
	v_lshrrev_b32_e32 v23, 16, v2
	s_delay_alu instid0(VALU_DEP_4) | instskip(SKIP_2) | instid1(VALU_DEP_4)
	v_max3_f32 v18, v18, v38, v40
	v_cvt_f32_f16_e64 v38, |v1|
	v_cvt_f32_f16_e64 v40, |v27|
	;; [unrolled: 1-line block ×3, first 2 shown]
	s_delay_alu instid0(VALU_DEP_4) | instskip(SKIP_2) | instid1(VALU_DEP_3)
	v_max3_f32 v18, v18, v26, v41
	v_cvt_f32_f16_e64 v41, |v2|
	v_lshrrev_b32_e32 v26, 16, v3
	v_max3_f32 v38, v18, v38, v40
	v_cvt_f32_f16_e64 v40, |v3|
	v_lshrrev_b32_e32 v18, 16, v4
	s_delay_alu instid0(VALU_DEP_4) | instskip(NEXT) | instid1(VALU_DEP_4)
	v_cvt_f32_f16_e64 v43, |v26|
	v_max3_f32 v38, v38, v41, v42
	v_cvt_f32_f16_e64 v41, |v4|
	s_delay_alu instid0(VALU_DEP_4) | instskip(NEXT) | instid1(VALU_DEP_3)
	v_cvt_f32_f16_e64 v42, |v18|
	v_max3_f32 v38, v38, v40, v43
	s_delay_alu instid0(VALU_DEP_1) | instskip(NEXT) | instid1(VALU_DEP_1)
	v_max3_f32 v38, v38, v41, v42
	v_mov_b32_dpp v40, v38 quad_perm:[1,0,3,2] row_mask:0xf bank_mask:0xf
	s_delay_alu instid0(VALU_DEP_1) | instskip(SKIP_1) | instid1(VALU_DEP_1)
	v_cmp_gt_f32_e32 vcc_lo, v38, v40
	v_cndmask_b32_e32 v38, v40, v38, vcc_lo
	v_mul_f32_e32 v38, 0x3b124925, v38
	v_cmpx_eq_u32_e32 0, v39
	s_cbranch_execz .LBB18_11
; %bb.10:
	s_load_b64 s[8:9], s[0:1], 0x8
	v_mul_lo_u32 v29, v29, s6
	v_mul_lo_u32 v41, v28, s7
	v_mad_u64_u32 v[39:40], null, v28, s6, 0
	v_lshlrev_b64 v[19:20], 2, v[19:20]
	s_delay_alu instid0(VALU_DEP_2) | instskip(NEXT) | instid1(VALU_DEP_1)
	v_add3_u32 v40, v40, v41, v29
	v_lshlrev_b64 v[28:29], 2, v[39:40]
	s_waitcnt lgkmcnt(0)
	s_delay_alu instid0(VALU_DEP_1) | instskip(NEXT) | instid1(VALU_DEP_2)
	v_add_co_u32 v28, vcc_lo, s8, v28
	v_add_co_ci_u32_e32 v29, vcc_lo, s9, v29, vcc_lo
	s_delay_alu instid0(VALU_DEP_2) | instskip(NEXT) | instid1(VALU_DEP_2)
	v_add_co_u32 v19, vcc_lo, v28, v19
	v_add_co_ci_u32_e32 v20, vcc_lo, v29, v20, vcc_lo
	global_store_b32 v[19:20], v38, off
.LBB18_11:
	s_or_b32 exec_lo, exec_lo, s2
	s_delay_alu instid0(VALU_DEP_2) | instskip(SKIP_2) | instid1(VALU_DEP_2)
	v_div_scale_f32 v19, null, v38, v38, 1.0
	v_div_scale_f32 v29, vcc_lo, 1.0, v38, 1.0
	s_load_b32 s6, s[0:1], 0x30
	v_rcp_f32_e32 v20, v19
	v_cvt_f32_f16_e32 v9, v9
	v_cvt_f32_f16_e32 v30, v30
	;; [unrolled: 1-line block ×9, first 2 shown]
	v_fma_f32 v28, -v19, v20, 1.0
	v_cvt_f32_f16_e32 v14, v14
	v_cvt_f32_f16_e32 v15, v15
	;; [unrolled: 1-line block ×3, first 2 shown]
	s_waitcnt lgkmcnt(0)
	s_and_b32 s5, s5, 0xffff
	v_dual_fmac_f32 v20, v28, v20 :: v_dual_lshlrev_b32 v17, 6, v17
	s_mov_b32 s7, -1
	v_cvt_f32_f16_e32 v6, v6
	v_cvt_f32_f16_e32 v7, v7
	s_delay_alu instid0(VALU_DEP_3)
	v_mul_f32_e32 v28, v29, v20
	v_cvt_f32_f16_e32 v8, v8
	v_cvt_f32_f16_e32 v2, v2
	;; [unrolled: 1-line block ×4, first 2 shown]
	v_fma_f32 v39, -v19, v28, v29
	s_delay_alu instid0(VALU_DEP_1) | instskip(NEXT) | instid1(VALU_DEP_1)
	v_fmac_f32_e32 v28, v39, v20
	v_fma_f32 v19, -v19, v28, v29
	v_cvt_f32_f16_e32 v29, v34
	v_cvt_f32_f16_e32 v34, v37
	s_delay_alu instid0(VALU_DEP_3) | instskip(SKIP_3) | instid1(VALU_DEP_4)
	v_div_fmas_f32 v19, v19, v20, v28
	v_cvt_f32_f16_e32 v20, v35
	v_mov_b32_e32 v35, 0xc3e00000
	v_cvt_f32_f16_e32 v28, v36
	v_div_fixup_f32 v19, v19, v38, 1.0
	v_lshlrev_b32_e32 v0, 5, v0
	s_delay_alu instid0(VALU_DEP_2) | instskip(NEXT) | instid1(VALU_DEP_2)
	v_dual_mov_b32 v36, 0x43e00000 :: v_dual_mul_f32 v11, v19, v11
	v_and_or_b32 v17, v0, 32, v17
	v_mul_f32_e32 v0, v19, v9
	v_mul_f32_e32 v9, v19, v30
	;; [unrolled: 1-line block ×7, first 2 shown]
	;;#ASMSTART
	v_med3_f32 v0, v0, v35, v36
v_med3_f32 v9, v9, v35, v36
v_cvt_pk_fp8_f32 v34, v0, v9
	;;#ASMEND
	v_mul_f32_e32 v12, v19, v12
	;;#ASMSTART
	v_med3_f32 v10, v10, v35, v36
v_med3_f32 v30, v30, v35, v36
v_cvt_pk_fp8_f32 v0, v10, v30
	;;#ASMEND
	v_mul_f32_e32 v13, v19, v13
	v_mul_f32_e32 v29, v19, v29
	;; [unrolled: 1-line block ×4, first 2 shown]
	;;#ASMSTART
	v_med3_f32 v11, v11, v35, v36
v_med3_f32 v31, v31, v35, v36
v_cvt_pk_fp8_f32 v9, v11, v31
	;;#ASMEND
	;;#ASMSTART
	v_med3_f32 v12, v12, v35, v36
v_med3_f32 v32, v32, v35, v36
v_cvt_pk_fp8_f32 v10, v12, v32
	;;#ASMEND
	;; [unrolled: 5-line block ×4, first 2 shown]
	v_perm_b32 v14, v0, v34, 0x5040100
	v_mul_f32_e32 v15, v19, v15
	v_mul_f32_e32 v28, v19, v28
	;; [unrolled: 1-line block ×3, first 2 shown]
	;;#ASMSTART
	v_med3_f32 v15, v15, v35, v36
v_med3_f32 v28, v28, v35, v36
v_cvt_pk_fp8_f32 v13, v15, v28
	;;#ASMEND
	;;#ASMSTART
	v_med3_f32 v16, v16, v35, v36
v_med3_f32 v33, v33, v35, v36
v_cvt_pk_fp8_f32 v15, v16, v33
	;;#ASMEND
	v_perm_b32 v10, v9, v10, 0x1000504
	v_perm_b32 v11, v11, v12, 0x1000504
	;; [unrolled: 1-line block ×4, first 2 shown]
	v_cvt_f32_f16_e32 v0, v5
	v_cvt_f32_f16_e32 v5, v21
	;; [unrolled: 1-line block ×4, first 2 shown]
	buffer_store_b128 v[9:12], v17, s[4:7], 0 offen
	v_cvt_f32_f16_e32 v9, v22
	v_cvt_f32_f16_e32 v10, v24
	;; [unrolled: 1-line block ×3, first 2 shown]
	v_mul_f32_e32 v0, v19, v0
	v_mul_f32_e32 v1, v19, v5
	;;#ASMSTART
	s_nop 0
	;;#ASMEND
	v_mul_f32_e32 v5, v19, v6
	v_mul_f32_e32 v6, v19, v9
	;;#ASMSTART
	v_med3_f32 v0, v0, v35, v36
v_med3_f32 v1, v1, v35, v36
v_cvt_pk_fp8_f32 v15, v0, v1
	;;#ASMEND
	v_cvt_f32_f16_e32 v11, v25
	;;#ASMSTART
	v_med3_f32 v5, v5, v35, v36
v_med3_f32 v6, v6, v35, v36
v_cvt_pk_fp8_f32 v0, v5, v6
	;;#ASMEND
	v_perm_b32 v1, v0, v15, 0x5040100
	v_cvt_f32_f16_e32 v9, v23
	v_mul_f32_e32 v6, v19, v10
	v_cvt_f32_f16_e32 v10, v18
	v_mul_f32_e32 v5, v19, v7
	v_mul_f32_e32 v7, v19, v8
	;; [unrolled: 1-line block ×3, first 2 shown]
	v_perm_b32 v0, v1, v0, 0x1060504
	;;#ASMSTART
	v_med3_f32 v5, v5, v35, v36
v_med3_f32 v6, v6, v35, v36
v_cvt_pk_fp8_f32 v1, v5, v6
	;;#ASMEND
	;;#ASMSTART
	v_med3_f32 v7, v7, v35, v36
v_med3_f32 v8, v8, v35, v36
v_cvt_pk_fp8_f32 v5, v7, v8
	;;#ASMEND
	v_perm_b32 v1, v1, v5, 0x1000504
	v_mul_f32_e32 v5, v19, v12
	v_mul_f32_e32 v6, v19, v13
	;; [unrolled: 1-line block ×5, first 2 shown]
	;;#ASMSTART
	v_med3_f32 v5, v5, v35, v36
v_med3_f32 v6, v6, v35, v36
v_cvt_pk_fp8_f32 v10, v5, v6
	;;#ASMEND
	v_mul_f32_e32 v3, v19, v3
	v_mul_f32_e32 v8, v19, v14
	;;#ASMSTART
	v_med3_f32 v2, v2, v35, v36
v_med3_f32 v7, v7, v35, v36
v_cvt_pk_fp8_f32 v5, v2, v7
	;;#ASMEND
	v_mul_f32_e32 v4, v19, v4
	v_perm_b32 v2, v10, v5, 0x1000504
	;;#ASMSTART
	v_med3_f32 v3, v3, v35, v36
v_med3_f32 v8, v8, v35, v36
v_cvt_pk_fp8_f32 v5, v3, v8
	;;#ASMEND
	;;#ASMSTART
	v_med3_f32 v4, v4, v35, v36
v_med3_f32 v9, v9, v35, v36
v_cvt_pk_fp8_f32 v3, v4, v9
	;;#ASMEND
	v_perm_b32 v3, v5, v3, 0x1000504
	buffer_store_b128 v[0:3], v17, s[4:7], 16 offen
	;;#ASMSTART
	s_nop 0
	;;#ASMEND
	s_nop 0
	s_sendmsg sendmsg(MSG_DEALLOC_VGPRS)
	s_endpgm
	.section	.rodata,"a",@progbits
	.p2align	6, 0x0
	.amdhsa_kernel _ZN5aiter37dynamic_per_group_scaled_quant_kernelIDF16_DB8_Li32ELi64ELb1ELi64ELb0EEEvPT0_PfPKT_PKfliilPKii
		.amdhsa_group_segment_fixed_size 0
		.amdhsa_private_segment_fixed_size 0
		.amdhsa_kernarg_size 68
		.amdhsa_user_sgpr_count 15
		.amdhsa_user_sgpr_dispatch_ptr 0
		.amdhsa_user_sgpr_queue_ptr 0
		.amdhsa_user_sgpr_kernarg_segment_ptr 1
		.amdhsa_user_sgpr_dispatch_id 0
		.amdhsa_user_sgpr_private_segment_size 0
		.amdhsa_wavefront_size32 1
		.amdhsa_uses_dynamic_stack 0
		.amdhsa_enable_private_segment 0
		.amdhsa_system_sgpr_workgroup_id_x 1
		.amdhsa_system_sgpr_workgroup_id_y 0
		.amdhsa_system_sgpr_workgroup_id_z 0
		.amdhsa_system_sgpr_workgroup_info 0
		.amdhsa_system_vgpr_workitem_id 0
		.amdhsa_next_free_vgpr 44
		.amdhsa_next_free_sgpr 16
		.amdhsa_reserve_vcc 1
		.amdhsa_float_round_mode_32 0
		.amdhsa_float_round_mode_16_64 0
		.amdhsa_float_denorm_mode_32 3
		.amdhsa_float_denorm_mode_16_64 3
		.amdhsa_dx10_clamp 1
		.amdhsa_ieee_mode 1
		.amdhsa_fp16_overflow 0
		.amdhsa_workgroup_processor_mode 1
		.amdhsa_memory_ordered 1
		.amdhsa_forward_progress 0
		.amdhsa_shared_vgpr_count 0
		.amdhsa_exception_fp_ieee_invalid_op 0
		.amdhsa_exception_fp_denorm_src 0
		.amdhsa_exception_fp_ieee_div_zero 0
		.amdhsa_exception_fp_ieee_overflow 0
		.amdhsa_exception_fp_ieee_underflow 0
		.amdhsa_exception_fp_ieee_inexact 0
		.amdhsa_exception_int_div_zero 0
	.end_amdhsa_kernel
	.section	.text._ZN5aiter37dynamic_per_group_scaled_quant_kernelIDF16_DB8_Li32ELi64ELb1ELi64ELb0EEEvPT0_PfPKT_PKfliilPKii,"axG",@progbits,_ZN5aiter37dynamic_per_group_scaled_quant_kernelIDF16_DB8_Li32ELi64ELb1ELi64ELb0EEEvPT0_PfPKT_PKfliilPKii,comdat
.Lfunc_end18:
	.size	_ZN5aiter37dynamic_per_group_scaled_quant_kernelIDF16_DB8_Li32ELi64ELb1ELi64ELb0EEEvPT0_PfPKT_PKfliilPKii, .Lfunc_end18-_ZN5aiter37dynamic_per_group_scaled_quant_kernelIDF16_DB8_Li32ELi64ELb1ELi64ELb0EEEvPT0_PfPKT_PKfliilPKii
                                        ; -- End function
	.section	.AMDGPU.csdata,"",@progbits
; Kernel info:
; codeLenInByte = 3588
; NumSgprs: 18
; NumVgprs: 44
; ScratchSize: 0
; MemoryBound: 0
; FloatMode: 240
; IeeeMode: 1
; LDSByteSize: 0 bytes/workgroup (compile time only)
; SGPRBlocks: 2
; VGPRBlocks: 5
; NumSGPRsForWavesPerEU: 18
; NumVGPRsForWavesPerEU: 44
; Occupancy: 16
; WaveLimiterHint : 0
; COMPUTE_PGM_RSRC2:SCRATCH_EN: 0
; COMPUTE_PGM_RSRC2:USER_SGPR: 15
; COMPUTE_PGM_RSRC2:TRAP_HANDLER: 0
; COMPUTE_PGM_RSRC2:TGID_X_EN: 1
; COMPUTE_PGM_RSRC2:TGID_Y_EN: 0
; COMPUTE_PGM_RSRC2:TGID_Z_EN: 0
; COMPUTE_PGM_RSRC2:TIDIG_COMP_CNT: 0
	.section	.text._ZN5aiter37dynamic_per_group_scaled_quant_kernelItDB8_Li32ELi64ELb1ELi64ELb0EEEvPT0_PfPKT_PKfliilPKii,"axG",@progbits,_ZN5aiter37dynamic_per_group_scaled_quant_kernelItDB8_Li32ELi64ELb1ELi64ELb0EEEvPT0_PfPKT_PKfliilPKii,comdat
	.protected	_ZN5aiter37dynamic_per_group_scaled_quant_kernelItDB8_Li32ELi64ELb1ELi64ELb0EEEvPT0_PfPKT_PKfliilPKii ; -- Begin function _ZN5aiter37dynamic_per_group_scaled_quant_kernelItDB8_Li32ELi64ELb1ELi64ELb0EEEvPT0_PfPKT_PKfliilPKii
	.globl	_ZN5aiter37dynamic_per_group_scaled_quant_kernelItDB8_Li32ELi64ELb1ELi64ELb0EEEvPT0_PfPKT_PKfliilPKii
	.p2align	8
	.type	_ZN5aiter37dynamic_per_group_scaled_quant_kernelItDB8_Li32ELi64ELb1ELi64ELb0EEEvPT0_PfPKT_PKfliilPKii,@function
_ZN5aiter37dynamic_per_group_scaled_quant_kernelItDB8_Li32ELi64ELb1ELi64ELb0EEEvPT0_PfPKT_PKfliilPKii: ; @_ZN5aiter37dynamic_per_group_scaled_quant_kernelItDB8_Li32ELi64ELb1ELi64ELb0EEEvPT0_PfPKT_PKfliilPKii
; %bb.0:
	s_load_b64 s[2:3], s[0:1], 0x38
	s_mov_b32 s4, s15
	s_waitcnt lgkmcnt(0)
	s_cmp_eq_u64 s[2:3], 0
	s_cbranch_scc1 .LBB19_2
; %bb.1:
	s_load_b32 s5, s[0:1], 0x40
	s_load_b32 s2, s[2:3], 0x0
	s_waitcnt lgkmcnt(0)
	s_mul_hi_i32 s7, s2, s5
	s_mul_i32 s6, s2, s5
	s_branch .LBB19_3
.LBB19_2:
	s_load_b64 s[6:7], s[0:1], 0x20
.LBB19_3:
	s_load_b64 s[2:3], s[0:1], 0x28
	s_mov_b32 s5, 0
	v_mov_b32_e32 v3, 0
	s_lshl_b64 s[4:5], s[4:5], 6
	s_delay_alu instid0(SALU_CYCLE_1) | instskip(SKIP_1) | instid1(VALU_DEP_1)
	v_or_b32_e32 v5, s4, v0
	v_mov_b32_e32 v6, s5
	v_lshrrev_b64 v[1:2], 1, v[5:6]
	s_waitcnt lgkmcnt(0)
	s_ashr_i32 s4, s2, 31
	s_delay_alu instid0(SALU_CYCLE_1) | instskip(NEXT) | instid1(SALU_CYCLE_1)
	s_lshr_b32 s4, s4, 26
	s_add_i32 s2, s2, s4
	s_delay_alu instid0(SALU_CYCLE_1) | instskip(NEXT) | instid1(SALU_CYCLE_1)
	s_ashr_i32 s10, s2, 6
	s_ashr_i32 s11, s10, 31
	s_delay_alu instid0(SALU_CYCLE_1) | instskip(NEXT) | instid1(VALU_DEP_1)
	v_or_b32_e32 v4, s11, v2
	v_cmp_ne_u64_e32 vcc_lo, 0, v[3:4]
                                        ; implicit-def: $vgpr3_vgpr4
	s_and_saveexec_b32 s2, vcc_lo
	s_delay_alu instid0(SALU_CYCLE_1)
	s_xor_b32 s12, exec_lo, s2
	s_cbranch_execnz .LBB19_7
; %bb.4:
	s_and_not1_saveexec_b32 s2, s12
	s_cbranch_execnz .LBB19_8
.LBB19_5:
	s_or_b32 exec_lo, exec_lo, s2
	s_delay_alu instid0(SALU_CYCLE_1)
	s_mov_b32 s2, exec_lo
	v_cmpx_gt_i64_e64 s[6:7], v[3:4]
	s_cbranch_execnz .LBB19_9
.LBB19_6:
	s_endpgm
.LBB19_7:
	s_add_u32 s8, s10, s11
	s_mov_b32 s4, s11
	s_mov_b32 s5, s11
	s_addc_u32 s9, s11, s11
	s_delay_alu instid0(SALU_CYCLE_1) | instskip(NEXT) | instid1(SALU_CYCLE_1)
	s_xor_b64 s[8:9], s[8:9], s[4:5]
	v_cvt_f32_u32_e32 v3, s8
	v_cvt_f32_u32_e32 v4, s9
	s_sub_u32 s2, 0, s8
	s_subb_u32 s13, 0, s9
	s_delay_alu instid0(VALU_DEP_1) | instskip(NEXT) | instid1(VALU_DEP_1)
	v_fmamk_f32 v3, v4, 0x4f800000, v3
	v_rcp_f32_e32 v3, v3
	s_waitcnt_depctr 0xfff
	v_mul_f32_e32 v3, 0x5f7ffffc, v3
	s_delay_alu instid0(VALU_DEP_1) | instskip(NEXT) | instid1(VALU_DEP_1)
	v_mul_f32_e32 v4, 0x2f800000, v3
	v_trunc_f32_e32 v4, v4
	s_delay_alu instid0(VALU_DEP_1) | instskip(SKIP_1) | instid1(VALU_DEP_2)
	v_fmamk_f32 v3, v4, 0xcf800000, v3
	v_cvt_u32_f32_e32 v4, v4
	v_cvt_u32_f32_e32 v3, v3
	s_delay_alu instid0(VALU_DEP_2) | instskip(NEXT) | instid1(VALU_DEP_2)
	v_mul_lo_u32 v5, s2, v4
	v_mul_hi_u32 v6, s2, v3
	v_mul_lo_u32 v7, s13, v3
	s_delay_alu instid0(VALU_DEP_2) | instskip(SKIP_1) | instid1(VALU_DEP_2)
	v_add_nc_u32_e32 v5, v6, v5
	v_mul_lo_u32 v6, s2, v3
	v_add_nc_u32_e32 v5, v5, v7
	s_delay_alu instid0(VALU_DEP_2) | instskip(NEXT) | instid1(VALU_DEP_2)
	v_mul_hi_u32 v7, v3, v6
	v_mul_lo_u32 v8, v3, v5
	v_mul_hi_u32 v9, v3, v5
	v_mul_hi_u32 v10, v4, v6
	v_mul_lo_u32 v6, v4, v6
	v_mul_hi_u32 v11, v4, v5
	v_mul_lo_u32 v5, v4, v5
	v_add_co_u32 v7, vcc_lo, v7, v8
	v_add_co_ci_u32_e32 v8, vcc_lo, 0, v9, vcc_lo
	s_delay_alu instid0(VALU_DEP_2) | instskip(NEXT) | instid1(VALU_DEP_2)
	v_add_co_u32 v6, vcc_lo, v7, v6
	v_add_co_ci_u32_e32 v6, vcc_lo, v8, v10, vcc_lo
	v_add_co_ci_u32_e32 v7, vcc_lo, 0, v11, vcc_lo
	s_delay_alu instid0(VALU_DEP_2) | instskip(NEXT) | instid1(VALU_DEP_2)
	v_add_co_u32 v5, vcc_lo, v6, v5
	v_add_co_ci_u32_e32 v6, vcc_lo, 0, v7, vcc_lo
	s_delay_alu instid0(VALU_DEP_2) | instskip(NEXT) | instid1(VALU_DEP_2)
	v_add_co_u32 v3, vcc_lo, v3, v5
	v_add_co_ci_u32_e32 v4, vcc_lo, v4, v6, vcc_lo
	s_delay_alu instid0(VALU_DEP_2) | instskip(SKIP_1) | instid1(VALU_DEP_3)
	v_mul_hi_u32 v5, s2, v3
	v_mul_lo_u32 v7, s13, v3
	v_mul_lo_u32 v6, s2, v4
	s_delay_alu instid0(VALU_DEP_1) | instskip(SKIP_1) | instid1(VALU_DEP_2)
	v_add_nc_u32_e32 v5, v5, v6
	v_mul_lo_u32 v6, s2, v3
	v_add_nc_u32_e32 v5, v5, v7
	s_delay_alu instid0(VALU_DEP_2) | instskip(NEXT) | instid1(VALU_DEP_2)
	v_mul_hi_u32 v7, v3, v6
	v_mul_lo_u32 v8, v3, v5
	v_mul_hi_u32 v9, v3, v5
	v_mul_hi_u32 v10, v4, v6
	v_mul_lo_u32 v6, v4, v6
	v_mul_hi_u32 v11, v4, v5
	v_mul_lo_u32 v5, v4, v5
	v_add_co_u32 v7, vcc_lo, v7, v8
	v_add_co_ci_u32_e32 v8, vcc_lo, 0, v9, vcc_lo
	s_delay_alu instid0(VALU_DEP_2) | instskip(NEXT) | instid1(VALU_DEP_2)
	v_add_co_u32 v6, vcc_lo, v7, v6
	v_add_co_ci_u32_e32 v6, vcc_lo, v8, v10, vcc_lo
	v_add_co_ci_u32_e32 v7, vcc_lo, 0, v11, vcc_lo
	s_delay_alu instid0(VALU_DEP_2) | instskip(NEXT) | instid1(VALU_DEP_2)
	v_add_co_u32 v5, vcc_lo, v6, v5
	v_add_co_ci_u32_e32 v6, vcc_lo, 0, v7, vcc_lo
	s_delay_alu instid0(VALU_DEP_2) | instskip(NEXT) | instid1(VALU_DEP_2)
	v_add_co_u32 v7, vcc_lo, v3, v5
	v_add_co_ci_u32_e32 v9, vcc_lo, v4, v6, vcc_lo
	s_delay_alu instid0(VALU_DEP_2) | instskip(SKIP_1) | instid1(VALU_DEP_3)
	v_mul_hi_u32 v10, v1, v7
	v_mad_u64_u32 v[5:6], null, v2, v7, 0
	v_mad_u64_u32 v[3:4], null, v1, v9, 0
	;; [unrolled: 1-line block ×3, first 2 shown]
	s_delay_alu instid0(VALU_DEP_2) | instskip(NEXT) | instid1(VALU_DEP_3)
	v_add_co_u32 v3, vcc_lo, v10, v3
	v_add_co_ci_u32_e32 v4, vcc_lo, 0, v4, vcc_lo
	s_delay_alu instid0(VALU_DEP_2) | instskip(NEXT) | instid1(VALU_DEP_2)
	v_add_co_u32 v3, vcc_lo, v3, v5
	v_add_co_ci_u32_e32 v3, vcc_lo, v4, v6, vcc_lo
	v_add_co_ci_u32_e32 v4, vcc_lo, 0, v8, vcc_lo
	s_delay_alu instid0(VALU_DEP_2) | instskip(NEXT) | instid1(VALU_DEP_2)
	v_add_co_u32 v5, vcc_lo, v3, v7
	v_add_co_ci_u32_e32 v6, vcc_lo, 0, v4, vcc_lo
	s_delay_alu instid0(VALU_DEP_2) | instskip(SKIP_1) | instid1(VALU_DEP_3)
	v_mul_lo_u32 v7, s9, v5
	v_mad_u64_u32 v[3:4], null, s8, v5, 0
	v_mul_lo_u32 v8, s8, v6
	s_delay_alu instid0(VALU_DEP_2) | instskip(NEXT) | instid1(VALU_DEP_2)
	v_sub_co_u32 v3, vcc_lo, v1, v3
	v_add3_u32 v4, v4, v8, v7
	s_delay_alu instid0(VALU_DEP_1) | instskip(NEXT) | instid1(VALU_DEP_1)
	v_sub_nc_u32_e32 v7, v2, v4
	v_subrev_co_ci_u32_e64 v7, s2, s9, v7, vcc_lo
	v_add_co_u32 v8, s2, v5, 2
	s_delay_alu instid0(VALU_DEP_1) | instskip(SKIP_3) | instid1(VALU_DEP_3)
	v_add_co_ci_u32_e64 v9, s2, 0, v6, s2
	v_sub_co_u32 v10, s2, v3, s8
	v_sub_co_ci_u32_e32 v4, vcc_lo, v2, v4, vcc_lo
	v_subrev_co_ci_u32_e64 v7, s2, 0, v7, s2
	v_cmp_le_u32_e32 vcc_lo, s8, v10
	s_delay_alu instid0(VALU_DEP_3) | instskip(SKIP_1) | instid1(VALU_DEP_4)
	v_cmp_eq_u32_e64 s2, s9, v4
	v_cndmask_b32_e64 v10, 0, -1, vcc_lo
	v_cmp_le_u32_e32 vcc_lo, s9, v7
	v_cndmask_b32_e64 v11, 0, -1, vcc_lo
	v_cmp_le_u32_e32 vcc_lo, s8, v3
	;; [unrolled: 2-line block ×3, first 2 shown]
	v_cndmask_b32_e64 v12, 0, -1, vcc_lo
	v_cmp_eq_u32_e32 vcc_lo, s9, v7
	s_delay_alu instid0(VALU_DEP_2) | instskip(SKIP_3) | instid1(VALU_DEP_3)
	v_cndmask_b32_e64 v3, v12, v3, s2
	v_cndmask_b32_e32 v7, v11, v10, vcc_lo
	v_add_co_u32 v10, vcc_lo, v5, 1
	v_add_co_ci_u32_e32 v11, vcc_lo, 0, v6, vcc_lo
	v_cmp_ne_u32_e32 vcc_lo, 0, v7
	s_delay_alu instid0(VALU_DEP_2) | instskip(SKIP_1) | instid1(VALU_DEP_2)
	v_dual_cndmask_b32 v4, v11, v9 :: v_dual_cndmask_b32 v7, v10, v8
	v_cmp_ne_u32_e32 vcc_lo, 0, v3
	v_dual_cndmask_b32 v3, v6, v4 :: v_dual_cndmask_b32 v4, v5, v7
	s_delay_alu instid0(VALU_DEP_1) | instskip(NEXT) | instid1(VALU_DEP_2)
	v_xor_b32_e32 v5, s5, v3
	v_xor_b32_e32 v4, s4, v4
	s_delay_alu instid0(VALU_DEP_1) | instskip(NEXT) | instid1(VALU_DEP_3)
	v_sub_co_u32 v3, vcc_lo, v4, s4
	v_subrev_co_ci_u32_e32 v4, vcc_lo, s5, v5, vcc_lo
                                        ; implicit-def: $vgpr5_vgpr6
	s_and_not1_saveexec_b32 s2, s12
	s_cbranch_execz .LBB19_5
.LBB19_8:
	v_cvt_f32_u32_e32 v3, s10
	s_sub_i32 s4, 0, s10
	v_alignbit_b32 v5, v6, v5, 1
	s_delay_alu instid0(VALU_DEP_2) | instskip(SKIP_2) | instid1(VALU_DEP_1)
	v_rcp_iflag_f32_e32 v3, v3
	s_waitcnt_depctr 0xfff
	v_mul_f32_e32 v3, 0x4f7ffffe, v3
	v_cvt_u32_f32_e32 v3, v3
	s_delay_alu instid0(VALU_DEP_1) | instskip(NEXT) | instid1(VALU_DEP_1)
	v_mul_lo_u32 v4, s4, v3
	v_mul_hi_u32 v4, v3, v4
	s_delay_alu instid0(VALU_DEP_1) | instskip(NEXT) | instid1(VALU_DEP_1)
	v_add_nc_u32_e32 v3, v3, v4
	v_mul_hi_u32 v3, v5, v3
	s_delay_alu instid0(VALU_DEP_1) | instskip(NEXT) | instid1(VALU_DEP_1)
	v_mul_lo_u32 v4, v3, s10
	v_sub_nc_u32_e32 v4, v5, v4
	v_add_nc_u32_e32 v5, 1, v3
	s_delay_alu instid0(VALU_DEP_2) | instskip(SKIP_1) | instid1(VALU_DEP_2)
	v_subrev_nc_u32_e32 v6, s10, v4
	v_cmp_le_u32_e32 vcc_lo, s10, v4
	v_dual_cndmask_b32 v4, v4, v6 :: v_dual_cndmask_b32 v3, v3, v5
	s_delay_alu instid0(VALU_DEP_1) | instskip(NEXT) | instid1(VALU_DEP_2)
	v_cmp_le_u32_e32 vcc_lo, s10, v4
	v_dual_mov_b32 v4, 0 :: v_dual_add_nc_u32 v5, 1, v3
	s_delay_alu instid0(VALU_DEP_1) | instskip(SKIP_1) | instid1(SALU_CYCLE_1)
	v_cndmask_b32_e32 v3, v3, v5, vcc_lo
	s_or_b32 exec_lo, exec_lo, s2
	s_mov_b32 s2, exec_lo
	s_delay_alu instid0(VALU_DEP_1)
	v_cmpx_gt_i64_e64 s[6:7], v[3:4]
	s_cbranch_execz .LBB19_6
.LBB19_9:
	s_ashr_i32 s2, s3, 31
	s_load_b64 s[4:5], s[0:1], 0x10
	v_mul_lo_u32 v9, v4, s10
	v_mul_lo_u32 v10, v3, s11
	v_mad_u64_u32 v[5:6], null, v3, s10, 0
	v_mul_lo_u32 v11, v4, s3
	v_mul_lo_u32 v12, v3, s2
	v_mad_u64_u32 v[7:8], null, v3, s3, 0
	v_and_b32_e32 v42, 1, v0
	s_mov_b32 s2, exec_lo
	v_add3_u32 v6, v6, v10, v9
	v_sub_co_u32 v5, vcc_lo, v1, v5
	v_mov_b32_e32 v10, 0
	v_add3_u32 v8, v8, v12, v11
	s_delay_alu instid0(VALU_DEP_4) | instskip(NEXT) | instid1(VALU_DEP_4)
	v_sub_co_ci_u32_e32 v2, vcc_lo, v2, v6, vcc_lo
	v_lshlrev_b32_e32 v9, 6, v5
	s_delay_alu instid0(VALU_DEP_3) | instskip(NEXT) | instid1(VALU_DEP_2)
	v_lshlrev_b64 v[6:7], 1, v[7:8]
	v_lshlrev_b64 v[8:9], 1, v[9:10]
	v_lshlrev_b32_e32 v10, 6, v42
	s_waitcnt lgkmcnt(0)
	s_delay_alu instid0(VALU_DEP_3) | instskip(NEXT) | instid1(VALU_DEP_4)
	v_add_co_u32 v6, vcc_lo, s4, v6
	v_add_co_ci_u32_e32 v7, vcc_lo, s5, v7, vcc_lo
	s_load_b64 s[4:5], s[0:1], 0x0
	s_delay_alu instid0(VALU_DEP_2) | instskip(NEXT) | instid1(VALU_DEP_2)
	v_add_co_u32 v6, vcc_lo, v6, v8
	v_add_co_ci_u32_e32 v7, vcc_lo, v7, v9, vcc_lo
	s_delay_alu instid0(VALU_DEP_2) | instskip(NEXT) | instid1(VALU_DEP_2)
	v_add_co_u32 v14, vcc_lo, v6, v10
	v_add_co_ci_u32_e32 v15, vcc_lo, 0, v7, vcc_lo
	s_clause 0x3
	global_load_b128 v[6:9], v[14:15], off
	global_load_b128 v[10:13], v[14:15], off offset:16
	global_load_b128 v[17:20], v[14:15], off offset:32
	;; [unrolled: 1-line block ×3, first 2 shown]
	s_waitcnt vmcnt(3)
	v_and_b32_e32 v14, 0xffff, v6
	v_lshrrev_b32_e32 v6, 16, v6
	v_and_b32_e32 v15, 0xffff, v7
	v_lshrrev_b32_e32 v7, 16, v7
	s_delay_alu instid0(VALU_DEP_4) | instskip(NEXT) | instid1(VALU_DEP_4)
	v_cvt_f32_u32_e32 v36, v14
	v_cvt_f32_u32_e32 v37, v6
	v_and_b32_e32 v6, 0xffff, v8
	v_lshrrev_b32_e32 v8, 16, v8
	v_cvt_f32_u32_e32 v34, v15
	v_cvt_f32_u32_e32 v35, v7
	v_max3_f32 v7, v36, 0x2edbe6ff, v37
	v_and_b32_e32 v14, 0xffff, v9
	v_lshrrev_b32_e32 v9, 16, v9
	v_cvt_f32_u32_e32 v30, v6
	v_cvt_f32_u32_e32 v31, v8
	v_max3_f32 v6, v7, v34, v35
	s_waitcnt vmcnt(2)
	v_and_b32_e32 v7, 0xffff, v10
	v_lshrrev_b32_e32 v8, 16, v10
	v_cvt_f32_u32_e32 v32, v14
	v_cvt_f32_u32_e32 v33, v9
	v_max3_f32 v6, v6, v30, v31
	v_and_b32_e32 v9, 0xffff, v11
	v_lshrrev_b32_e32 v10, 16, v11
	v_cvt_f32_u32_e32 v26, v7
	v_cvt_f32_u32_e32 v27, v8
	v_max3_f32 v6, v6, v32, v33
	v_and_b32_e32 v7, 0xffff, v12
	v_lshrrev_b32_e32 v8, 16, v12
	v_cvt_f32_u32_e32 v28, v9
	v_cvt_f32_u32_e32 v29, v10
	v_max3_f32 v6, v6, v26, v27
	v_and_b32_e32 v9, 0xffff, v13
	v_lshrrev_b32_e32 v10, 16, v13
	v_cvt_f32_u32_e32 v22, v7
	v_cvt_f32_u32_e32 v23, v8
	v_max3_f32 v6, v6, v28, v29
	s_waitcnt vmcnt(1)
	v_and_b32_e32 v7, 0xffff, v17
	v_lshrrev_b32_e32 v8, 16, v17
	v_cvt_f32_u32_e32 v24, v9
	v_cvt_f32_u32_e32 v25, v10
	v_max3_f32 v6, v6, v22, v23
	v_and_b32_e32 v9, 0xffff, v18
	v_lshrrev_b32_e32 v10, 16, v18
	v_cvt_f32_u32_e32 v16, v7
	v_cvt_f32_u32_e32 v17, v8
	v_max3_f32 v6, v6, v24, v25
	;; [unrolled: 21-line block ×3, first 2 shown]
	v_and_b32_e32 v7, 0xffff, v40
	v_lshrrev_b32_e32 v11, 16, v40
	v_cvt_f32_u32_e32 v8, v9
	v_cvt_f32_u32_e32 v9, v10
	v_max3_f32 v6, v6, v20, v21
	v_and_b32_e32 v38, 0xffff, v41
	v_lshrrev_b32_e32 v39, 16, v41
	v_cvt_f32_u32_e32 v10, v7
	v_cvt_f32_u32_e32 v11, v11
	v_max3_f32 v40, v6, v8, v9
	v_cvt_f32_u32_e32 v6, v38
	v_cvt_f32_u32_e32 v7, v39
	s_delay_alu instid0(VALU_DEP_3) | instskip(NEXT) | instid1(VALU_DEP_1)
	v_max3_f32 v38, v40, v10, v11
	v_max3_f32 v38, v38, v6, v7
	s_delay_alu instid0(VALU_DEP_1) | instskip(NEXT) | instid1(VALU_DEP_1)
	v_mov_b32_dpp v39, v38 quad_perm:[1,0,3,2] row_mask:0xf bank_mask:0xf
	v_cmp_gt_f32_e32 vcc_lo, v38, v39
	v_cndmask_b32_e32 v38, v39, v38, vcc_lo
	s_delay_alu instid0(VALU_DEP_1)
	v_mul_f32_e32 v38, 0x3b124925, v38
	v_cmpx_eq_u32_e32 0, v42
	s_cbranch_execz .LBB19_11
; %bb.10:
	s_load_b64 s[8:9], s[0:1], 0x8
	v_mul_lo_u32 v2, v2, s6
	v_mul_lo_u32 v41, v5, s7
	v_mad_u64_u32 v[39:40], null, v5, s6, 0
	s_delay_alu instid0(VALU_DEP_1) | instskip(SKIP_1) | instid1(VALU_DEP_2)
	v_add3_u32 v40, v40, v41, v2
	v_lshlrev_b64 v[2:3], 2, v[3:4]
	v_lshlrev_b64 v[39:40], 2, v[39:40]
	s_waitcnt lgkmcnt(0)
	s_delay_alu instid0(VALU_DEP_1) | instskip(NEXT) | instid1(VALU_DEP_2)
	v_add_co_u32 v4, vcc_lo, s8, v39
	v_add_co_ci_u32_e32 v5, vcc_lo, s9, v40, vcc_lo
	s_delay_alu instid0(VALU_DEP_2) | instskip(NEXT) | instid1(VALU_DEP_2)
	v_add_co_u32 v2, vcc_lo, v4, v2
	v_add_co_ci_u32_e32 v3, vcc_lo, v5, v3, vcc_lo
	global_store_b32 v[2:3], v38, off
.LBB19_11:
	s_or_b32 exec_lo, exec_lo, s2
	s_delay_alu instid0(VALU_DEP_2) | instskip(SKIP_2) | instid1(VALU_DEP_2)
	v_div_scale_f32 v2, null, v38, v38, 1.0
	v_div_scale_f32 v5, vcc_lo, 1.0, v38, 1.0
	s_load_b32 s6, s[0:1], 0x30
	v_rcp_f32_e32 v3, v2
	s_waitcnt lgkmcnt(0)
	s_and_b32 s5, s5, 0xffff
	s_mov_b32 s7, -1
	v_lshlrev_b32_e32 v0, 5, v0
	v_lshlrev_b32_e32 v1, 6, v1
	s_waitcnt_depctr 0xfff
	v_fma_f32 v4, -v2, v3, 1.0
	s_delay_alu instid0(VALU_DEP_1) | instskip(NEXT) | instid1(VALU_DEP_1)
	v_fmac_f32_e32 v3, v4, v3
	v_mul_f32_e32 v4, v5, v3
	s_delay_alu instid0(VALU_DEP_1) | instskip(NEXT) | instid1(VALU_DEP_1)
	v_fma_f32 v39, -v2, v4, v5
	v_fmac_f32_e32 v4, v39, v3
	v_and_or_b32 v39, v0, 32, v1
	s_delay_alu instid0(VALU_DEP_2) | instskip(SKIP_1) | instid1(VALU_DEP_2)
	v_fma_f32 v2, -v2, v4, v5
	v_mov_b32_e32 v5, 0xc3e00000
	v_div_fmas_f32 v2, v2, v3, v4
	s_delay_alu instid0(VALU_DEP_1) | instskip(NEXT) | instid1(VALU_DEP_1)
	v_div_fixup_f32 v4, v2, v38, 1.0
	v_dual_mov_b32 v38, 0x43e00000 :: v_dual_mul_f32 v1, v4, v37
	v_mul_f32_e32 v0, v4, v36
	v_mul_f32_e32 v2, v4, v34
	;; [unrolled: 1-line block ×3, first 2 shown]
	;;#ASMSTART
	v_med3_f32 v0, v0, v5, v38
v_med3_f32 v1, v1, v5, v38
v_cvt_pk_fp8_f32 v34, v0, v1
	;;#ASMEND
	v_mul_f32_e32 v30, v4, v30
	v_mul_f32_e32 v31, v4, v31
	;; [unrolled: 1-line block ×6, first 2 shown]
	;;#ASMSTART
	v_med3_f32 v2, v2, v5, v38
v_med3_f32 v3, v3, v5, v38
v_cvt_pk_fp8_f32 v0, v2, v3
	;;#ASMEND
	v_mul_f32_e32 v28, v4, v28
	v_mul_f32_e32 v29, v4, v29
	;; [unrolled: 1-line block ×4, first 2 shown]
	;;#ASMSTART
	v_med3_f32 v30, v30, v5, v38
v_med3_f32 v31, v31, v5, v38
v_cvt_pk_fp8_f32 v1, v30, v31
	;;#ASMEND
	;;#ASMSTART
	v_med3_f32 v32, v32, v5, v38
v_med3_f32 v33, v33, v5, v38
v_cvt_pk_fp8_f32 v2, v32, v33
	;;#ASMEND
	;;#ASMSTART
	v_med3_f32 v26, v26, v5, v38
v_med3_f32 v27, v27, v5, v38
v_cvt_pk_fp8_f32 v3, v26, v27
	;;#ASMEND
	;;#ASMSTART
	v_med3_f32 v28, v28, v5, v38
v_med3_f32 v29, v29, v5, v38
v_cvt_pk_fp8_f32 v26, v28, v29
	;;#ASMEND
	;;#ASMSTART
	v_med3_f32 v22, v22, v5, v38
v_med3_f32 v23, v23, v5, v38
v_cvt_pk_fp8_f32 v27, v22, v23
	;;#ASMEND
	v_perm_b32 v22, v0, v34, 0x5040100
	v_mul_f32_e32 v24, v4, v24
	v_mul_f32_e32 v25, v4, v25
	;;#ASMSTART
	v_med3_f32 v24, v24, v5, v38
v_med3_f32 v25, v25, v5, v38
v_cvt_pk_fp8_f32 v23, v24, v25
	;;#ASMEND
	v_perm_b32 v1, v1, v2, 0x1000504
	v_perm_b32 v2, v3, v26, 0x1000504
	;; [unrolled: 1-line block ×4, first 2 shown]
	v_mul_f32_e32 v16, v4, v16
	v_mul_f32_e32 v17, v4, v17
	;; [unrolled: 1-line block ×4, first 2 shown]
	buffer_store_b128 v[0:3], v39, s[4:7], 0 offen
	;;#ASMSTART
	s_nop 0
	;;#ASMEND
	;;#ASMSTART
	v_med3_f32 v16, v16, v5, v38
v_med3_f32 v17, v17, v5, v38
v_cvt_pk_fp8_f32 v0, v16, v17
	;;#ASMEND
	;;#ASMSTART
	v_med3_f32 v18, v18, v5, v38
v_med3_f32 v19, v19, v5, v38
v_cvt_pk_fp8_f32 v16, v18, v19
	;;#ASMEND
	v_perm_b32 v0, v16, v0, 0x5040100
	v_mul_f32_e32 v12, v4, v12
	v_mul_f32_e32 v13, v4, v13
	;; [unrolled: 1-line block ×8, first 2 shown]
	;;#ASMSTART
	v_med3_f32 v12, v12, v5, v38
v_med3_f32 v13, v13, v5, v38
v_cvt_pk_fp8_f32 v1, v12, v13
	;;#ASMEND
	;;#ASMSTART
	v_med3_f32 v14, v14, v5, v38
v_med3_f32 v15, v15, v5, v38
v_cvt_pk_fp8_f32 v2, v14, v15
	;;#ASMEND
	v_mul_f32_e32 v10, v4, v10
	v_mul_f32_e32 v11, v4, v11
	v_perm_b32 v1, v1, v2, 0x1000504
	v_mul_f32_e32 v3, v4, v6
	v_mul_f32_e32 v4, v4, v7
	;;#ASMSTART
	v_med3_f32 v20, v20, v5, v38
v_med3_f32 v21, v21, v5, v38
v_cvt_pk_fp8_f32 v2, v20, v21
	;;#ASMEND
	;;#ASMSTART
	v_med3_f32 v8, v8, v5, v38
v_med3_f32 v9, v9, v5, v38
v_cvt_pk_fp8_f32 v6, v8, v9
	;;#ASMEND
	v_perm_b32 v2, v2, v6, 0x1000504
	;;#ASMSTART
	v_med3_f32 v10, v10, v5, v38
v_med3_f32 v11, v11, v5, v38
v_cvt_pk_fp8_f32 v6, v10, v11
	;;#ASMEND
	;;#ASMSTART
	v_med3_f32 v3, v3, v5, v38
v_med3_f32 v4, v4, v5, v38
v_cvt_pk_fp8_f32 v5, v3, v4
	;;#ASMEND
	v_perm_b32 v3, v6, v5, 0x1000504
	v_perm_b32 v0, v0, v16, 0x1060504
	buffer_store_b128 v[0:3], v39, s[4:7], 16 offen
	;;#ASMSTART
	s_nop 0
	;;#ASMEND
	s_nop 0
	s_sendmsg sendmsg(MSG_DEALLOC_VGPRS)
	s_endpgm
	.section	.rodata,"a",@progbits
	.p2align	6, 0x0
	.amdhsa_kernel _ZN5aiter37dynamic_per_group_scaled_quant_kernelItDB8_Li32ELi64ELb1ELi64ELb0EEEvPT0_PfPKT_PKfliilPKii
		.amdhsa_group_segment_fixed_size 0
		.amdhsa_private_segment_fixed_size 0
		.amdhsa_kernarg_size 68
		.amdhsa_user_sgpr_count 15
		.amdhsa_user_sgpr_dispatch_ptr 0
		.amdhsa_user_sgpr_queue_ptr 0
		.amdhsa_user_sgpr_kernarg_segment_ptr 1
		.amdhsa_user_sgpr_dispatch_id 0
		.amdhsa_user_sgpr_private_segment_size 0
		.amdhsa_wavefront_size32 1
		.amdhsa_uses_dynamic_stack 0
		.amdhsa_enable_private_segment 0
		.amdhsa_system_sgpr_workgroup_id_x 1
		.amdhsa_system_sgpr_workgroup_id_y 0
		.amdhsa_system_sgpr_workgroup_id_z 0
		.amdhsa_system_sgpr_workgroup_info 0
		.amdhsa_system_vgpr_workitem_id 0
		.amdhsa_next_free_vgpr 43
		.amdhsa_next_free_sgpr 16
		.amdhsa_reserve_vcc 1
		.amdhsa_float_round_mode_32 0
		.amdhsa_float_round_mode_16_64 0
		.amdhsa_float_denorm_mode_32 3
		.amdhsa_float_denorm_mode_16_64 3
		.amdhsa_dx10_clamp 1
		.amdhsa_ieee_mode 1
		.amdhsa_fp16_overflow 0
		.amdhsa_workgroup_processor_mode 1
		.amdhsa_memory_ordered 1
		.amdhsa_forward_progress 0
		.amdhsa_shared_vgpr_count 0
		.amdhsa_exception_fp_ieee_invalid_op 0
		.amdhsa_exception_fp_denorm_src 0
		.amdhsa_exception_fp_ieee_div_zero 0
		.amdhsa_exception_fp_ieee_overflow 0
		.amdhsa_exception_fp_ieee_underflow 0
		.amdhsa_exception_fp_ieee_inexact 0
		.amdhsa_exception_int_div_zero 0
	.end_amdhsa_kernel
	.section	.text._ZN5aiter37dynamic_per_group_scaled_quant_kernelItDB8_Li32ELi64ELb1ELi64ELb0EEEvPT0_PfPKT_PKfliilPKii,"axG",@progbits,_ZN5aiter37dynamic_per_group_scaled_quant_kernelItDB8_Li32ELi64ELb1ELi64ELb0EEEvPT0_PfPKT_PKfliilPKii,comdat
.Lfunc_end19:
	.size	_ZN5aiter37dynamic_per_group_scaled_quant_kernelItDB8_Li32ELi64ELb1ELi64ELb0EEEvPT0_PfPKT_PKfliilPKii, .Lfunc_end19-_ZN5aiter37dynamic_per_group_scaled_quant_kernelItDB8_Li32ELi64ELb1ELi64ELb0EEEvPT0_PfPKT_PKfliilPKii
                                        ; -- End function
	.section	.AMDGPU.csdata,"",@progbits
; Kernel info:
; codeLenInByte = 3440
; NumSgprs: 18
; NumVgprs: 43
; ScratchSize: 0
; MemoryBound: 0
; FloatMode: 240
; IeeeMode: 1
; LDSByteSize: 0 bytes/workgroup (compile time only)
; SGPRBlocks: 2
; VGPRBlocks: 5
; NumSGPRsForWavesPerEU: 18
; NumVGPRsForWavesPerEU: 43
; Occupancy: 16
; WaveLimiterHint : 0
; COMPUTE_PGM_RSRC2:SCRATCH_EN: 0
; COMPUTE_PGM_RSRC2:USER_SGPR: 15
; COMPUTE_PGM_RSRC2:TRAP_HANDLER: 0
; COMPUTE_PGM_RSRC2:TGID_X_EN: 1
; COMPUTE_PGM_RSRC2:TGID_Y_EN: 0
; COMPUTE_PGM_RSRC2:TGID_Z_EN: 0
; COMPUTE_PGM_RSRC2:TIDIG_COMP_CNT: 0
	.section	.text._ZN5aiter37dynamic_per_group_scaled_quant_kernelIDF16_aLi32ELi64ELb1ELi64ELb0EEEvPT0_PfPKT_PKfliilPKii,"axG",@progbits,_ZN5aiter37dynamic_per_group_scaled_quant_kernelIDF16_aLi32ELi64ELb1ELi64ELb0EEEvPT0_PfPKT_PKfliilPKii,comdat
	.protected	_ZN5aiter37dynamic_per_group_scaled_quant_kernelIDF16_aLi32ELi64ELb1ELi64ELb0EEEvPT0_PfPKT_PKfliilPKii ; -- Begin function _ZN5aiter37dynamic_per_group_scaled_quant_kernelIDF16_aLi32ELi64ELb1ELi64ELb0EEEvPT0_PfPKT_PKfliilPKii
	.globl	_ZN5aiter37dynamic_per_group_scaled_quant_kernelIDF16_aLi32ELi64ELb1ELi64ELb0EEEvPT0_PfPKT_PKfliilPKii
	.p2align	8
	.type	_ZN5aiter37dynamic_per_group_scaled_quant_kernelIDF16_aLi32ELi64ELb1ELi64ELb0EEEvPT0_PfPKT_PKfliilPKii,@function
_ZN5aiter37dynamic_per_group_scaled_quant_kernelIDF16_aLi32ELi64ELb1ELi64ELb0EEEvPT0_PfPKT_PKfliilPKii: ; @_ZN5aiter37dynamic_per_group_scaled_quant_kernelIDF16_aLi32ELi64ELb1ELi64ELb0EEEvPT0_PfPKT_PKfliilPKii
; %bb.0:
	s_load_b64 s[2:3], s[0:1], 0x38
	s_mov_b32 s4, s15
	s_waitcnt lgkmcnt(0)
	s_cmp_eq_u64 s[2:3], 0
	s_cbranch_scc1 .LBB20_2
; %bb.1:
	s_load_b32 s5, s[0:1], 0x40
	s_load_b32 s2, s[2:3], 0x0
	s_waitcnt lgkmcnt(0)
	s_mul_hi_i32 s7, s2, s5
	s_mul_i32 s6, s2, s5
	s_branch .LBB20_3
.LBB20_2:
	s_load_b64 s[6:7], s[0:1], 0x20
.LBB20_3:
	s_load_b64 s[2:3], s[0:1], 0x28
	s_mov_b32 s5, 0
                                        ; implicit-def: $vgpr19_vgpr20
	v_mov_b32_e32 v3, 0
	s_lshl_b64 s[4:5], s[4:5], 6
	s_delay_alu instid0(SALU_CYCLE_1) | instskip(SKIP_1) | instid1(VALU_DEP_1)
	v_or_b32_e32 v1, s4, v0
	v_mov_b32_e32 v2, s5
	v_lshrrev_b64 v[17:18], 1, v[1:2]
	s_waitcnt lgkmcnt(0)
	s_ashr_i32 s4, s2, 31
	s_delay_alu instid0(SALU_CYCLE_1) | instskip(NEXT) | instid1(SALU_CYCLE_1)
	s_lshr_b32 s4, s4, 26
	s_add_i32 s2, s2, s4
	s_delay_alu instid0(SALU_CYCLE_1) | instskip(SKIP_2) | instid1(SALU_CYCLE_1)
	s_ashr_i32 s10, s2, 6
	s_mov_b32 s2, exec_lo
	s_ashr_i32 s11, s10, 31
	v_or_b32_e32 v4, s11, v18
	s_delay_alu instid0(VALU_DEP_1)
	v_cmpx_ne_u64_e32 0, v[3:4]
	s_xor_b32 s12, exec_lo, s2
	s_cbranch_execnz .LBB20_7
; %bb.4:
	s_and_not1_saveexec_b32 s2, s12
	s_cbranch_execnz .LBB20_8
.LBB20_5:
	s_or_b32 exec_lo, exec_lo, s2
	s_delay_alu instid0(SALU_CYCLE_1)
	s_mov_b32 s2, exec_lo
	v_cmpx_gt_i64_e64 s[6:7], v[19:20]
	s_cbranch_execnz .LBB20_9
.LBB20_6:
	s_endpgm
.LBB20_7:
	s_add_u32 s8, s10, s11
	s_mov_b32 s4, s11
	s_mov_b32 s5, s11
	s_addc_u32 s9, s11, s11
	s_delay_alu instid0(SALU_CYCLE_1) | instskip(NEXT) | instid1(SALU_CYCLE_1)
	s_xor_b64 s[8:9], s[8:9], s[4:5]
	v_cvt_f32_u32_e32 v1, s8
	v_cvt_f32_u32_e32 v2, s9
	s_sub_u32 s2, 0, s8
	s_subb_u32 s13, 0, s9
	s_delay_alu instid0(VALU_DEP_1) | instskip(NEXT) | instid1(VALU_DEP_1)
	v_fmamk_f32 v1, v2, 0x4f800000, v1
	v_rcp_f32_e32 v1, v1
	s_waitcnt_depctr 0xfff
	v_mul_f32_e32 v1, 0x5f7ffffc, v1
	s_delay_alu instid0(VALU_DEP_1) | instskip(NEXT) | instid1(VALU_DEP_1)
	v_mul_f32_e32 v2, 0x2f800000, v1
	v_trunc_f32_e32 v2, v2
	s_delay_alu instid0(VALU_DEP_1) | instskip(SKIP_1) | instid1(VALU_DEP_2)
	v_fmamk_f32 v1, v2, 0xcf800000, v1
	v_cvt_u32_f32_e32 v2, v2
	v_cvt_u32_f32_e32 v1, v1
	s_delay_alu instid0(VALU_DEP_2) | instskip(NEXT) | instid1(VALU_DEP_2)
	v_mul_lo_u32 v3, s2, v2
	v_mul_hi_u32 v4, s2, v1
	v_mul_lo_u32 v5, s13, v1
	s_delay_alu instid0(VALU_DEP_2) | instskip(SKIP_1) | instid1(VALU_DEP_2)
	v_add_nc_u32_e32 v3, v4, v3
	v_mul_lo_u32 v4, s2, v1
	v_add_nc_u32_e32 v3, v3, v5
	s_delay_alu instid0(VALU_DEP_2) | instskip(NEXT) | instid1(VALU_DEP_2)
	v_mul_hi_u32 v5, v1, v4
	v_mul_lo_u32 v6, v1, v3
	v_mul_hi_u32 v7, v1, v3
	v_mul_hi_u32 v8, v2, v4
	v_mul_lo_u32 v4, v2, v4
	v_mul_hi_u32 v9, v2, v3
	v_mul_lo_u32 v3, v2, v3
	v_add_co_u32 v5, vcc_lo, v5, v6
	v_add_co_ci_u32_e32 v6, vcc_lo, 0, v7, vcc_lo
	s_delay_alu instid0(VALU_DEP_2) | instskip(NEXT) | instid1(VALU_DEP_2)
	v_add_co_u32 v4, vcc_lo, v5, v4
	v_add_co_ci_u32_e32 v4, vcc_lo, v6, v8, vcc_lo
	v_add_co_ci_u32_e32 v5, vcc_lo, 0, v9, vcc_lo
	s_delay_alu instid0(VALU_DEP_2) | instskip(NEXT) | instid1(VALU_DEP_2)
	v_add_co_u32 v3, vcc_lo, v4, v3
	v_add_co_ci_u32_e32 v4, vcc_lo, 0, v5, vcc_lo
	s_delay_alu instid0(VALU_DEP_2) | instskip(NEXT) | instid1(VALU_DEP_2)
	v_add_co_u32 v1, vcc_lo, v1, v3
	v_add_co_ci_u32_e32 v2, vcc_lo, v2, v4, vcc_lo
	s_delay_alu instid0(VALU_DEP_2) | instskip(SKIP_1) | instid1(VALU_DEP_3)
	v_mul_hi_u32 v3, s2, v1
	v_mul_lo_u32 v5, s13, v1
	v_mul_lo_u32 v4, s2, v2
	s_delay_alu instid0(VALU_DEP_1) | instskip(SKIP_1) | instid1(VALU_DEP_2)
	v_add_nc_u32_e32 v3, v3, v4
	v_mul_lo_u32 v4, s2, v1
	v_add_nc_u32_e32 v3, v3, v5
	s_delay_alu instid0(VALU_DEP_2) | instskip(NEXT) | instid1(VALU_DEP_2)
	v_mul_hi_u32 v5, v1, v4
	v_mul_lo_u32 v6, v1, v3
	v_mul_hi_u32 v7, v1, v3
	v_mul_hi_u32 v8, v2, v4
	v_mul_lo_u32 v4, v2, v4
	v_mul_hi_u32 v9, v2, v3
	v_mul_lo_u32 v3, v2, v3
	v_add_co_u32 v5, vcc_lo, v5, v6
	v_add_co_ci_u32_e32 v6, vcc_lo, 0, v7, vcc_lo
	s_delay_alu instid0(VALU_DEP_2) | instskip(NEXT) | instid1(VALU_DEP_2)
	v_add_co_u32 v4, vcc_lo, v5, v4
	v_add_co_ci_u32_e32 v4, vcc_lo, v6, v8, vcc_lo
	v_add_co_ci_u32_e32 v5, vcc_lo, 0, v9, vcc_lo
	s_delay_alu instid0(VALU_DEP_2) | instskip(NEXT) | instid1(VALU_DEP_2)
	v_add_co_u32 v3, vcc_lo, v4, v3
	v_add_co_ci_u32_e32 v4, vcc_lo, 0, v5, vcc_lo
	s_delay_alu instid0(VALU_DEP_2) | instskip(NEXT) | instid1(VALU_DEP_2)
	v_add_co_u32 v5, vcc_lo, v1, v3
	v_add_co_ci_u32_e32 v7, vcc_lo, v2, v4, vcc_lo
	s_delay_alu instid0(VALU_DEP_2) | instskip(SKIP_1) | instid1(VALU_DEP_3)
	v_mul_hi_u32 v8, v17, v5
	v_mad_u64_u32 v[3:4], null, v18, v5, 0
	v_mad_u64_u32 v[1:2], null, v17, v7, 0
	;; [unrolled: 1-line block ×3, first 2 shown]
	s_delay_alu instid0(VALU_DEP_2) | instskip(NEXT) | instid1(VALU_DEP_3)
	v_add_co_u32 v1, vcc_lo, v8, v1
	v_add_co_ci_u32_e32 v2, vcc_lo, 0, v2, vcc_lo
	s_delay_alu instid0(VALU_DEP_2) | instskip(NEXT) | instid1(VALU_DEP_2)
	v_add_co_u32 v1, vcc_lo, v1, v3
	v_add_co_ci_u32_e32 v1, vcc_lo, v2, v4, vcc_lo
	v_add_co_ci_u32_e32 v2, vcc_lo, 0, v6, vcc_lo
	s_delay_alu instid0(VALU_DEP_2) | instskip(NEXT) | instid1(VALU_DEP_2)
	v_add_co_u32 v3, vcc_lo, v1, v5
	v_add_co_ci_u32_e32 v4, vcc_lo, 0, v2, vcc_lo
	s_delay_alu instid0(VALU_DEP_2) | instskip(SKIP_1) | instid1(VALU_DEP_3)
	v_mul_lo_u32 v5, s9, v3
	v_mad_u64_u32 v[1:2], null, s8, v3, 0
	v_mul_lo_u32 v6, s8, v4
	s_delay_alu instid0(VALU_DEP_2) | instskip(NEXT) | instid1(VALU_DEP_2)
	v_sub_co_u32 v1, vcc_lo, v17, v1
	v_add3_u32 v2, v2, v6, v5
	s_delay_alu instid0(VALU_DEP_1) | instskip(NEXT) | instid1(VALU_DEP_1)
	v_sub_nc_u32_e32 v5, v18, v2
	v_subrev_co_ci_u32_e64 v5, s2, s9, v5, vcc_lo
	v_add_co_u32 v6, s2, v3, 2
	s_delay_alu instid0(VALU_DEP_1) | instskip(SKIP_3) | instid1(VALU_DEP_3)
	v_add_co_ci_u32_e64 v7, s2, 0, v4, s2
	v_sub_co_u32 v8, s2, v1, s8
	v_sub_co_ci_u32_e32 v2, vcc_lo, v18, v2, vcc_lo
	v_subrev_co_ci_u32_e64 v5, s2, 0, v5, s2
	v_cmp_le_u32_e32 vcc_lo, s8, v8
	s_delay_alu instid0(VALU_DEP_3) | instskip(SKIP_1) | instid1(VALU_DEP_4)
	v_cmp_eq_u32_e64 s2, s9, v2
	v_cndmask_b32_e64 v8, 0, -1, vcc_lo
	v_cmp_le_u32_e32 vcc_lo, s9, v5
	v_cndmask_b32_e64 v9, 0, -1, vcc_lo
	v_cmp_le_u32_e32 vcc_lo, s8, v1
	;; [unrolled: 2-line block ×3, first 2 shown]
	v_cndmask_b32_e64 v10, 0, -1, vcc_lo
	v_cmp_eq_u32_e32 vcc_lo, s9, v5
	s_delay_alu instid0(VALU_DEP_2) | instskip(SKIP_3) | instid1(VALU_DEP_3)
	v_cndmask_b32_e64 v1, v10, v1, s2
	v_cndmask_b32_e32 v5, v9, v8, vcc_lo
	v_add_co_u32 v8, vcc_lo, v3, 1
	v_add_co_ci_u32_e32 v9, vcc_lo, 0, v4, vcc_lo
	v_cmp_ne_u32_e32 vcc_lo, 0, v5
	s_delay_alu instid0(VALU_DEP_2) | instskip(SKIP_1) | instid1(VALU_DEP_2)
	v_dual_cndmask_b32 v2, v9, v7 :: v_dual_cndmask_b32 v5, v8, v6
	v_cmp_ne_u32_e32 vcc_lo, 0, v1
	v_dual_cndmask_b32 v1, v4, v2 :: v_dual_cndmask_b32 v2, v3, v5
	s_delay_alu instid0(VALU_DEP_1) | instskip(NEXT) | instid1(VALU_DEP_2)
	v_xor_b32_e32 v1, s5, v1
	v_xor_b32_e32 v2, s4, v2
	s_delay_alu instid0(VALU_DEP_1) | instskip(NEXT) | instid1(VALU_DEP_3)
	v_sub_co_u32 v19, vcc_lo, v2, s4
	v_subrev_co_ci_u32_e32 v20, vcc_lo, s5, v1, vcc_lo
                                        ; implicit-def: $vgpr1_vgpr2
	s_and_not1_saveexec_b32 s2, s12
	s_cbranch_execz .LBB20_5
.LBB20_8:
	v_cvt_f32_u32_e32 v3, s10
	s_sub_i32 s4, 0, s10
	v_alignbit_b32 v1, v2, v1, 1
	v_mov_b32_e32 v20, 0
	s_delay_alu instid0(VALU_DEP_3) | instskip(SKIP_2) | instid1(VALU_DEP_1)
	v_rcp_iflag_f32_e32 v3, v3
	s_waitcnt_depctr 0xfff
	v_mul_f32_e32 v3, 0x4f7ffffe, v3
	v_cvt_u32_f32_e32 v3, v3
	s_delay_alu instid0(VALU_DEP_1) | instskip(NEXT) | instid1(VALU_DEP_1)
	v_mul_lo_u32 v4, s4, v3
	v_mul_hi_u32 v4, v3, v4
	s_delay_alu instid0(VALU_DEP_1) | instskip(NEXT) | instid1(VALU_DEP_1)
	v_add_nc_u32_e32 v2, v3, v4
	v_mul_hi_u32 v2, v1, v2
	s_delay_alu instid0(VALU_DEP_1) | instskip(NEXT) | instid1(VALU_DEP_1)
	v_mul_lo_u32 v3, v2, s10
	v_sub_nc_u32_e32 v1, v1, v3
	v_add_nc_u32_e32 v3, 1, v2
	s_delay_alu instid0(VALU_DEP_2) | instskip(SKIP_1) | instid1(VALU_DEP_2)
	v_subrev_nc_u32_e32 v4, s10, v1
	v_cmp_le_u32_e32 vcc_lo, s10, v1
	v_dual_cndmask_b32 v1, v1, v4 :: v_dual_cndmask_b32 v2, v2, v3
	s_delay_alu instid0(VALU_DEP_1) | instskip(NEXT) | instid1(VALU_DEP_2)
	v_cmp_le_u32_e32 vcc_lo, s10, v1
	v_add_nc_u32_e32 v3, 1, v2
	s_delay_alu instid0(VALU_DEP_1) | instskip(SKIP_1) | instid1(SALU_CYCLE_1)
	v_cndmask_b32_e32 v19, v2, v3, vcc_lo
	s_or_b32 exec_lo, exec_lo, s2
	s_mov_b32 s2, exec_lo
	s_delay_alu instid0(VALU_DEP_1)
	v_cmpx_gt_i64_e64 s[6:7], v[19:20]
	s_cbranch_execz .LBB20_6
.LBB20_9:
	s_ashr_i32 s2, s3, 31
	s_load_b64 s[4:5], s[0:1], 0x10
	v_mul_lo_u32 v5, v20, s10
	v_mul_lo_u32 v6, v19, s11
	v_mad_u64_u32 v[1:2], null, v19, s10, 0
	v_mul_lo_u32 v7, v20, s3
	v_mul_lo_u32 v8, v19, s2
	v_mad_u64_u32 v[3:4], null, v19, s3, 0
	v_and_b32_e32 v39, 1, v0
	s_mov_b32 s2, exec_lo
	v_add3_u32 v2, v2, v6, v5
	v_sub_co_u32 v28, vcc_lo, v17, v1
	s_delay_alu instid0(VALU_DEP_3) | instskip(SKIP_1) | instid1(VALU_DEP_4)
	v_lshlrev_b32_e32 v5, 6, v39
	v_add3_u32 v4, v4, v8, v7
	v_sub_co_ci_u32_e32 v29, vcc_lo, v18, v2, vcc_lo
	s_delay_alu instid0(VALU_DEP_4) | instskip(NEXT) | instid1(VALU_DEP_3)
	v_dual_mov_b32 v2, 0 :: v_dual_lshlrev_b32 v1, 6, v28
	v_lshlrev_b64 v[3:4], 1, v[3:4]
	s_delay_alu instid0(VALU_DEP_2) | instskip(SKIP_1) | instid1(VALU_DEP_2)
	v_lshlrev_b64 v[1:2], 1, v[1:2]
	s_waitcnt lgkmcnt(0)
	v_add_co_u32 v3, vcc_lo, s4, v3
	s_delay_alu instid0(VALU_DEP_3) | instskip(SKIP_1) | instid1(VALU_DEP_2)
	v_add_co_ci_u32_e32 v4, vcc_lo, s5, v4, vcc_lo
	s_load_b64 s[4:5], s[0:1], 0x0
	v_add_co_u32 v1, vcc_lo, v3, v1
	s_delay_alu instid0(VALU_DEP_2) | instskip(NEXT) | instid1(VALU_DEP_2)
	v_add_co_ci_u32_e32 v2, vcc_lo, v4, v2, vcc_lo
	v_add_co_u32 v5, vcc_lo, v1, v5
	s_delay_alu instid0(VALU_DEP_2)
	v_add_co_ci_u32_e32 v6, vcc_lo, 0, v2, vcc_lo
	s_clause 0x3
	global_load_b128 v[9:12], v[5:6], off
	global_load_b128 v[13:16], v[5:6], off offset:16
	global_load_b128 v[1:4], v[5:6], off offset:32
	;; [unrolled: 1-line block ×3, first 2 shown]
	s_waitcnt vmcnt(3)
	v_lshrrev_b32_e32 v31, 16, v9
	v_cvt_f32_f16_e64 v18, |v9|
	v_lshrrev_b32_e32 v30, 16, v10
	v_cvt_f32_f16_e64 v22, |v10|
	;; [unrolled: 2-line block ×4, first 2 shown]
	s_waitcnt vmcnt(2)
	v_lshrrev_b32_e32 v34, 16, v13
	v_cvt_f32_f16_e64 v24, |v32|
	v_max3_f32 v18, v18, 0x2edbe6ff, v21
	v_cvt_f32_f16_e64 v21, |v11|
	v_lshrrev_b32_e32 v35, 16, v14
	v_lshrrev_b32_e32 v36, 16, v15
	;; [unrolled: 1-line block ×3, first 2 shown]
	v_max3_f32 v18, v18, v22, v23
	v_cvt_f32_f16_e64 v22, |v12|
	v_cvt_f32_f16_e64 v23, |v33|
	s_delay_alu instid0(VALU_DEP_4) | instskip(NEXT) | instid1(VALU_DEP_4)
	v_cvt_f32_f16_e64 v25, |v37|
	v_max3_f32 v18, v18, v21, v24
	v_cvt_f32_f16_e64 v21, |v13|
	v_cvt_f32_f16_e64 v24, |v34|
	s_delay_alu instid0(VALU_DEP_3) | instskip(SKIP_2) | instid1(VALU_DEP_3)
	v_max3_f32 v18, v18, v22, v23
	v_cvt_f32_f16_e64 v22, |v14|
	v_cvt_f32_f16_e64 v23, |v35|
	v_max3_f32 v18, v18, v21, v24
	v_cvt_f32_f16_e64 v21, |v15|
	v_cvt_f32_f16_e64 v24, |v36|
	s_delay_alu instid0(VALU_DEP_3) | instskip(SKIP_3) | instid1(VALU_DEP_3)
	v_max3_f32 v22, v18, v22, v23
	v_cvt_f32_f16_e64 v23, |v16|
	s_waitcnt vmcnt(1)
	v_lshrrev_b32_e32 v18, 16, v1
	v_max3_f32 v22, v22, v21, v24
	v_cvt_f32_f16_e64 v24, |v1|
	v_lshrrev_b32_e32 v21, 16, v2
	s_delay_alu instid0(VALU_DEP_4) | instskip(NEXT) | instid1(VALU_DEP_4)
	v_cvt_f32_f16_e64 v26, |v18|
	v_max3_f32 v23, v22, v23, v25
	v_cvt_f32_f16_e64 v25, |v2|
	v_lshrrev_b32_e32 v22, 16, v3
	v_cvt_f32_f16_e64 v27, |v21|
	s_delay_alu instid0(VALU_DEP_4) | instskip(SKIP_3) | instid1(VALU_DEP_4)
	v_max3_f32 v24, v23, v24, v26
	v_cvt_f32_f16_e64 v26, |v3|
	v_lshrrev_b32_e32 v23, 16, v4
	v_cvt_f32_f16_e64 v38, |v22|
	v_max3_f32 v25, v24, v25, v27
	v_cvt_f32_f16_e64 v27, |v4|
	s_waitcnt vmcnt(0)
	v_lshrrev_b32_e32 v24, 16, v5
	v_cvt_f32_f16_e64 v40, |v23|
	v_max3_f32 v26, v25, v26, v38
	v_cvt_f32_f16_e64 v38, |v5|
	v_lshrrev_b32_e32 v25, 16, v6
	v_cvt_f32_f16_e64 v41, |v24|
	s_delay_alu instid0(VALU_DEP_4) | instskip(SKIP_3) | instid1(VALU_DEP_4)
	v_max3_f32 v26, v26, v27, v40
	v_cvt_f32_f16_e64 v40, |v6|
	v_lshrrev_b32_e32 v27, 16, v7
	v_cvt_f32_f16_e64 v42, |v25|
	v_max3_f32 v38, v26, v38, v41
	v_cvt_f32_f16_e64 v41, |v7|
	v_lshrrev_b32_e32 v26, 16, v8
	v_cvt_f32_f16_e64 v43, |v27|
	s_delay_alu instid0(VALU_DEP_4) | instskip(SKIP_1) | instid1(VALU_DEP_4)
	v_max3_f32 v38, v38, v40, v42
	v_cvt_f32_f16_e64 v40, |v8|
	v_cvt_f32_f16_e64 v42, |v26|
	s_delay_alu instid0(VALU_DEP_3) | instskip(NEXT) | instid1(VALU_DEP_1)
	v_max3_f32 v38, v38, v41, v43
	v_max3_f32 v38, v38, v40, v42
	s_delay_alu instid0(VALU_DEP_1) | instskip(NEXT) | instid1(VALU_DEP_1)
	v_mov_b32_dpp v40, v38 quad_perm:[1,0,3,2] row_mask:0xf bank_mask:0xf
	v_cmp_gt_f32_e32 vcc_lo, v38, v40
	v_cndmask_b32_e32 v38, v40, v38, vcc_lo
	s_delay_alu instid0(VALU_DEP_1)
	v_mul_f32_e32 v38, 0x3c010204, v38
	v_cmpx_eq_u32_e32 0, v39
	s_cbranch_execz .LBB20_11
; %bb.10:
	s_load_b64 s[8:9], s[0:1], 0x8
	v_mul_lo_u32 v29, v29, s6
	v_mul_lo_u32 v41, v28, s7
	v_mad_u64_u32 v[39:40], null, v28, s6, 0
	v_lshlrev_b64 v[19:20], 2, v[19:20]
	s_delay_alu instid0(VALU_DEP_2) | instskip(NEXT) | instid1(VALU_DEP_1)
	v_add3_u32 v40, v40, v41, v29
	v_lshlrev_b64 v[28:29], 2, v[39:40]
	s_waitcnt lgkmcnt(0)
	s_delay_alu instid0(VALU_DEP_1) | instskip(NEXT) | instid1(VALU_DEP_2)
	v_add_co_u32 v28, vcc_lo, s8, v28
	v_add_co_ci_u32_e32 v29, vcc_lo, s9, v29, vcc_lo
	s_delay_alu instid0(VALU_DEP_2) | instskip(NEXT) | instid1(VALU_DEP_2)
	v_add_co_u32 v19, vcc_lo, v28, v19
	v_add_co_ci_u32_e32 v20, vcc_lo, v29, v20, vcc_lo
	global_store_b32 v[19:20], v38, off
.LBB20_11:
	s_or_b32 exec_lo, exec_lo, s2
	s_delay_alu instid0(VALU_DEP_2) | instskip(SKIP_2) | instid1(VALU_DEP_3)
	v_div_scale_f32 v19, null, v38, v38, 1.0
	v_div_scale_f32 v29, vcc_lo, 1.0, v38, 1.0
	v_cvt_f32_f16_e32 v31, v31
	v_rcp_f32_e32 v20, v19
	v_cvt_f32_f16_e32 v6, v6
	v_cvt_f32_f16_e32 v7, v7
	;; [unrolled: 1-line block ×9, first 2 shown]
	v_fma_f32 v28, -v19, v20, 1.0
	v_cvt_f32_f16_e32 v30, v30
	v_cvt_f32_f16_e32 v32, v32
	;; [unrolled: 1-line block ×4, first 2 shown]
	v_dual_fmac_f32 v20, v28, v20 :: v_dual_lshlrev_b32 v17, 6, v17
	v_cvt_f32_f16_e32 v16, v16
	v_cvt_f32_f16_e32 v15, v15
	;; [unrolled: 1-line block ×3, first 2 shown]
	s_delay_alu instid0(VALU_DEP_4)
	v_mul_f32_e32 v28, v29, v20
	v_cvt_f32_f16_e32 v2, v2
	v_cvt_f32_f16_e32 v4, v4
	s_load_b32 s6, s[0:1], 0x30
	s_waitcnt lgkmcnt(0)
	s_and_b32 s5, s5, 0xffff
	v_fma_f32 v39, -v19, v28, v29
	s_mov_b32 s7, -1
	s_delay_alu instid0(VALU_DEP_1) | instskip(NEXT) | instid1(VALU_DEP_1)
	v_fmac_f32_e32 v28, v39, v20
	v_fma_f32 v19, -v19, v28, v29
	v_cvt_f32_f16_e32 v29, v33
	v_cvt_f32_f16_e32 v33, v36
	s_delay_alu instid0(VALU_DEP_3) | instskip(SKIP_3) | instid1(VALU_DEP_4)
	v_div_fmas_f32 v19, v19, v20, v28
	v_cvt_f32_f16_e32 v20, v34
	v_cvt_f32_f16_e32 v28, v35
	;; [unrolled: 1-line block ×3, first 2 shown]
	v_div_fixup_f32 v19, v19, v38, 1.0
	s_delay_alu instid0(VALU_DEP_1)
	v_dual_mul_f32 v11, v19, v11 :: v_dual_lshlrev_b32 v0, 5, v0
	v_mul_f32_e32 v6, v19, v6
	v_mul_f32_e32 v8, v19, v8
	;; [unrolled: 1-line block ×4, first 2 shown]
	v_and_or_b32 v17, v0, 32, v17
	v_cvt_i32_f32_e32 v6, v6
	v_mul_f32_e32 v7, v19, v7
	v_cvt_i32_f32_e32 v8, v8
	v_mul_f32_e32 v5, v19, v5
	v_cvt_i32_f32_e32 v13, v13
	v_and_b32_e32 v6, 0xff, v6
	v_cvt_i32_f32_e32 v7, v7
	v_and_b32_e32 v8, 0xff, v8
	v_mul_f32_e32 v20, v19, v20
	v_cvt_i32_f32_e32 v5, v5
	s_delay_alu instid0(VALU_DEP_4) | instskip(SKIP_1) | instid1(VALU_DEP_4)
	v_dual_mul_f32 v14, v19, v14 :: v_dual_and_b32 v7, 0xff, v7
	v_dual_mul_f32 v10, v19, v10 :: v_dual_and_b32 v13, 0xff, v13
	v_cvt_i32_f32_e32 v20, v20
	v_cvt_i32_f32_e32 v28, v28
	v_and_b32_e32 v5, 0xff, v5
	v_cvt_i32_f32_e32 v14, v14
	v_mul_f32_e32 v0, v19, v9
	v_lshlrev_b16 v20, 8, v20
	v_mul_f32_e32 v9, v19, v31
	s_delay_alu instid0(VALU_DEP_4)
	v_dual_mul_f32 v31, v19, v32 :: v_dual_and_b32 v14, 0xff, v14
	v_cvt_i32_f32_e32 v11, v11
	v_mul_f32_e32 v30, v19, v30
	v_or_b32_e32 v13, v13, v20
	v_lshlrev_b16 v20, 8, v28
	v_cvt_i32_f32_e32 v10, v10
	v_and_b32_e32 v11, 0xff, v11
	v_cvt_i32_f32_e32 v30, v30
	v_dual_mul_f32 v12, v19, v12 :: v_dual_and_b32 v13, 0xffff, v13
	v_or_b32_e32 v14, v14, v20
	v_dual_mul_f32 v1, v19, v1 :: v_dual_and_b32 v10, 0xff, v10
	s_delay_alu instid0(VALU_DEP_4) | instskip(SKIP_1) | instid1(VALU_DEP_4)
	v_lshlrev_b16 v20, 8, v30
	v_mul_f32_e32 v32, v19, v33
	v_lshlrev_b32_e32 v14, 16, v14
	v_mul_f32_e32 v33, v19, v34
	v_cvt_i32_f32_e32 v31, v31
	v_or_b32_e32 v20, v10, v20
	v_cvt_i32_f32_e32 v32, v32
	v_or_b32_e32 v10, v13, v14
	v_cvt_f32_f16_e32 v13, v18
	v_cvt_f32_f16_e32 v18, v24
	v_cvt_i32_f32_e32 v33, v33
	v_lshlrev_b16 v32, 8, v32
	v_cvt_i32_f32_e32 v12, v12
	v_cvt_i32_f32_e32 v9, v9
	v_mul_f32_e32 v18, v19, v18
	v_lshlrev_b16 v33, 8, v33
	v_lshlrev_b16 v28, 8, v31
	v_and_b32_e32 v12, 0xff, v12
	v_lshlrev_b16 v9, 8, v9
	v_cvt_i32_f32_e32 v18, v18
	v_cvt_f32_f16_e32 v14, v21
	v_or_b32_e32 v11, v11, v28
	v_cvt_f32_f16_e32 v21, v27
	v_cvt_i32_f32_e32 v1, v1
	v_lshlrev_b16 v18, 8, v18
	v_mul_f32_e32 v14, v19, v14
	s_delay_alu instid0(VALU_DEP_4) | instskip(SKIP_1) | instid1(VALU_DEP_4)
	v_dual_mul_f32 v21, v19, v21 :: v_dual_and_b32 v28, 0xffff, v11
	v_mul_f32_e32 v13, v19, v13
	v_or_b32_e32 v5, v5, v18
	v_dual_mul_f32 v16, v19, v16 :: v_dual_and_b32 v1, 0xff, v1
	v_cvt_i32_f32_e32 v14, v14
	s_delay_alu instid0(VALU_DEP_4) | instskip(NEXT) | instid1(VALU_DEP_4)
	v_cvt_i32_f32_e32 v13, v13
	v_and_b32_e32 v5, 0xffff, v5
	s_delay_alu instid0(VALU_DEP_4)
	v_cvt_i32_f32_e32 v16, v16
	v_mul_f32_e32 v29, v19, v29
	v_lshlrev_b16 v14, 8, v14
	v_lshlrev_b16 v13, 8, v13
	v_cvt_i32_f32_e32 v21, v21
	v_and_b32_e32 v16, 0xff, v16
	v_cvt_i32_f32_e32 v29, v29
	v_mul_f32_e32 v3, v19, v3
	v_or_b32_e32 v1, v1, v13
	v_lshlrev_b16 v21, 8, v21
	v_or_b32_e32 v16, v16, v33
	v_mul_f32_e32 v15, v19, v15
	v_lshlrev_b16 v29, 8, v29
	v_cvt_i32_f32_e32 v3, v3
	v_mul_f32_e32 v2, v19, v2
	v_lshlrev_b32_e32 v16, 16, v16
	v_cvt_i32_f32_e32 v15, v15
	v_or_b32_e32 v12, v12, v29
	v_and_b32_e32 v3, 0xff, v3
	v_cvt_i32_f32_e32 v2, v2
	v_or_b32_e32 v7, v7, v21
	v_and_b32_e32 v15, 0xff, v15
	v_lshlrev_b32_e32 v12, 16, v12
	s_delay_alu instid0(VALU_DEP_4) | instskip(NEXT) | instid1(VALU_DEP_4)
	v_and_b32_e32 v2, 0xff, v2
	v_and_b32_e32 v7, 0xffff, v7
	s_delay_alu instid0(VALU_DEP_4) | instskip(NEXT) | instid1(VALU_DEP_3)
	v_or_b32_e32 v15, v15, v32
	v_or_b32_e32 v2, v2, v14
	v_and_b32_e32 v14, 0xffff, v1
	s_delay_alu instid0(VALU_DEP_3) | instskip(SKIP_1) | instid1(VALU_DEP_2)
	v_and_b32_e32 v15, 0xffff, v15
	v_cvt_i32_f32_e32 v0, v0
	v_or_b32_e32 v11, v15, v16
	s_delay_alu instid0(VALU_DEP_2) | instskip(SKIP_3) | instid1(VALU_DEP_4)
	v_and_b32_e32 v0, 0xff, v0
	v_cvt_f32_f16_e32 v15, v22
	v_cvt_f32_f16_e32 v22, v26
	;; [unrolled: 1-line block ×3, first 2 shown]
	v_or_b32_e32 v0, v0, v9
	s_delay_alu instid0(VALU_DEP_4) | instskip(NEXT) | instid1(VALU_DEP_4)
	v_mul_f32_e32 v15, v19, v15
	v_mul_f32_e32 v22, v19, v22
	v_or_b32_e32 v9, v28, v12
	v_lshlrev_b32_e32 v12, 16, v20
	v_and_b32_e32 v0, 0xffff, v0
	v_cvt_i32_f32_e32 v15, v15
	v_cvt_f32_f16_e32 v20, v25
	v_cvt_i32_f32_e32 v22, v22
	v_mul_f32_e32 v16, v19, v16
	s_delay_alu instid0(VALU_DEP_4) | instskip(NEXT) | instid1(VALU_DEP_4)
	v_lshlrev_b16 v15, 8, v15
	v_mul_f32_e32 v20, v19, v20
	s_delay_alu instid0(VALU_DEP_4) | instskip(NEXT) | instid1(VALU_DEP_3)
	v_lshlrev_b16 v22, 8, v22
	v_or_b32_e32 v3, v3, v15
	v_dual_mul_f32 v4, v19, v4 :: v_dual_lshlrev_b32 v15, 16, v2
	v_cvt_i32_f32_e32 v16, v16
	s_delay_alu instid0(VALU_DEP_4) | instskip(NEXT) | instid1(VALU_DEP_4)
	v_or_b32_e32 v8, v8, v22
	v_and_b32_e32 v13, 0xffff, v3
	v_cvt_i32_f32_e32 v18, v20
	v_cvt_i32_f32_e32 v4, v4
	v_lshlrev_b16 v16, 8, v16
	v_lshlrev_b32_e32 v19, 16, v8
	s_delay_alu instid0(VALU_DEP_4) | instskip(NEXT) | instid1(VALU_DEP_4)
	v_lshlrev_b16 v8, 8, v18
	v_and_b32_e32 v4, 0xff, v4
	s_delay_alu instid0(VALU_DEP_3) | instskip(NEXT) | instid1(VALU_DEP_3)
	v_or_b32_e32 v3, v7, v19
	v_or_b32_e32 v6, v6, v8
	s_delay_alu instid0(VALU_DEP_3) | instskip(SKIP_2) | instid1(VALU_DEP_4)
	v_or_b32_e32 v4, v4, v16
	v_or_b32_e32 v8, v0, v12
	;; [unrolled: 1-line block ×3, first 2 shown]
	v_lshlrev_b32_e32 v6, 16, v6
	s_delay_alu instid0(VALU_DEP_4)
	v_lshlrev_b32_e32 v4, 16, v4
	buffer_store_b128 v[8:11], v17, s[4:7], 0 offen
	;;#ASMSTART
	s_nop 0
	;;#ASMEND
	v_or_b32_e32 v2, v5, v6
	v_or_b32_e32 v1, v13, v4
	buffer_store_b128 v[0:3], v17, s[4:7], 16 offen
	;;#ASMSTART
	s_nop 0
	;;#ASMEND
	s_nop 0
	s_sendmsg sendmsg(MSG_DEALLOC_VGPRS)
	s_endpgm
	.section	.rodata,"a",@progbits
	.p2align	6, 0x0
	.amdhsa_kernel _ZN5aiter37dynamic_per_group_scaled_quant_kernelIDF16_aLi32ELi64ELb1ELi64ELb0EEEvPT0_PfPKT_PKfliilPKii
		.amdhsa_group_segment_fixed_size 0
		.amdhsa_private_segment_fixed_size 0
		.amdhsa_kernarg_size 68
		.amdhsa_user_sgpr_count 15
		.amdhsa_user_sgpr_dispatch_ptr 0
		.amdhsa_user_sgpr_queue_ptr 0
		.amdhsa_user_sgpr_kernarg_segment_ptr 1
		.amdhsa_user_sgpr_dispatch_id 0
		.amdhsa_user_sgpr_private_segment_size 0
		.amdhsa_wavefront_size32 1
		.amdhsa_uses_dynamic_stack 0
		.amdhsa_enable_private_segment 0
		.amdhsa_system_sgpr_workgroup_id_x 1
		.amdhsa_system_sgpr_workgroup_id_y 0
		.amdhsa_system_sgpr_workgroup_id_z 0
		.amdhsa_system_sgpr_workgroup_info 0
		.amdhsa_system_vgpr_workitem_id 0
		.amdhsa_next_free_vgpr 44
		.amdhsa_next_free_sgpr 16
		.amdhsa_reserve_vcc 1
		.amdhsa_float_round_mode_32 0
		.amdhsa_float_round_mode_16_64 0
		.amdhsa_float_denorm_mode_32 3
		.amdhsa_float_denorm_mode_16_64 3
		.amdhsa_dx10_clamp 1
		.amdhsa_ieee_mode 1
		.amdhsa_fp16_overflow 0
		.amdhsa_workgroup_processor_mode 1
		.amdhsa_memory_ordered 1
		.amdhsa_forward_progress 0
		.amdhsa_shared_vgpr_count 0
		.amdhsa_exception_fp_ieee_invalid_op 0
		.amdhsa_exception_fp_denorm_src 0
		.amdhsa_exception_fp_ieee_div_zero 0
		.amdhsa_exception_fp_ieee_overflow 0
		.amdhsa_exception_fp_ieee_underflow 0
		.amdhsa_exception_fp_ieee_inexact 0
		.amdhsa_exception_int_div_zero 0
	.end_amdhsa_kernel
	.section	.text._ZN5aiter37dynamic_per_group_scaled_quant_kernelIDF16_aLi32ELi64ELb1ELi64ELb0EEEvPT0_PfPKT_PKfliilPKii,"axG",@progbits,_ZN5aiter37dynamic_per_group_scaled_quant_kernelIDF16_aLi32ELi64ELb1ELi64ELb0EEEvPT0_PfPKT_PKfliilPKii,comdat
.Lfunc_end20:
	.size	_ZN5aiter37dynamic_per_group_scaled_quant_kernelIDF16_aLi32ELi64ELb1ELi64ELb0EEEvPT0_PfPKT_PKfliilPKii, .Lfunc_end20-_ZN5aiter37dynamic_per_group_scaled_quant_kernelIDF16_aLi32ELi64ELb1ELi64ELb0EEEvPT0_PfPKT_PKfliilPKii
                                        ; -- End function
	.section	.AMDGPU.csdata,"",@progbits
; Kernel info:
; codeLenInByte = 3140
; NumSgprs: 18
; NumVgprs: 44
; ScratchSize: 0
; MemoryBound: 0
; FloatMode: 240
; IeeeMode: 1
; LDSByteSize: 0 bytes/workgroup (compile time only)
; SGPRBlocks: 2
; VGPRBlocks: 5
; NumSGPRsForWavesPerEU: 18
; NumVGPRsForWavesPerEU: 44
; Occupancy: 16
; WaveLimiterHint : 0
; COMPUTE_PGM_RSRC2:SCRATCH_EN: 0
; COMPUTE_PGM_RSRC2:USER_SGPR: 15
; COMPUTE_PGM_RSRC2:TRAP_HANDLER: 0
; COMPUTE_PGM_RSRC2:TGID_X_EN: 1
; COMPUTE_PGM_RSRC2:TGID_Y_EN: 0
; COMPUTE_PGM_RSRC2:TGID_Z_EN: 0
; COMPUTE_PGM_RSRC2:TIDIG_COMP_CNT: 0
	.section	.text._ZN5aiter37dynamic_per_group_scaled_quant_kernelItaLi32ELi64ELb1ELi64ELb0EEEvPT0_PfPKT_PKfliilPKii,"axG",@progbits,_ZN5aiter37dynamic_per_group_scaled_quant_kernelItaLi32ELi64ELb1ELi64ELb0EEEvPT0_PfPKT_PKfliilPKii,comdat
	.protected	_ZN5aiter37dynamic_per_group_scaled_quant_kernelItaLi32ELi64ELb1ELi64ELb0EEEvPT0_PfPKT_PKfliilPKii ; -- Begin function _ZN5aiter37dynamic_per_group_scaled_quant_kernelItaLi32ELi64ELb1ELi64ELb0EEEvPT0_PfPKT_PKfliilPKii
	.globl	_ZN5aiter37dynamic_per_group_scaled_quant_kernelItaLi32ELi64ELb1ELi64ELb0EEEvPT0_PfPKT_PKfliilPKii
	.p2align	8
	.type	_ZN5aiter37dynamic_per_group_scaled_quant_kernelItaLi32ELi64ELb1ELi64ELb0EEEvPT0_PfPKT_PKfliilPKii,@function
_ZN5aiter37dynamic_per_group_scaled_quant_kernelItaLi32ELi64ELb1ELi64ELb0EEEvPT0_PfPKT_PKfliilPKii: ; @_ZN5aiter37dynamic_per_group_scaled_quant_kernelItaLi32ELi64ELb1ELi64ELb0EEEvPT0_PfPKT_PKfliilPKii
; %bb.0:
	s_load_b64 s[2:3], s[0:1], 0x38
	s_mov_b32 s4, s15
	s_waitcnt lgkmcnt(0)
	s_cmp_eq_u64 s[2:3], 0
	s_cbranch_scc1 .LBB21_2
; %bb.1:
	s_load_b32 s5, s[0:1], 0x40
	s_load_b32 s2, s[2:3], 0x0
	s_waitcnt lgkmcnt(0)
	s_mul_hi_i32 s7, s2, s5
	s_mul_i32 s6, s2, s5
	s_branch .LBB21_3
.LBB21_2:
	s_load_b64 s[6:7], s[0:1], 0x20
.LBB21_3:
	s_load_b64 s[2:3], s[0:1], 0x28
	s_mov_b32 s5, 0
	v_mov_b32_e32 v3, 0
	s_lshl_b64 s[4:5], s[4:5], 6
	s_delay_alu instid0(SALU_CYCLE_1) | instskip(SKIP_1) | instid1(VALU_DEP_1)
	v_or_b32_e32 v5, s4, v0
	v_mov_b32_e32 v6, s5
	v_lshrrev_b64 v[1:2], 1, v[5:6]
	s_waitcnt lgkmcnt(0)
	s_ashr_i32 s4, s2, 31
	s_delay_alu instid0(SALU_CYCLE_1) | instskip(NEXT) | instid1(SALU_CYCLE_1)
	s_lshr_b32 s4, s4, 26
	s_add_i32 s2, s2, s4
	s_delay_alu instid0(SALU_CYCLE_1) | instskip(NEXT) | instid1(SALU_CYCLE_1)
	s_ashr_i32 s10, s2, 6
	s_ashr_i32 s11, s10, 31
	s_delay_alu instid0(SALU_CYCLE_1) | instskip(NEXT) | instid1(VALU_DEP_1)
	v_or_b32_e32 v4, s11, v2
	v_cmp_ne_u64_e32 vcc_lo, 0, v[3:4]
                                        ; implicit-def: $vgpr3_vgpr4
	s_and_saveexec_b32 s2, vcc_lo
	s_delay_alu instid0(SALU_CYCLE_1)
	s_xor_b32 s12, exec_lo, s2
	s_cbranch_execnz .LBB21_7
; %bb.4:
	s_and_not1_saveexec_b32 s2, s12
	s_cbranch_execnz .LBB21_8
.LBB21_5:
	s_or_b32 exec_lo, exec_lo, s2
	s_delay_alu instid0(SALU_CYCLE_1)
	s_mov_b32 s2, exec_lo
	v_cmpx_gt_i64_e64 s[6:7], v[3:4]
	s_cbranch_execnz .LBB21_9
.LBB21_6:
	s_endpgm
.LBB21_7:
	s_add_u32 s8, s10, s11
	s_mov_b32 s4, s11
	s_mov_b32 s5, s11
	s_addc_u32 s9, s11, s11
	s_delay_alu instid0(SALU_CYCLE_1) | instskip(NEXT) | instid1(SALU_CYCLE_1)
	s_xor_b64 s[8:9], s[8:9], s[4:5]
	v_cvt_f32_u32_e32 v3, s8
	v_cvt_f32_u32_e32 v4, s9
	s_sub_u32 s2, 0, s8
	s_subb_u32 s13, 0, s9
	s_delay_alu instid0(VALU_DEP_1) | instskip(NEXT) | instid1(VALU_DEP_1)
	v_fmamk_f32 v3, v4, 0x4f800000, v3
	v_rcp_f32_e32 v3, v3
	s_waitcnt_depctr 0xfff
	v_mul_f32_e32 v3, 0x5f7ffffc, v3
	s_delay_alu instid0(VALU_DEP_1) | instskip(NEXT) | instid1(VALU_DEP_1)
	v_mul_f32_e32 v4, 0x2f800000, v3
	v_trunc_f32_e32 v4, v4
	s_delay_alu instid0(VALU_DEP_1) | instskip(SKIP_1) | instid1(VALU_DEP_2)
	v_fmamk_f32 v3, v4, 0xcf800000, v3
	v_cvt_u32_f32_e32 v4, v4
	v_cvt_u32_f32_e32 v3, v3
	s_delay_alu instid0(VALU_DEP_2) | instskip(NEXT) | instid1(VALU_DEP_2)
	v_mul_lo_u32 v5, s2, v4
	v_mul_hi_u32 v6, s2, v3
	v_mul_lo_u32 v7, s13, v3
	s_delay_alu instid0(VALU_DEP_2) | instskip(SKIP_1) | instid1(VALU_DEP_2)
	v_add_nc_u32_e32 v5, v6, v5
	v_mul_lo_u32 v6, s2, v3
	v_add_nc_u32_e32 v5, v5, v7
	s_delay_alu instid0(VALU_DEP_2) | instskip(NEXT) | instid1(VALU_DEP_2)
	v_mul_hi_u32 v7, v3, v6
	v_mul_lo_u32 v8, v3, v5
	v_mul_hi_u32 v9, v3, v5
	v_mul_hi_u32 v10, v4, v6
	v_mul_lo_u32 v6, v4, v6
	v_mul_hi_u32 v11, v4, v5
	v_mul_lo_u32 v5, v4, v5
	v_add_co_u32 v7, vcc_lo, v7, v8
	v_add_co_ci_u32_e32 v8, vcc_lo, 0, v9, vcc_lo
	s_delay_alu instid0(VALU_DEP_2) | instskip(NEXT) | instid1(VALU_DEP_2)
	v_add_co_u32 v6, vcc_lo, v7, v6
	v_add_co_ci_u32_e32 v6, vcc_lo, v8, v10, vcc_lo
	v_add_co_ci_u32_e32 v7, vcc_lo, 0, v11, vcc_lo
	s_delay_alu instid0(VALU_DEP_2) | instskip(NEXT) | instid1(VALU_DEP_2)
	v_add_co_u32 v5, vcc_lo, v6, v5
	v_add_co_ci_u32_e32 v6, vcc_lo, 0, v7, vcc_lo
	s_delay_alu instid0(VALU_DEP_2) | instskip(NEXT) | instid1(VALU_DEP_2)
	v_add_co_u32 v3, vcc_lo, v3, v5
	v_add_co_ci_u32_e32 v4, vcc_lo, v4, v6, vcc_lo
	s_delay_alu instid0(VALU_DEP_2) | instskip(SKIP_1) | instid1(VALU_DEP_3)
	v_mul_hi_u32 v5, s2, v3
	v_mul_lo_u32 v7, s13, v3
	v_mul_lo_u32 v6, s2, v4
	s_delay_alu instid0(VALU_DEP_1) | instskip(SKIP_1) | instid1(VALU_DEP_2)
	v_add_nc_u32_e32 v5, v5, v6
	v_mul_lo_u32 v6, s2, v3
	v_add_nc_u32_e32 v5, v5, v7
	s_delay_alu instid0(VALU_DEP_2) | instskip(NEXT) | instid1(VALU_DEP_2)
	v_mul_hi_u32 v7, v3, v6
	v_mul_lo_u32 v8, v3, v5
	v_mul_hi_u32 v9, v3, v5
	v_mul_hi_u32 v10, v4, v6
	v_mul_lo_u32 v6, v4, v6
	v_mul_hi_u32 v11, v4, v5
	v_mul_lo_u32 v5, v4, v5
	v_add_co_u32 v7, vcc_lo, v7, v8
	v_add_co_ci_u32_e32 v8, vcc_lo, 0, v9, vcc_lo
	s_delay_alu instid0(VALU_DEP_2) | instskip(NEXT) | instid1(VALU_DEP_2)
	v_add_co_u32 v6, vcc_lo, v7, v6
	v_add_co_ci_u32_e32 v6, vcc_lo, v8, v10, vcc_lo
	v_add_co_ci_u32_e32 v7, vcc_lo, 0, v11, vcc_lo
	s_delay_alu instid0(VALU_DEP_2) | instskip(NEXT) | instid1(VALU_DEP_2)
	v_add_co_u32 v5, vcc_lo, v6, v5
	v_add_co_ci_u32_e32 v6, vcc_lo, 0, v7, vcc_lo
	s_delay_alu instid0(VALU_DEP_2) | instskip(NEXT) | instid1(VALU_DEP_2)
	v_add_co_u32 v7, vcc_lo, v3, v5
	v_add_co_ci_u32_e32 v9, vcc_lo, v4, v6, vcc_lo
	s_delay_alu instid0(VALU_DEP_2) | instskip(SKIP_1) | instid1(VALU_DEP_3)
	v_mul_hi_u32 v10, v1, v7
	v_mad_u64_u32 v[5:6], null, v2, v7, 0
	v_mad_u64_u32 v[3:4], null, v1, v9, 0
	;; [unrolled: 1-line block ×3, first 2 shown]
	s_delay_alu instid0(VALU_DEP_2) | instskip(NEXT) | instid1(VALU_DEP_3)
	v_add_co_u32 v3, vcc_lo, v10, v3
	v_add_co_ci_u32_e32 v4, vcc_lo, 0, v4, vcc_lo
	s_delay_alu instid0(VALU_DEP_2) | instskip(NEXT) | instid1(VALU_DEP_2)
	v_add_co_u32 v3, vcc_lo, v3, v5
	v_add_co_ci_u32_e32 v3, vcc_lo, v4, v6, vcc_lo
	v_add_co_ci_u32_e32 v4, vcc_lo, 0, v8, vcc_lo
	s_delay_alu instid0(VALU_DEP_2) | instskip(NEXT) | instid1(VALU_DEP_2)
	v_add_co_u32 v5, vcc_lo, v3, v7
	v_add_co_ci_u32_e32 v6, vcc_lo, 0, v4, vcc_lo
	s_delay_alu instid0(VALU_DEP_2) | instskip(SKIP_1) | instid1(VALU_DEP_3)
	v_mul_lo_u32 v7, s9, v5
	v_mad_u64_u32 v[3:4], null, s8, v5, 0
	v_mul_lo_u32 v8, s8, v6
	s_delay_alu instid0(VALU_DEP_2) | instskip(NEXT) | instid1(VALU_DEP_2)
	v_sub_co_u32 v3, vcc_lo, v1, v3
	v_add3_u32 v4, v4, v8, v7
	s_delay_alu instid0(VALU_DEP_1) | instskip(NEXT) | instid1(VALU_DEP_1)
	v_sub_nc_u32_e32 v7, v2, v4
	v_subrev_co_ci_u32_e64 v7, s2, s9, v7, vcc_lo
	v_add_co_u32 v8, s2, v5, 2
	s_delay_alu instid0(VALU_DEP_1) | instskip(SKIP_3) | instid1(VALU_DEP_3)
	v_add_co_ci_u32_e64 v9, s2, 0, v6, s2
	v_sub_co_u32 v10, s2, v3, s8
	v_sub_co_ci_u32_e32 v4, vcc_lo, v2, v4, vcc_lo
	v_subrev_co_ci_u32_e64 v7, s2, 0, v7, s2
	v_cmp_le_u32_e32 vcc_lo, s8, v10
	s_delay_alu instid0(VALU_DEP_3) | instskip(SKIP_1) | instid1(VALU_DEP_4)
	v_cmp_eq_u32_e64 s2, s9, v4
	v_cndmask_b32_e64 v10, 0, -1, vcc_lo
	v_cmp_le_u32_e32 vcc_lo, s9, v7
	v_cndmask_b32_e64 v11, 0, -1, vcc_lo
	v_cmp_le_u32_e32 vcc_lo, s8, v3
	;; [unrolled: 2-line block ×3, first 2 shown]
	v_cndmask_b32_e64 v12, 0, -1, vcc_lo
	v_cmp_eq_u32_e32 vcc_lo, s9, v7
	s_delay_alu instid0(VALU_DEP_2) | instskip(SKIP_3) | instid1(VALU_DEP_3)
	v_cndmask_b32_e64 v3, v12, v3, s2
	v_cndmask_b32_e32 v7, v11, v10, vcc_lo
	v_add_co_u32 v10, vcc_lo, v5, 1
	v_add_co_ci_u32_e32 v11, vcc_lo, 0, v6, vcc_lo
	v_cmp_ne_u32_e32 vcc_lo, 0, v7
	s_delay_alu instid0(VALU_DEP_2) | instskip(SKIP_1) | instid1(VALU_DEP_2)
	v_dual_cndmask_b32 v4, v11, v9 :: v_dual_cndmask_b32 v7, v10, v8
	v_cmp_ne_u32_e32 vcc_lo, 0, v3
	v_dual_cndmask_b32 v3, v6, v4 :: v_dual_cndmask_b32 v4, v5, v7
	s_delay_alu instid0(VALU_DEP_1) | instskip(NEXT) | instid1(VALU_DEP_2)
	v_xor_b32_e32 v5, s5, v3
	v_xor_b32_e32 v4, s4, v4
	s_delay_alu instid0(VALU_DEP_1) | instskip(NEXT) | instid1(VALU_DEP_3)
	v_sub_co_u32 v3, vcc_lo, v4, s4
	v_subrev_co_ci_u32_e32 v4, vcc_lo, s5, v5, vcc_lo
                                        ; implicit-def: $vgpr5_vgpr6
	s_and_not1_saveexec_b32 s2, s12
	s_cbranch_execz .LBB21_5
.LBB21_8:
	v_cvt_f32_u32_e32 v3, s10
	s_sub_i32 s4, 0, s10
	v_alignbit_b32 v5, v6, v5, 1
	s_delay_alu instid0(VALU_DEP_2) | instskip(SKIP_2) | instid1(VALU_DEP_1)
	v_rcp_iflag_f32_e32 v3, v3
	s_waitcnt_depctr 0xfff
	v_mul_f32_e32 v3, 0x4f7ffffe, v3
	v_cvt_u32_f32_e32 v3, v3
	s_delay_alu instid0(VALU_DEP_1) | instskip(NEXT) | instid1(VALU_DEP_1)
	v_mul_lo_u32 v4, s4, v3
	v_mul_hi_u32 v4, v3, v4
	s_delay_alu instid0(VALU_DEP_1) | instskip(NEXT) | instid1(VALU_DEP_1)
	v_add_nc_u32_e32 v3, v3, v4
	v_mul_hi_u32 v3, v5, v3
	s_delay_alu instid0(VALU_DEP_1) | instskip(NEXT) | instid1(VALU_DEP_1)
	v_mul_lo_u32 v4, v3, s10
	v_sub_nc_u32_e32 v4, v5, v4
	v_add_nc_u32_e32 v5, 1, v3
	s_delay_alu instid0(VALU_DEP_2) | instskip(SKIP_1) | instid1(VALU_DEP_2)
	v_subrev_nc_u32_e32 v6, s10, v4
	v_cmp_le_u32_e32 vcc_lo, s10, v4
	v_dual_cndmask_b32 v4, v4, v6 :: v_dual_cndmask_b32 v3, v3, v5
	s_delay_alu instid0(VALU_DEP_1) | instskip(NEXT) | instid1(VALU_DEP_2)
	v_cmp_le_u32_e32 vcc_lo, s10, v4
	v_dual_mov_b32 v4, 0 :: v_dual_add_nc_u32 v5, 1, v3
	s_delay_alu instid0(VALU_DEP_1) | instskip(SKIP_1) | instid1(SALU_CYCLE_1)
	v_cndmask_b32_e32 v3, v3, v5, vcc_lo
	s_or_b32 exec_lo, exec_lo, s2
	s_mov_b32 s2, exec_lo
	s_delay_alu instid0(VALU_DEP_1)
	v_cmpx_gt_i64_e64 s[6:7], v[3:4]
	s_cbranch_execz .LBB21_6
.LBB21_9:
	s_ashr_i32 s2, s3, 31
	s_load_b64 s[4:5], s[0:1], 0x10
	v_mul_lo_u32 v9, v4, s10
	v_mul_lo_u32 v10, v3, s11
	v_mad_u64_u32 v[5:6], null, v3, s10, 0
	v_mul_lo_u32 v11, v4, s3
	v_mul_lo_u32 v12, v3, s2
	v_mad_u64_u32 v[7:8], null, v3, s3, 0
	v_and_b32_e32 v42, 1, v0
	s_mov_b32 s2, exec_lo
	v_add3_u32 v6, v6, v10, v9
	v_sub_co_u32 v20, vcc_lo, v1, v5
	s_delay_alu instid0(VALU_DEP_4) | instskip(NEXT) | instid1(VALU_DEP_3)
	v_add3_u32 v8, v8, v12, v11
	v_sub_co_ci_u32_e32 v21, vcc_lo, v2, v6, vcc_lo
	s_delay_alu instid0(VALU_DEP_3) | instskip(NEXT) | instid1(VALU_DEP_3)
	v_dual_mov_b32 v6, 0 :: v_dual_lshlrev_b32 v5, 6, v20
	v_lshlrev_b64 v[7:8], 1, v[7:8]
	s_delay_alu instid0(VALU_DEP_2) | instskip(SKIP_1) | instid1(VALU_DEP_2)
	v_lshlrev_b64 v[5:6], 1, v[5:6]
	s_waitcnt lgkmcnt(0)
	v_add_co_u32 v2, vcc_lo, s4, v7
	s_delay_alu instid0(VALU_DEP_3) | instskip(SKIP_1) | instid1(VALU_DEP_3)
	v_add_co_ci_u32_e32 v7, vcc_lo, s5, v8, vcc_lo
	v_lshlrev_b32_e32 v8, 6, v42
	v_add_co_u32 v2, vcc_lo, v2, v5
	s_delay_alu instid0(VALU_DEP_3) | instskip(SKIP_1) | instid1(VALU_DEP_2)
	v_add_co_ci_u32_e32 v5, vcc_lo, v7, v6, vcc_lo
	s_load_b64 s[4:5], s[0:1], 0x0
	v_add_co_u32 v17, vcc_lo, v2, v8
	s_delay_alu instid0(VALU_DEP_2)
	v_add_co_ci_u32_e32 v18, vcc_lo, 0, v5, vcc_lo
	s_clause 0x3
	global_load_b128 v[5:8], v[17:18], off
	global_load_b128 v[9:12], v[17:18], off offset:16
	global_load_b128 v[13:16], v[17:18], off offset:32
	;; [unrolled: 1-line block ×3, first 2 shown]
	s_waitcnt vmcnt(3)
	v_and_b32_e32 v2, 0xffff, v5
	v_lshrrev_b32_e32 v5, 16, v5
	v_and_b32_e32 v17, 0xffff, v6
	v_lshrrev_b32_e32 v6, 16, v6
	s_waitcnt vmcnt(0)
	v_and_b32_e32 v19, 0xffff, v40
	v_cvt_f32_u32_e32 v22, v2
	v_cvt_f32_u32_e32 v23, v5
	v_and_b32_e32 v2, 0xffff, v7
	v_lshrrev_b32_e32 v5, 16, v7
	v_cvt_f32_u32_e32 v24, v17
	v_cvt_f32_u32_e32 v25, v6
	v_max3_f32 v6, v22, 0x2edbe6ff, v23
	v_and_b32_e32 v7, 0xffff, v8
	v_lshrrev_b32_e32 v8, 16, v8
	v_cvt_f32_u32_e32 v26, v2
	v_cvt_f32_u32_e32 v27, v5
	v_max3_f32 v2, v6, v24, v25
	;; [unrolled: 5-line block ×12, first 2 shown]
	v_lshrrev_b32_e32 v38, 16, v40
	v_cvt_f32_u32_e32 v2, v16
	v_cvt_f32_u32_e32 v5, v17
	v_lshrrev_b32_e32 v39, 16, v41
	v_max3_f32 v16, v18, v14, v15
	v_and_b32_e32 v18, 0xffff, v41
	v_cvt_f32_u32_e32 v17, v19
	v_cvt_f32_u32_e32 v19, v38
	s_delay_alu instid0(VALU_DEP_4) | instskip(NEXT) | instid1(VALU_DEP_4)
	v_max3_f32 v38, v16, v2, v5
	v_cvt_f32_u32_e32 v16, v18
	v_cvt_f32_u32_e32 v18, v39
	s_delay_alu instid0(VALU_DEP_3) | instskip(NEXT) | instid1(VALU_DEP_1)
	v_max3_f32 v38, v38, v17, v19
	v_max3_f32 v38, v38, v16, v18
	s_delay_alu instid0(VALU_DEP_1) | instskip(NEXT) | instid1(VALU_DEP_1)
	v_mov_b32_dpp v39, v38 quad_perm:[1,0,3,2] row_mask:0xf bank_mask:0xf
	v_cmp_gt_f32_e32 vcc_lo, v38, v39
	v_cndmask_b32_e32 v38, v39, v38, vcc_lo
	s_delay_alu instid0(VALU_DEP_1)
	v_mul_f32_e32 v38, 0x3c010204, v38
	v_cmpx_eq_u32_e32 0, v42
	s_cbranch_execz .LBB21_11
; %bb.10:
	s_load_b64 s[8:9], s[0:1], 0x8
	v_mul_lo_u32 v21, v21, s6
	v_mul_lo_u32 v41, v20, s7
	v_mad_u64_u32 v[39:40], null, v20, s6, 0
	v_lshlrev_b64 v[3:4], 2, v[3:4]
	s_delay_alu instid0(VALU_DEP_2) | instskip(NEXT) | instid1(VALU_DEP_1)
	v_add3_u32 v40, v40, v41, v21
	v_lshlrev_b64 v[20:21], 2, v[39:40]
	s_waitcnt lgkmcnt(0)
	s_delay_alu instid0(VALU_DEP_1) | instskip(NEXT) | instid1(VALU_DEP_2)
	v_add_co_u32 v20, vcc_lo, s8, v20
	v_add_co_ci_u32_e32 v21, vcc_lo, s9, v21, vcc_lo
	s_delay_alu instid0(VALU_DEP_2) | instskip(NEXT) | instid1(VALU_DEP_2)
	v_add_co_u32 v3, vcc_lo, v20, v3
	v_add_co_ci_u32_e32 v4, vcc_lo, v21, v4, vcc_lo
	global_store_b32 v[3:4], v38, off
.LBB21_11:
	s_or_b32 exec_lo, exec_lo, s2
	s_delay_alu instid0(VALU_DEP_2) | instskip(SKIP_2) | instid1(VALU_DEP_2)
	v_div_scale_f32 v3, null, v38, v38, 1.0
	v_div_scale_f32 v21, vcc_lo, 1.0, v38, 1.0
	s_load_b32 s6, s[0:1], 0x30
	v_rcp_f32_e32 v4, v3
	s_waitcnt lgkmcnt(0)
	s_and_b32 s5, s5, 0xffff
	s_mov_b32 s7, -1
	v_lshlrev_b32_e32 v1, 6, v1
	s_waitcnt_depctr 0xfff
	v_fma_f32 v20, -v3, v4, 1.0
	s_delay_alu instid0(VALU_DEP_1) | instskip(NEXT) | instid1(VALU_DEP_1)
	v_fmac_f32_e32 v4, v20, v4
	v_mul_f32_e32 v20, v21, v4
	s_delay_alu instid0(VALU_DEP_1) | instskip(NEXT) | instid1(VALU_DEP_1)
	v_fma_f32 v39, -v3, v20, v21
	v_fmac_f32_e32 v20, v39, v4
	s_delay_alu instid0(VALU_DEP_1) | instskip(NEXT) | instid1(VALU_DEP_1)
	v_fma_f32 v3, -v3, v20, v21
	v_div_fmas_f32 v3, v3, v4, v20
	s_delay_alu instid0(VALU_DEP_1) | instskip(NEXT) | instid1(VALU_DEP_1)
	v_div_fixup_f32 v3, v3, v38, 1.0
	v_dual_mul_f32 v21, v3, v25 :: v_dual_lshlrev_b32 v0, 5, v0
	v_mul_f32_e32 v14, v3, v14
	v_mul_f32_e32 v18, v3, v18
	v_mul_f32_e32 v16, v3, v16
	v_mul_f32_e32 v2, v3, v2
	v_and_or_b32 v4, v0, 32, v1
	v_cvt_i32_f32_e32 v14, v14
	v_mul_f32_e32 v15, v3, v15
	v_cvt_i32_f32_e32 v18, v18
	v_cvt_i32_f32_e32 v16, v16
	s_delay_alu instid0(VALU_DEP_4) | instskip(NEXT) | instid1(VALU_DEP_4)
	v_dual_mul_f32 v7, v3, v7 :: v_dual_and_b32 v14, 0xff, v14
	v_cvt_i32_f32_e32 v15, v15
	s_delay_alu instid0(VALU_DEP_4) | instskip(NEXT) | instid1(VALU_DEP_4)
	v_lshlrev_b16 v18, 8, v18
	v_and_b32_e32 v16, 0xff, v16
	v_cvt_i32_f32_e32 v2, v2
	v_mul_f32_e32 v17, v3, v17
	v_mul_f32_e32 v0, v3, v22
	;; [unrolled: 1-line block ×3, first 2 shown]
	v_lshlrev_b16 v15, 8, v15
	v_or_b32_e32 v16, v16, v18
	v_and_b32_e32 v2, 0xff, v2
	v_cvt_i32_f32_e32 v17, v17
	v_mul_f32_e32 v26, v3, v30
	v_mul_f32_e32 v30, v3, v34
	;; [unrolled: 1-line block ×3, first 2 shown]
	v_or_b32_e32 v14, v14, v15
	v_lshlrev_b32_e32 v15, 16, v16
	v_and_b32_e32 v17, 0xff, v17
	v_cvt_i32_f32_e32 v26, v26
	v_cvt_i32_f32_e32 v30, v30
	v_mul_f32_e32 v23, v3, v27
	v_mul_f32_e32 v27, v3, v31
	v_cvt_i32_f32_e32 v22, v22
	v_and_b32_e32 v26, 0xff, v26
	v_and_b32_e32 v30, 0xff, v30
	v_cvt_i32_f32_e32 v23, v23
	v_cvt_i32_f32_e32 v27, v27
	v_dual_mul_f32 v31, v3, v35 :: v_dual_and_b32 v22, 0xff, v22
	v_cvt_i32_f32_e32 v7, v7
	s_delay_alu instid0(VALU_DEP_4) | instskip(NEXT) | instid1(VALU_DEP_4)
	v_lshlrev_b16 v23, 8, v23
	v_lshlrev_b16 v27, 8, v27
	s_delay_alu instid0(VALU_DEP_4)
	v_cvt_i32_f32_e32 v31, v31
	v_cvt_i32_f32_e32 v1, v1
	v_and_b32_e32 v7, 0xff, v7
	v_or_b32_e32 v22, v22, v23
	v_or_b32_e32 v26, v26, v27
	v_mul_f32_e32 v20, v3, v24
	v_mul_f32_e32 v24, v3, v28
	;; [unrolled: 1-line block ×4, first 2 shown]
	v_cvt_i32_f32_e32 v21, v21
	v_lshlrev_b16 v31, 8, v31
	v_cvt_i32_f32_e32 v24, v24
	v_dual_mul_f32 v19, v3, v19 :: v_dual_and_b32 v14, 0xffff, v14
	v_cvt_i32_f32_e32 v32, v32
	v_mul_f32_e32 v25, v3, v29
	v_mul_f32_e32 v29, v3, v33
	v_dual_mul_f32 v33, v3, v37 :: v_dual_and_b32 v24, 0xff, v24
	s_delay_alu instid0(VALU_DEP_4) | instskip(NEXT) | instid1(VALU_DEP_4)
	v_and_b32_e32 v32, 0xff, v32
	v_cvt_i32_f32_e32 v25, v25
	v_lshlrev_b16 v1, 8, v1
	s_delay_alu instid0(VALU_DEP_4)
	v_cvt_i32_f32_e32 v33, v33
	v_lshlrev_b16 v34, 8, v21
	v_or_b32_e32 v21, v30, v31
	v_lshlrev_b16 v25, 8, v25
	v_cvt_i32_f32_e32 v19, v19
	v_lshlrev_b16 v33, 8, v33
	v_mul_f32_e32 v9, v3, v9
	v_mul_f32_e32 v11, v3, v11
	v_or_b32_e32 v23, v24, v25
	v_mul_f32_e32 v12, v3, v12
	v_or_b32_e32 v30, v32, v33
	v_lshlrev_b16 v19, 8, v19
	v_cvt_i32_f32_e32 v9, v9
	v_lshlrev_b32_e32 v23, 16, v23
	v_cvt_i32_f32_e32 v0, v0
	v_lshlrev_b32_e32 v24, 16, v30
	s_delay_alu instid0(VALU_DEP_4) | instskip(SKIP_1) | instid1(VALU_DEP_4)
	v_dual_mul_f32 v10, v3, v10 :: v_dual_and_b32 v9, 0xff, v9
	v_cvt_i32_f32_e32 v11, v11
	v_and_b32_e32 v0, 0xff, v0
	v_mul_f32_e32 v6, v3, v6
	v_mul_f32_e32 v8, v3, v8
	;; [unrolled: 1-line block ×3, first 2 shown]
	v_cvt_i32_f32_e32 v12, v12
	v_or_b32_e32 v0, v0, v1
	v_mul_f32_e32 v5, v3, v5
	v_or_b32_e32 v3, v17, v19
	v_and_b32_e32 v25, 0xffff, v26
	v_and_b32_e32 v12, 0xff, v12
	v_and_b32_e32 v0, 0xffff, v0
	v_cvt_i32_f32_e32 v20, v20
	v_and_b32_e32 v3, 0xffff, v3
	v_cvt_i32_f32_e32 v28, v28
	v_cvt_i32_f32_e32 v10, v10
	;; [unrolled: 1-line block ×5, first 2 shown]
	v_and_b32_e32 v28, 0xff, v28
	v_cvt_i32_f32_e32 v29, v29
	v_and_b32_e32 v11, 0xff, v11
	v_cvt_i32_f32_e32 v6, v6
	v_lshlrev_b16 v5, 8, v5
	v_lshlrev_b16 v8, 8, v8
	v_lshlrev_b16 v29, 8, v29
	v_lshlrev_b16 v13, 8, v13
	v_lshlrev_b16 v10, 8, v10
	v_lshlrev_b16 v6, 8, v6
	v_or_b32_e32 v2, v2, v5
	v_or_b32_e32 v27, v28, v29
	v_and_b32_e32 v28, 0xff, v20
	v_or_b32_e32 v5, v7, v8
	v_or_b32_e32 v7, v12, v13
	;; [unrolled: 1-line block ×5, first 2 shown]
	v_and_b32_e32 v21, 0xffff, v21
	v_lshlrev_b32_e32 v26, 16, v27
	v_and_b32_e32 v27, 0xffff, v22
	v_lshlrev_b32_e32 v2, 16, v2
	v_lshlrev_b32_e32 v1, 16, v1
	v_and_b32_e32 v5, 0xffff, v5
	v_lshlrev_b32_e32 v7, 16, v7
	v_and_b32_e32 v8, 0xffff, v8
	v_lshlrev_b32_e32 v6, 16, v6
	v_or_b32_e32 v22, v21, v24
	v_or_b32_e32 v21, v25, v26
	;; [unrolled: 1-line block ×8, first 2 shown]
	buffer_store_b128 v[19:22], v4, s[4:7], 0 offen
	;;#ASMSTART
	s_nop 0
	;;#ASMEND
	buffer_store_b128 v[0:3], v4, s[4:7], 16 offen
	;;#ASMSTART
	s_nop 0
	;;#ASMEND
	s_nop 0
	s_sendmsg sendmsg(MSG_DEALLOC_VGPRS)
	s_endpgm
	.section	.rodata,"a",@progbits
	.p2align	6, 0x0
	.amdhsa_kernel _ZN5aiter37dynamic_per_group_scaled_quant_kernelItaLi32ELi64ELb1ELi64ELb0EEEvPT0_PfPKT_PKfliilPKii
		.amdhsa_group_segment_fixed_size 0
		.amdhsa_private_segment_fixed_size 0
		.amdhsa_kernarg_size 68
		.amdhsa_user_sgpr_count 15
		.amdhsa_user_sgpr_dispatch_ptr 0
		.amdhsa_user_sgpr_queue_ptr 0
		.amdhsa_user_sgpr_kernarg_segment_ptr 1
		.amdhsa_user_sgpr_dispatch_id 0
		.amdhsa_user_sgpr_private_segment_size 0
		.amdhsa_wavefront_size32 1
		.amdhsa_uses_dynamic_stack 0
		.amdhsa_enable_private_segment 0
		.amdhsa_system_sgpr_workgroup_id_x 1
		.amdhsa_system_sgpr_workgroup_id_y 0
		.amdhsa_system_sgpr_workgroup_id_z 0
		.amdhsa_system_sgpr_workgroup_info 0
		.amdhsa_system_vgpr_workitem_id 0
		.amdhsa_next_free_vgpr 43
		.amdhsa_next_free_sgpr 16
		.amdhsa_reserve_vcc 1
		.amdhsa_float_round_mode_32 0
		.amdhsa_float_round_mode_16_64 0
		.amdhsa_float_denorm_mode_32 3
		.amdhsa_float_denorm_mode_16_64 3
		.amdhsa_dx10_clamp 1
		.amdhsa_ieee_mode 1
		.amdhsa_fp16_overflow 0
		.amdhsa_workgroup_processor_mode 1
		.amdhsa_memory_ordered 1
		.amdhsa_forward_progress 0
		.amdhsa_shared_vgpr_count 0
		.amdhsa_exception_fp_ieee_invalid_op 0
		.amdhsa_exception_fp_denorm_src 0
		.amdhsa_exception_fp_ieee_div_zero 0
		.amdhsa_exception_fp_ieee_overflow 0
		.amdhsa_exception_fp_ieee_underflow 0
		.amdhsa_exception_fp_ieee_inexact 0
		.amdhsa_exception_int_div_zero 0
	.end_amdhsa_kernel
	.section	.text._ZN5aiter37dynamic_per_group_scaled_quant_kernelItaLi32ELi64ELb1ELi64ELb0EEEvPT0_PfPKT_PKfliilPKii,"axG",@progbits,_ZN5aiter37dynamic_per_group_scaled_quant_kernelItaLi32ELi64ELb1ELi64ELb0EEEvPT0_PfPKT_PKfliilPKii,comdat
.Lfunc_end21:
	.size	_ZN5aiter37dynamic_per_group_scaled_quant_kernelItaLi32ELi64ELb1ELi64ELb0EEEvPT0_PfPKT_PKfliilPKii, .Lfunc_end21-_ZN5aiter37dynamic_per_group_scaled_quant_kernelItaLi32ELi64ELb1ELi64ELb0EEEvPT0_PfPKT_PKfliilPKii
                                        ; -- End function
	.section	.AMDGPU.csdata,"",@progbits
; Kernel info:
; codeLenInByte = 2944
; NumSgprs: 18
; NumVgprs: 43
; ScratchSize: 0
; MemoryBound: 0
; FloatMode: 240
; IeeeMode: 1
; LDSByteSize: 0 bytes/workgroup (compile time only)
; SGPRBlocks: 2
; VGPRBlocks: 5
; NumSGPRsForWavesPerEU: 18
; NumVGPRsForWavesPerEU: 43
; Occupancy: 16
; WaveLimiterHint : 0
; COMPUTE_PGM_RSRC2:SCRATCH_EN: 0
; COMPUTE_PGM_RSRC2:USER_SGPR: 15
; COMPUTE_PGM_RSRC2:TRAP_HANDLER: 0
; COMPUTE_PGM_RSRC2:TGID_X_EN: 1
; COMPUTE_PGM_RSRC2:TGID_Y_EN: 0
; COMPUTE_PGM_RSRC2:TGID_Z_EN: 0
; COMPUTE_PGM_RSRC2:TIDIG_COMP_CNT: 0
	.section	.text._ZN5aiter37dynamic_per_group_scaled_quant_kernelIDF16_DB8_Li32ELi64ELb0ELi64ELb0EEEvPT0_PfPKT_PKfliilPKii,"axG",@progbits,_ZN5aiter37dynamic_per_group_scaled_quant_kernelIDF16_DB8_Li32ELi64ELb0ELi64ELb0EEEvPT0_PfPKT_PKfliilPKii,comdat
	.protected	_ZN5aiter37dynamic_per_group_scaled_quant_kernelIDF16_DB8_Li32ELi64ELb0ELi64ELb0EEEvPT0_PfPKT_PKfliilPKii ; -- Begin function _ZN5aiter37dynamic_per_group_scaled_quant_kernelIDF16_DB8_Li32ELi64ELb0ELi64ELb0EEEvPT0_PfPKT_PKfliilPKii
	.globl	_ZN5aiter37dynamic_per_group_scaled_quant_kernelIDF16_DB8_Li32ELi64ELb0ELi64ELb0EEEvPT0_PfPKT_PKfliilPKii
	.p2align	8
	.type	_ZN5aiter37dynamic_per_group_scaled_quant_kernelIDF16_DB8_Li32ELi64ELb0ELi64ELb0EEEvPT0_PfPKT_PKfliilPKii,@function
_ZN5aiter37dynamic_per_group_scaled_quant_kernelIDF16_DB8_Li32ELi64ELb0ELi64ELb0EEEvPT0_PfPKT_PKfliilPKii: ; @_ZN5aiter37dynamic_per_group_scaled_quant_kernelIDF16_DB8_Li32ELi64ELb0ELi64ELb0EEEvPT0_PfPKT_PKfliilPKii
; %bb.0:
	s_load_b64 s[2:3], s[0:1], 0x38
	s_mov_b32 s6, s15
	s_waitcnt lgkmcnt(0)
	s_cmp_eq_u64 s[2:3], 0
	s_cbranch_scc1 .LBB22_2
; %bb.1:
	s_load_b32 s4, s[0:1], 0x40
	s_load_b32 s2, s[2:3], 0x0
	s_waitcnt lgkmcnt(0)
	s_mul_hi_i32 s5, s2, s4
	s_mul_i32 s4, s2, s4
	s_branch .LBB22_3
.LBB22_2:
	s_load_b64 s[4:5], s[0:1], 0x20
.LBB22_3:
	s_load_b64 s[2:3], s[0:1], 0x28
	s_mov_b32 s7, 0
	v_mov_b32_e32 v1, 0
	s_lshl_b64 s[6:7], s[6:7], 6
	s_delay_alu instid0(SALU_CYCLE_1) | instskip(SKIP_1) | instid1(VALU_DEP_1)
	v_or_b32_e32 v3, s6, v0
	v_mov_b32_e32 v4, s7
	v_lshrrev_b64 v[17:18], 1, v[3:4]
	s_waitcnt lgkmcnt(0)
	s_ashr_i32 s6, s2, 31
	s_delay_alu instid0(SALU_CYCLE_1) | instskip(NEXT) | instid1(SALU_CYCLE_1)
	s_lshr_b32 s6, s6, 26
	s_add_i32 s2, s2, s6
	s_delay_alu instid0(SALU_CYCLE_1) | instskip(NEXT) | instid1(SALU_CYCLE_1)
	s_ashr_i32 s10, s2, 6
	s_ashr_i32 s2, s10, 31
	s_delay_alu instid0(SALU_CYCLE_1) | instskip(NEXT) | instid1(VALU_DEP_1)
	v_or_b32_e32 v2, s2, v18
	v_cmp_ne_u64_e32 vcc_lo, 0, v[1:2]
                                        ; implicit-def: $vgpr1_vgpr2
	s_and_saveexec_b32 s6, vcc_lo
	s_delay_alu instid0(SALU_CYCLE_1)
	s_xor_b32 s11, exec_lo, s6
	s_cbranch_execnz .LBB22_7
; %bb.4:
	s_and_not1_saveexec_b32 s2, s11
	s_cbranch_execnz .LBB22_8
.LBB22_5:
	s_or_b32 exec_lo, exec_lo, s2
	s_delay_alu instid0(SALU_CYCLE_1)
	s_mov_b32 s2, exec_lo
	v_cmpx_gt_i64_e64 s[4:5], v[1:2]
	s_cbranch_execnz .LBB22_9
.LBB22_6:
	s_endpgm
.LBB22_7:
	s_add_u32 s8, s10, s2
	s_mov_b32 s6, s2
	s_mov_b32 s7, s2
	s_addc_u32 s9, s2, s2
	s_delay_alu instid0(SALU_CYCLE_1) | instskip(NEXT) | instid1(SALU_CYCLE_1)
	s_xor_b64 s[8:9], s[8:9], s[6:7]
	v_cvt_f32_u32_e32 v1, s8
	v_cvt_f32_u32_e32 v2, s9
	s_sub_u32 s2, 0, s8
	s_subb_u32 s12, 0, s9
	s_delay_alu instid0(VALU_DEP_1) | instskip(NEXT) | instid1(VALU_DEP_1)
	v_fmamk_f32 v1, v2, 0x4f800000, v1
	v_rcp_f32_e32 v1, v1
	s_waitcnt_depctr 0xfff
	v_mul_f32_e32 v1, 0x5f7ffffc, v1
	s_delay_alu instid0(VALU_DEP_1) | instskip(NEXT) | instid1(VALU_DEP_1)
	v_mul_f32_e32 v2, 0x2f800000, v1
	v_trunc_f32_e32 v2, v2
	s_delay_alu instid0(VALU_DEP_1) | instskip(SKIP_1) | instid1(VALU_DEP_2)
	v_fmamk_f32 v1, v2, 0xcf800000, v1
	v_cvt_u32_f32_e32 v2, v2
	v_cvt_u32_f32_e32 v1, v1
	s_delay_alu instid0(VALU_DEP_2) | instskip(NEXT) | instid1(VALU_DEP_2)
	v_mul_lo_u32 v3, s2, v2
	v_mul_hi_u32 v4, s2, v1
	v_mul_lo_u32 v5, s12, v1
	s_delay_alu instid0(VALU_DEP_2) | instskip(SKIP_1) | instid1(VALU_DEP_2)
	v_add_nc_u32_e32 v3, v4, v3
	v_mul_lo_u32 v4, s2, v1
	v_add_nc_u32_e32 v3, v3, v5
	s_delay_alu instid0(VALU_DEP_2) | instskip(NEXT) | instid1(VALU_DEP_2)
	v_mul_hi_u32 v5, v1, v4
	v_mul_lo_u32 v6, v1, v3
	v_mul_hi_u32 v7, v1, v3
	v_mul_hi_u32 v8, v2, v4
	v_mul_lo_u32 v4, v2, v4
	v_mul_hi_u32 v9, v2, v3
	v_mul_lo_u32 v3, v2, v3
	v_add_co_u32 v5, vcc_lo, v5, v6
	v_add_co_ci_u32_e32 v6, vcc_lo, 0, v7, vcc_lo
	s_delay_alu instid0(VALU_DEP_2) | instskip(NEXT) | instid1(VALU_DEP_2)
	v_add_co_u32 v4, vcc_lo, v5, v4
	v_add_co_ci_u32_e32 v4, vcc_lo, v6, v8, vcc_lo
	v_add_co_ci_u32_e32 v5, vcc_lo, 0, v9, vcc_lo
	s_delay_alu instid0(VALU_DEP_2) | instskip(NEXT) | instid1(VALU_DEP_2)
	v_add_co_u32 v3, vcc_lo, v4, v3
	v_add_co_ci_u32_e32 v4, vcc_lo, 0, v5, vcc_lo
	s_delay_alu instid0(VALU_DEP_2) | instskip(NEXT) | instid1(VALU_DEP_2)
	v_add_co_u32 v1, vcc_lo, v1, v3
	v_add_co_ci_u32_e32 v2, vcc_lo, v2, v4, vcc_lo
	s_delay_alu instid0(VALU_DEP_2) | instskip(SKIP_1) | instid1(VALU_DEP_3)
	v_mul_hi_u32 v3, s2, v1
	v_mul_lo_u32 v5, s12, v1
	v_mul_lo_u32 v4, s2, v2
	s_delay_alu instid0(VALU_DEP_1) | instskip(SKIP_1) | instid1(VALU_DEP_2)
	v_add_nc_u32_e32 v3, v3, v4
	v_mul_lo_u32 v4, s2, v1
	v_add_nc_u32_e32 v3, v3, v5
	s_delay_alu instid0(VALU_DEP_2) | instskip(NEXT) | instid1(VALU_DEP_2)
	v_mul_hi_u32 v5, v1, v4
	v_mul_lo_u32 v6, v1, v3
	v_mul_hi_u32 v7, v1, v3
	v_mul_hi_u32 v8, v2, v4
	v_mul_lo_u32 v4, v2, v4
	v_mul_hi_u32 v9, v2, v3
	v_mul_lo_u32 v3, v2, v3
	v_add_co_u32 v5, vcc_lo, v5, v6
	v_add_co_ci_u32_e32 v6, vcc_lo, 0, v7, vcc_lo
	s_delay_alu instid0(VALU_DEP_2) | instskip(NEXT) | instid1(VALU_DEP_2)
	v_add_co_u32 v4, vcc_lo, v5, v4
	v_add_co_ci_u32_e32 v4, vcc_lo, v6, v8, vcc_lo
	v_add_co_ci_u32_e32 v5, vcc_lo, 0, v9, vcc_lo
	s_delay_alu instid0(VALU_DEP_2) | instskip(NEXT) | instid1(VALU_DEP_2)
	v_add_co_u32 v3, vcc_lo, v4, v3
	v_add_co_ci_u32_e32 v4, vcc_lo, 0, v5, vcc_lo
	s_delay_alu instid0(VALU_DEP_2) | instskip(NEXT) | instid1(VALU_DEP_2)
	v_add_co_u32 v5, vcc_lo, v1, v3
	v_add_co_ci_u32_e32 v7, vcc_lo, v2, v4, vcc_lo
	s_delay_alu instid0(VALU_DEP_2) | instskip(SKIP_1) | instid1(VALU_DEP_3)
	v_mul_hi_u32 v8, v17, v5
	v_mad_u64_u32 v[3:4], null, v18, v5, 0
	v_mad_u64_u32 v[1:2], null, v17, v7, 0
	;; [unrolled: 1-line block ×3, first 2 shown]
	s_delay_alu instid0(VALU_DEP_2) | instskip(NEXT) | instid1(VALU_DEP_3)
	v_add_co_u32 v1, vcc_lo, v8, v1
	v_add_co_ci_u32_e32 v2, vcc_lo, 0, v2, vcc_lo
	s_delay_alu instid0(VALU_DEP_2) | instskip(NEXT) | instid1(VALU_DEP_2)
	v_add_co_u32 v1, vcc_lo, v1, v3
	v_add_co_ci_u32_e32 v1, vcc_lo, v2, v4, vcc_lo
	v_add_co_ci_u32_e32 v2, vcc_lo, 0, v6, vcc_lo
	s_delay_alu instid0(VALU_DEP_2) | instskip(NEXT) | instid1(VALU_DEP_2)
	v_add_co_u32 v3, vcc_lo, v1, v5
	v_add_co_ci_u32_e32 v4, vcc_lo, 0, v2, vcc_lo
	s_delay_alu instid0(VALU_DEP_2) | instskip(SKIP_1) | instid1(VALU_DEP_3)
	v_mul_lo_u32 v5, s9, v3
	v_mad_u64_u32 v[1:2], null, s8, v3, 0
	v_mul_lo_u32 v6, s8, v4
	s_delay_alu instid0(VALU_DEP_2) | instskip(NEXT) | instid1(VALU_DEP_2)
	v_sub_co_u32 v1, vcc_lo, v17, v1
	v_add3_u32 v2, v2, v6, v5
	s_delay_alu instid0(VALU_DEP_1) | instskip(NEXT) | instid1(VALU_DEP_1)
	v_sub_nc_u32_e32 v5, v18, v2
	v_subrev_co_ci_u32_e64 v5, s2, s9, v5, vcc_lo
	v_add_co_u32 v6, s2, v3, 2
	s_delay_alu instid0(VALU_DEP_1) | instskip(SKIP_3) | instid1(VALU_DEP_3)
	v_add_co_ci_u32_e64 v7, s2, 0, v4, s2
	v_sub_co_u32 v8, s2, v1, s8
	v_sub_co_ci_u32_e32 v2, vcc_lo, v18, v2, vcc_lo
	v_subrev_co_ci_u32_e64 v5, s2, 0, v5, s2
	v_cmp_le_u32_e32 vcc_lo, s8, v8
	s_delay_alu instid0(VALU_DEP_3) | instskip(SKIP_1) | instid1(VALU_DEP_4)
	v_cmp_eq_u32_e64 s2, s9, v2
	v_cndmask_b32_e64 v8, 0, -1, vcc_lo
	v_cmp_le_u32_e32 vcc_lo, s9, v5
	v_cndmask_b32_e64 v9, 0, -1, vcc_lo
	v_cmp_le_u32_e32 vcc_lo, s8, v1
	;; [unrolled: 2-line block ×3, first 2 shown]
	v_cndmask_b32_e64 v10, 0, -1, vcc_lo
	v_cmp_eq_u32_e32 vcc_lo, s9, v5
	s_delay_alu instid0(VALU_DEP_2) | instskip(SKIP_3) | instid1(VALU_DEP_3)
	v_cndmask_b32_e64 v1, v10, v1, s2
	v_cndmask_b32_e32 v5, v9, v8, vcc_lo
	v_add_co_u32 v8, vcc_lo, v3, 1
	v_add_co_ci_u32_e32 v9, vcc_lo, 0, v4, vcc_lo
	v_cmp_ne_u32_e32 vcc_lo, 0, v5
	s_delay_alu instid0(VALU_DEP_2) | instskip(SKIP_1) | instid1(VALU_DEP_2)
	v_dual_cndmask_b32 v2, v9, v7 :: v_dual_cndmask_b32 v5, v8, v6
	v_cmp_ne_u32_e32 vcc_lo, 0, v1
	v_dual_cndmask_b32 v1, v4, v2 :: v_dual_cndmask_b32 v2, v3, v5
	s_delay_alu instid0(VALU_DEP_1) | instskip(NEXT) | instid1(VALU_DEP_2)
	v_xor_b32_e32 v3, s7, v1
	v_xor_b32_e32 v2, s6, v2
	s_delay_alu instid0(VALU_DEP_1) | instskip(NEXT) | instid1(VALU_DEP_3)
	v_sub_co_u32 v1, vcc_lo, v2, s6
	v_subrev_co_ci_u32_e32 v2, vcc_lo, s7, v3, vcc_lo
                                        ; implicit-def: $vgpr3_vgpr4
	s_and_not1_saveexec_b32 s2, s11
	s_cbranch_execz .LBB22_5
.LBB22_8:
	v_cvt_f32_u32_e32 v1, s10
	s_sub_i32 s6, 0, s10
	v_alignbit_b32 v3, v4, v3, 1
	s_delay_alu instid0(VALU_DEP_2) | instskip(SKIP_2) | instid1(VALU_DEP_1)
	v_rcp_iflag_f32_e32 v1, v1
	s_waitcnt_depctr 0xfff
	v_mul_f32_e32 v1, 0x4f7ffffe, v1
	v_cvt_u32_f32_e32 v1, v1
	s_delay_alu instid0(VALU_DEP_1) | instskip(NEXT) | instid1(VALU_DEP_1)
	v_mul_lo_u32 v2, s6, v1
	v_mul_hi_u32 v2, v1, v2
	s_delay_alu instid0(VALU_DEP_1) | instskip(NEXT) | instid1(VALU_DEP_1)
	v_add_nc_u32_e32 v1, v1, v2
	v_mul_hi_u32 v1, v3, v1
	s_delay_alu instid0(VALU_DEP_1) | instskip(NEXT) | instid1(VALU_DEP_1)
	v_mul_lo_u32 v2, v1, s10
	v_sub_nc_u32_e32 v2, v3, v2
	v_add_nc_u32_e32 v3, 1, v1
	s_delay_alu instid0(VALU_DEP_2) | instskip(SKIP_1) | instid1(VALU_DEP_2)
	v_subrev_nc_u32_e32 v4, s10, v2
	v_cmp_le_u32_e32 vcc_lo, s10, v2
	v_dual_cndmask_b32 v2, v2, v4 :: v_dual_cndmask_b32 v1, v1, v3
	s_delay_alu instid0(VALU_DEP_1) | instskip(NEXT) | instid1(VALU_DEP_2)
	v_cmp_le_u32_e32 vcc_lo, s10, v2
	v_dual_mov_b32 v2, 0 :: v_dual_add_nc_u32 v3, 1, v1
	s_delay_alu instid0(VALU_DEP_1) | instskip(SKIP_1) | instid1(SALU_CYCLE_1)
	v_cndmask_b32_e32 v1, v1, v3, vcc_lo
	s_or_b32 exec_lo, exec_lo, s2
	s_mov_b32 s2, exec_lo
	s_delay_alu instid0(VALU_DEP_1)
	v_cmpx_gt_i64_e64 s[4:5], v[1:2]
	s_cbranch_execz .LBB22_6
.LBB22_9:
	s_ashr_i32 s2, s3, 31
	s_load_b64 s[4:5], s[0:1], 0x10
	v_mul_lo_u32 v4, v1, s10
	v_mul_lo_u32 v5, v2, s3
	v_mad_u64_u32 v[2:3], null, v1, s3, 0
	v_mul_lo_u32 v1, v1, s2
	v_and_b32_e32 v36, 1, v0
	s_mov_b32 s2, exec_lo
	v_sub_nc_u32_e32 v4, v17, v4
	s_delay_alu instid0(VALU_DEP_3) | instskip(NEXT) | instid1(VALU_DEP_2)
	v_add3_u32 v3, v3, v1, v5
	v_dual_mov_b32 v5, 0 :: v_dual_lshlrev_b32 v4, 6, v4
	s_delay_alu instid0(VALU_DEP_2) | instskip(NEXT) | instid1(VALU_DEP_2)
	v_lshlrev_b64 v[1:2], 1, v[2:3]
	v_lshlrev_b64 v[3:4], 1, v[4:5]
	v_lshlrev_b32_e32 v5, 6, v36
	s_waitcnt lgkmcnt(0)
	s_delay_alu instid0(VALU_DEP_3) | instskip(NEXT) | instid1(VALU_DEP_4)
	v_add_co_u32 v1, vcc_lo, s4, v1
	v_add_co_ci_u32_e32 v2, vcc_lo, s5, v2, vcc_lo
	s_load_b64 s[4:5], s[0:1], 0x0
	s_delay_alu instid0(VALU_DEP_2) | instskip(NEXT) | instid1(VALU_DEP_2)
	v_add_co_u32 v1, vcc_lo, v1, v3
	v_add_co_ci_u32_e32 v2, vcc_lo, v2, v4, vcc_lo
	s_delay_alu instid0(VALU_DEP_2) | instskip(NEXT) | instid1(VALU_DEP_2)
	v_add_co_u32 v1, vcc_lo, v1, v5
	v_add_co_ci_u32_e32 v2, vcc_lo, 0, v2, vcc_lo
	s_clause 0x3
	global_load_b128 v[9:12], v[1:2], off
	global_load_b128 v[13:16], v[1:2], off offset:16
	global_load_b128 v[5:8], v[1:2], off offset:32
	;; [unrolled: 1-line block ×3, first 2 shown]
	s_waitcnt vmcnt(3)
	v_lshrrev_b32_e32 v27, 16, v9
	v_cvt_f32_f16_e64 v19, |v9|
	v_lshrrev_b32_e32 v28, 16, v10
	v_cvt_f32_f16_e64 v21, |v10|
	;; [unrolled: 2-line block ×4, first 2 shown]
	s_waitcnt vmcnt(2)
	v_lshrrev_b32_e32 v31, 16, v13
	v_cvt_f32_f16_e64 v23, |v29|
	v_max3_f32 v19, v19, 0x2edbe6ff, v20
	v_cvt_f32_f16_e64 v20, |v11|
	v_lshrrev_b32_e32 v32, 16, v14
	v_lshrrev_b32_e32 v33, 16, v15
	;; [unrolled: 1-line block ×3, first 2 shown]
	v_max3_f32 v19, v19, v21, v22
	v_cvt_f32_f16_e64 v21, |v12|
	v_cvt_f32_f16_e64 v22, |v30|
	;; [unrolled: 1-line block ×4, first 2 shown]
	v_max3_f32 v19, v19, v20, v23
	v_cvt_f32_f16_e64 v20, |v13|
	v_cvt_f32_f16_e64 v23, |v31|
	s_waitcnt vmcnt(1)
	v_cvt_f32_f16_e64 v35, |v7|
	v_max3_f32 v19, v19, v21, v22
	v_cvt_f32_f16_e64 v21, |v14|
	v_cvt_f32_f16_e64 v22, |v32|
	s_delay_alu instid0(VALU_DEP_3) | instskip(SKIP_2) | instid1(VALU_DEP_3)
	v_max3_f32 v19, v19, v20, v23
	v_cvt_f32_f16_e64 v23, |v15|
	v_lshrrev_b32_e32 v20, 16, v5
	v_max3_f32 v19, v19, v21, v22
	v_cvt_f32_f16_e64 v22, |v16|
	v_lshrrev_b32_e32 v21, 16, v6
	s_delay_alu instid0(VALU_DEP_4) | instskip(NEXT) | instid1(VALU_DEP_4)
	v_cvt_f32_f16_e64 v26, |v20|
	v_max3_f32 v19, v19, v23, v24
	v_cvt_f32_f16_e64 v24, |v5|
	v_lshrrev_b32_e32 v23, 16, v7
	s_delay_alu instid0(VALU_DEP_3) | instskip(SKIP_2) | instid1(VALU_DEP_4)
	v_max3_f32 v19, v19, v22, v25
	v_cvt_f32_f16_e64 v22, |v6|
	v_cvt_f32_f16_e64 v25, |v21|
	;; [unrolled: 1-line block ×3, first 2 shown]
	s_delay_alu instid0(VALU_DEP_4) | instskip(SKIP_3) | instid1(VALU_DEP_3)
	v_max3_f32 v19, v19, v24, v26
	v_lshrrev_b32_e32 v24, 16, v8
	s_waitcnt vmcnt(0)
	v_lshrrev_b32_e32 v26, 16, v1
	v_max3_f32 v19, v19, v22, v25
	v_cvt_f32_f16_e64 v25, |v8|
	v_cvt_f32_f16_e64 v38, |v24|
	v_lshrrev_b32_e32 v22, 16, v2
	s_delay_alu instid0(VALU_DEP_4) | instskip(SKIP_2) | instid1(VALU_DEP_4)
	v_max3_f32 v19, v19, v35, v37
	v_cvt_f32_f16_e64 v35, |v1|
	v_cvt_f32_f16_e64 v37, |v26|
	;; [unrolled: 1-line block ×3, first 2 shown]
	s_delay_alu instid0(VALU_DEP_4) | instskip(SKIP_2) | instid1(VALU_DEP_3)
	v_max3_f32 v19, v19, v25, v38
	v_cvt_f32_f16_e64 v38, |v2|
	v_lshrrev_b32_e32 v25, 16, v3
	v_max3_f32 v35, v19, v35, v37
	v_cvt_f32_f16_e64 v37, |v3|
	v_lshrrev_b32_e32 v19, 16, v4
	s_delay_alu instid0(VALU_DEP_4) | instskip(NEXT) | instid1(VALU_DEP_4)
	v_cvt_f32_f16_e64 v40, |v25|
	v_max3_f32 v35, v35, v38, v39
	v_cvt_f32_f16_e64 v38, |v4|
	s_delay_alu instid0(VALU_DEP_4) | instskip(NEXT) | instid1(VALU_DEP_3)
	v_cvt_f32_f16_e64 v39, |v19|
	v_max3_f32 v35, v35, v37, v40
	s_delay_alu instid0(VALU_DEP_1) | instskip(NEXT) | instid1(VALU_DEP_1)
	v_max3_f32 v35, v35, v38, v39
	v_mov_b32_dpp v37, v35 quad_perm:[1,0,3,2] row_mask:0xf bank_mask:0xf
	s_delay_alu instid0(VALU_DEP_1) | instskip(SKIP_1) | instid1(VALU_DEP_1)
	v_cmp_gt_f32_e32 vcc_lo, v35, v37
	v_cndmask_b32_e32 v35, v37, v35, vcc_lo
	v_mul_f32_e32 v35, 0x3b124925, v35
	v_cmpx_eq_u32_e32 0, v36
	s_cbranch_execz .LBB22_11
; %bb.10:
	s_load_b64 s[6:7], s[0:1], 0x8
	v_lshlrev_b64 v[36:37], 2, v[17:18]
	s_waitcnt lgkmcnt(0)
	s_delay_alu instid0(VALU_DEP_1) | instskip(NEXT) | instid1(VALU_DEP_2)
	v_add_co_u32 v36, vcc_lo, s6, v36
	v_add_co_ci_u32_e32 v37, vcc_lo, s7, v37, vcc_lo
	global_store_b32 v[36:37], v35, off
.LBB22_11:
	s_or_b32 exec_lo, exec_lo, s2
	s_delay_alu instid0(VALU_DEP_2) | instskip(SKIP_2) | instid1(VALU_DEP_3)
	v_div_scale_f32 v18, null, v35, v35, 1.0
	v_div_scale_f32 v38, vcc_lo, 1.0, v35, 1.0
	v_cvt_f32_f16_e32 v9, v9
	v_rcp_f32_e32 v36, v18
	v_lshlrev_b32_e32 v0, 5, v0
	s_load_b32 s6, s[0:1], 0x30
	v_cvt_f32_f16_e32 v27, v27
	v_cvt_f32_f16_e32 v10, v10
	;; [unrolled: 1-line block ×7, first 2 shown]
	v_fma_f32 v37, -v18, v36, 1.0
	v_cvt_f32_f16_e32 v33, v33
	v_cvt_f32_f16_e32 v34, v34
	;; [unrolled: 1-line block ×4, first 2 shown]
	v_dual_fmac_f32 v36, v37, v36 :: v_dual_lshlrev_b32 v17, 6, v17
	v_cvt_f32_f16_e32 v13, v13
	v_cvt_f32_f16_e32 v14, v14
	;; [unrolled: 1-line block ×3, first 2 shown]
	s_delay_alu instid0(VALU_DEP_4)
	v_mul_f32_e32 v37, v38, v36
	v_cvt_f32_f16_e32 v16, v16
	s_waitcnt lgkmcnt(0)
	s_and_b32 s5, s5, 0xffff
	s_mov_b32 s7, -1
	v_cvt_f32_f16_e32 v6, v6
	v_fma_f32 v39, -v18, v37, v38
	v_cvt_f32_f16_e32 v7, v7
	v_cvt_f32_f16_e32 v8, v8
	;; [unrolled: 1-line block ×4, first 2 shown]
	v_fmac_f32_e32 v37, v39, v36
	v_cvt_f32_f16_e32 v4, v4
	s_delay_alu instid0(VALU_DEP_2) | instskip(NEXT) | instid1(VALU_DEP_1)
	v_fma_f32 v18, -v18, v37, v38
	v_div_fmas_f32 v18, v18, v36, v37
	v_mov_b32_e32 v36, 0x43e00000
	s_delay_alu instid0(VALU_DEP_2) | instskip(SKIP_2) | instid1(VALU_DEP_3)
	v_div_fixup_f32 v18, v18, v35, 1.0
	v_mov_b32_e32 v35, 0xc3e00000
	v_and_or_b32 v17, v0, 32, v17
	v_mul_f32_e32 v0, v18, v9
	v_mul_f32_e32 v9, v18, v27
	;; [unrolled: 1-line block ×10, first 2 shown]
	;;#ASMSTART
	v_med3_f32 v0, v0, v35, v36
v_med3_f32 v9, v9, v35, v36
v_cvt_pk_fp8_f32 v34, v0, v9
	;;#ASMEND
	v_mul_f32_e32 v11, v18, v11
	v_mul_f32_e32 v12, v18, v12
	;;#ASMSTART
	v_med3_f32 v10, v10, v35, v36
v_med3_f32 v27, v27, v35, v36
v_cvt_pk_fp8_f32 v0, v10, v27
	;;#ASMEND
	v_mul_f32_e32 v13, v18, v13
	v_mul_f32_e32 v14, v18, v14
	;;#ASMSTART
	v_med3_f32 v11, v11, v35, v36
v_med3_f32 v28, v28, v35, v36
v_cvt_pk_fp8_f32 v9, v11, v28
	;;#ASMEND
	;;#ASMSTART
	v_med3_f32 v12, v12, v35, v36
v_med3_f32 v29, v29, v35, v36
v_cvt_pk_fp8_f32 v10, v12, v29
	;;#ASMEND
	;; [unrolled: 5-line block ×4, first 2 shown]
	v_perm_b32 v14, v0, v34, 0x5040100
	v_mul_f32_e32 v15, v18, v15
	v_mul_f32_e32 v16, v18, v16
	;;#ASMSTART
	v_med3_f32 v15, v15, v35, v36
v_med3_f32 v32, v32, v35, v36
v_cvt_pk_fp8_f32 v13, v15, v32
	;;#ASMEND
	;;#ASMSTART
	v_med3_f32 v16, v16, v35, v36
v_med3_f32 v33, v33, v35, v36
v_cvt_pk_fp8_f32 v15, v16, v33
	;;#ASMEND
	v_perm_b32 v10, v9, v10, 0x1000504
	v_perm_b32 v11, v11, v12, 0x1000504
	;; [unrolled: 1-line block ×4, first 2 shown]
	v_cvt_f32_f16_e32 v0, v5
	v_cvt_f32_f16_e32 v5, v20
	;; [unrolled: 1-line block ×4, first 2 shown]
	buffer_store_b128 v[9:12], v17, s[4:7], 0 offen
	v_cvt_f32_f16_e32 v9, v21
	v_cvt_f32_f16_e32 v10, v23
	;; [unrolled: 1-line block ×3, first 2 shown]
	v_mul_f32_e32 v0, v18, v0
	v_mul_f32_e32 v1, v18, v5
	;;#ASMSTART
	s_nop 0
	;;#ASMEND
	v_mul_f32_e32 v5, v18, v6
	v_mul_f32_e32 v6, v18, v9
	;;#ASMSTART
	v_med3_f32 v0, v0, v35, v36
v_med3_f32 v1, v1, v35, v36
v_cvt_pk_fp8_f32 v15, v0, v1
	;;#ASMEND
	v_cvt_f32_f16_e32 v11, v24
	;;#ASMSTART
	v_med3_f32 v5, v5, v35, v36
v_med3_f32 v6, v6, v35, v36
v_cvt_pk_fp8_f32 v0, v5, v6
	;;#ASMEND
	v_perm_b32 v1, v0, v15, 0x5040100
	v_cvt_f32_f16_e32 v9, v22
	v_mul_f32_e32 v6, v18, v10
	v_cvt_f32_f16_e32 v10, v19
	v_mul_f32_e32 v5, v18, v7
	v_mul_f32_e32 v7, v18, v8
	;; [unrolled: 1-line block ×3, first 2 shown]
	v_perm_b32 v0, v1, v0, 0x1060504
	;;#ASMSTART
	v_med3_f32 v5, v5, v35, v36
v_med3_f32 v6, v6, v35, v36
v_cvt_pk_fp8_f32 v1, v5, v6
	;;#ASMEND
	;;#ASMSTART
	v_med3_f32 v7, v7, v35, v36
v_med3_f32 v8, v8, v35, v36
v_cvt_pk_fp8_f32 v5, v7, v8
	;;#ASMEND
	v_perm_b32 v1, v1, v5, 0x1000504
	v_mul_f32_e32 v5, v18, v12
	v_mul_f32_e32 v6, v18, v13
	;; [unrolled: 1-line block ×5, first 2 shown]
	;;#ASMSTART
	v_med3_f32 v5, v5, v35, v36
v_med3_f32 v6, v6, v35, v36
v_cvt_pk_fp8_f32 v10, v5, v6
	;;#ASMEND
	v_mul_f32_e32 v3, v18, v3
	v_mul_f32_e32 v8, v18, v14
	;;#ASMSTART
	v_med3_f32 v2, v2, v35, v36
v_med3_f32 v7, v7, v35, v36
v_cvt_pk_fp8_f32 v5, v2, v7
	;;#ASMEND
	v_mul_f32_e32 v4, v18, v4
	v_perm_b32 v2, v10, v5, 0x1000504
	;;#ASMSTART
	v_med3_f32 v3, v3, v35, v36
v_med3_f32 v8, v8, v35, v36
v_cvt_pk_fp8_f32 v5, v3, v8
	;;#ASMEND
	;;#ASMSTART
	v_med3_f32 v4, v4, v35, v36
v_med3_f32 v9, v9, v35, v36
v_cvt_pk_fp8_f32 v3, v4, v9
	;;#ASMEND
	v_perm_b32 v3, v5, v3, 0x1000504
	buffer_store_b128 v[0:3], v17, s[4:7], 16 offen
	;;#ASMSTART
	s_nop 0
	;;#ASMEND
	s_nop 0
	s_sendmsg sendmsg(MSG_DEALLOC_VGPRS)
	s_endpgm
	.section	.rodata,"a",@progbits
	.p2align	6, 0x0
	.amdhsa_kernel _ZN5aiter37dynamic_per_group_scaled_quant_kernelIDF16_DB8_Li32ELi64ELb0ELi64ELb0EEEvPT0_PfPKT_PKfliilPKii
		.amdhsa_group_segment_fixed_size 0
		.amdhsa_private_segment_fixed_size 0
		.amdhsa_kernarg_size 68
		.amdhsa_user_sgpr_count 15
		.amdhsa_user_sgpr_dispatch_ptr 0
		.amdhsa_user_sgpr_queue_ptr 0
		.amdhsa_user_sgpr_kernarg_segment_ptr 1
		.amdhsa_user_sgpr_dispatch_id 0
		.amdhsa_user_sgpr_private_segment_size 0
		.amdhsa_wavefront_size32 1
		.amdhsa_uses_dynamic_stack 0
		.amdhsa_enable_private_segment 0
		.amdhsa_system_sgpr_workgroup_id_x 1
		.amdhsa_system_sgpr_workgroup_id_y 0
		.amdhsa_system_sgpr_workgroup_id_z 0
		.amdhsa_system_sgpr_workgroup_info 0
		.amdhsa_system_vgpr_workitem_id 0
		.amdhsa_next_free_vgpr 41
		.amdhsa_next_free_sgpr 16
		.amdhsa_reserve_vcc 1
		.amdhsa_float_round_mode_32 0
		.amdhsa_float_round_mode_16_64 0
		.amdhsa_float_denorm_mode_32 3
		.amdhsa_float_denorm_mode_16_64 3
		.amdhsa_dx10_clamp 1
		.amdhsa_ieee_mode 1
		.amdhsa_fp16_overflow 0
		.amdhsa_workgroup_processor_mode 1
		.amdhsa_memory_ordered 1
		.amdhsa_forward_progress 0
		.amdhsa_shared_vgpr_count 0
		.amdhsa_exception_fp_ieee_invalid_op 0
		.amdhsa_exception_fp_denorm_src 0
		.amdhsa_exception_fp_ieee_div_zero 0
		.amdhsa_exception_fp_ieee_overflow 0
		.amdhsa_exception_fp_ieee_underflow 0
		.amdhsa_exception_fp_ieee_inexact 0
		.amdhsa_exception_int_div_zero 0
	.end_amdhsa_kernel
	.section	.text._ZN5aiter37dynamic_per_group_scaled_quant_kernelIDF16_DB8_Li32ELi64ELb0ELi64ELb0EEEvPT0_PfPKT_PKfliilPKii,"axG",@progbits,_ZN5aiter37dynamic_per_group_scaled_quant_kernelIDF16_DB8_Li32ELi64ELb0ELi64ELb0EEEvPT0_PfPKT_PKfliilPKii,comdat
.Lfunc_end22:
	.size	_ZN5aiter37dynamic_per_group_scaled_quant_kernelIDF16_DB8_Li32ELi64ELb0ELi64ELb0EEEvPT0_PfPKT_PKfliilPKii, .Lfunc_end22-_ZN5aiter37dynamic_per_group_scaled_quant_kernelIDF16_DB8_Li32ELi64ELb0ELi64ELb0EEEvPT0_PfPKT_PKfliilPKii
                                        ; -- End function
	.section	.AMDGPU.csdata,"",@progbits
; Kernel info:
; codeLenInByte = 3492
; NumSgprs: 18
; NumVgprs: 41
; ScratchSize: 0
; MemoryBound: 0
; FloatMode: 240
; IeeeMode: 1
; LDSByteSize: 0 bytes/workgroup (compile time only)
; SGPRBlocks: 2
; VGPRBlocks: 5
; NumSGPRsForWavesPerEU: 18
; NumVGPRsForWavesPerEU: 41
; Occupancy: 16
; WaveLimiterHint : 0
; COMPUTE_PGM_RSRC2:SCRATCH_EN: 0
; COMPUTE_PGM_RSRC2:USER_SGPR: 15
; COMPUTE_PGM_RSRC2:TRAP_HANDLER: 0
; COMPUTE_PGM_RSRC2:TGID_X_EN: 1
; COMPUTE_PGM_RSRC2:TGID_Y_EN: 0
; COMPUTE_PGM_RSRC2:TGID_Z_EN: 0
; COMPUTE_PGM_RSRC2:TIDIG_COMP_CNT: 0
	.section	.text._ZN5aiter37dynamic_per_group_scaled_quant_kernelItDB8_Li32ELi64ELb0ELi64ELb0EEEvPT0_PfPKT_PKfliilPKii,"axG",@progbits,_ZN5aiter37dynamic_per_group_scaled_quant_kernelItDB8_Li32ELi64ELb0ELi64ELb0EEEvPT0_PfPKT_PKfliilPKii,comdat
	.protected	_ZN5aiter37dynamic_per_group_scaled_quant_kernelItDB8_Li32ELi64ELb0ELi64ELb0EEEvPT0_PfPKT_PKfliilPKii ; -- Begin function _ZN5aiter37dynamic_per_group_scaled_quant_kernelItDB8_Li32ELi64ELb0ELi64ELb0EEEvPT0_PfPKT_PKfliilPKii
	.globl	_ZN5aiter37dynamic_per_group_scaled_quant_kernelItDB8_Li32ELi64ELb0ELi64ELb0EEEvPT0_PfPKT_PKfliilPKii
	.p2align	8
	.type	_ZN5aiter37dynamic_per_group_scaled_quant_kernelItDB8_Li32ELi64ELb0ELi64ELb0EEEvPT0_PfPKT_PKfliilPKii,@function
_ZN5aiter37dynamic_per_group_scaled_quant_kernelItDB8_Li32ELi64ELb0ELi64ELb0EEEvPT0_PfPKT_PKfliilPKii: ; @_ZN5aiter37dynamic_per_group_scaled_quant_kernelItDB8_Li32ELi64ELb0ELi64ELb0EEEvPT0_PfPKT_PKfliilPKii
; %bb.0:
	s_load_b64 s[2:3], s[0:1], 0x38
	s_mov_b32 s6, s15
	s_waitcnt lgkmcnt(0)
	s_cmp_eq_u64 s[2:3], 0
	s_cbranch_scc1 .LBB23_2
; %bb.1:
	s_load_b32 s4, s[0:1], 0x40
	s_load_b32 s2, s[2:3], 0x0
	s_waitcnt lgkmcnt(0)
	s_mul_hi_i32 s5, s2, s4
	s_mul_i32 s4, s2, s4
	s_branch .LBB23_3
.LBB23_2:
	s_load_b64 s[4:5], s[0:1], 0x20
.LBB23_3:
	s_load_b64 s[2:3], s[0:1], 0x28
	s_mov_b32 s7, 0
	v_mov_b32_e32 v3, 0
	s_lshl_b64 s[6:7], s[6:7], 6
	s_delay_alu instid0(SALU_CYCLE_1) | instskip(SKIP_1) | instid1(VALU_DEP_1)
	v_or_b32_e32 v5, s6, v0
	v_mov_b32_e32 v6, s7
	v_lshrrev_b64 v[1:2], 1, v[5:6]
	s_waitcnt lgkmcnt(0)
	s_ashr_i32 s6, s2, 31
	s_delay_alu instid0(SALU_CYCLE_1) | instskip(NEXT) | instid1(SALU_CYCLE_1)
	s_lshr_b32 s6, s6, 26
	s_add_i32 s2, s2, s6
	s_delay_alu instid0(SALU_CYCLE_1) | instskip(NEXT) | instid1(SALU_CYCLE_1)
	s_ashr_i32 s10, s2, 6
	s_ashr_i32 s2, s10, 31
	s_delay_alu instid0(SALU_CYCLE_1) | instskip(NEXT) | instid1(VALU_DEP_1)
	v_or_b32_e32 v4, s2, v2
	v_cmp_ne_u64_e32 vcc_lo, 0, v[3:4]
                                        ; implicit-def: $vgpr3_vgpr4
	s_and_saveexec_b32 s6, vcc_lo
	s_delay_alu instid0(SALU_CYCLE_1)
	s_xor_b32 s11, exec_lo, s6
	s_cbranch_execnz .LBB23_7
; %bb.4:
	s_and_not1_saveexec_b32 s2, s11
	s_cbranch_execnz .LBB23_8
.LBB23_5:
	s_or_b32 exec_lo, exec_lo, s2
	s_delay_alu instid0(SALU_CYCLE_1)
	s_mov_b32 s2, exec_lo
	v_cmpx_gt_i64_e64 s[4:5], v[3:4]
	s_cbranch_execnz .LBB23_9
.LBB23_6:
	s_endpgm
.LBB23_7:
	s_add_u32 s8, s10, s2
	s_mov_b32 s6, s2
	s_mov_b32 s7, s2
	s_addc_u32 s9, s2, s2
	s_delay_alu instid0(SALU_CYCLE_1) | instskip(NEXT) | instid1(SALU_CYCLE_1)
	s_xor_b64 s[8:9], s[8:9], s[6:7]
	v_cvt_f32_u32_e32 v3, s8
	v_cvt_f32_u32_e32 v4, s9
	s_sub_u32 s2, 0, s8
	s_subb_u32 s12, 0, s9
	s_delay_alu instid0(VALU_DEP_1) | instskip(NEXT) | instid1(VALU_DEP_1)
	v_fmamk_f32 v3, v4, 0x4f800000, v3
	v_rcp_f32_e32 v3, v3
	s_waitcnt_depctr 0xfff
	v_mul_f32_e32 v3, 0x5f7ffffc, v3
	s_delay_alu instid0(VALU_DEP_1) | instskip(NEXT) | instid1(VALU_DEP_1)
	v_mul_f32_e32 v4, 0x2f800000, v3
	v_trunc_f32_e32 v4, v4
	s_delay_alu instid0(VALU_DEP_1) | instskip(SKIP_1) | instid1(VALU_DEP_2)
	v_fmamk_f32 v3, v4, 0xcf800000, v3
	v_cvt_u32_f32_e32 v4, v4
	v_cvt_u32_f32_e32 v3, v3
	s_delay_alu instid0(VALU_DEP_2) | instskip(NEXT) | instid1(VALU_DEP_2)
	v_mul_lo_u32 v5, s2, v4
	v_mul_hi_u32 v6, s2, v3
	v_mul_lo_u32 v7, s12, v3
	s_delay_alu instid0(VALU_DEP_2) | instskip(SKIP_1) | instid1(VALU_DEP_2)
	v_add_nc_u32_e32 v5, v6, v5
	v_mul_lo_u32 v6, s2, v3
	v_add_nc_u32_e32 v5, v5, v7
	s_delay_alu instid0(VALU_DEP_2) | instskip(NEXT) | instid1(VALU_DEP_2)
	v_mul_hi_u32 v7, v3, v6
	v_mul_lo_u32 v8, v3, v5
	v_mul_hi_u32 v9, v3, v5
	v_mul_hi_u32 v10, v4, v6
	v_mul_lo_u32 v6, v4, v6
	v_mul_hi_u32 v11, v4, v5
	v_mul_lo_u32 v5, v4, v5
	v_add_co_u32 v7, vcc_lo, v7, v8
	v_add_co_ci_u32_e32 v8, vcc_lo, 0, v9, vcc_lo
	s_delay_alu instid0(VALU_DEP_2) | instskip(NEXT) | instid1(VALU_DEP_2)
	v_add_co_u32 v6, vcc_lo, v7, v6
	v_add_co_ci_u32_e32 v6, vcc_lo, v8, v10, vcc_lo
	v_add_co_ci_u32_e32 v7, vcc_lo, 0, v11, vcc_lo
	s_delay_alu instid0(VALU_DEP_2) | instskip(NEXT) | instid1(VALU_DEP_2)
	v_add_co_u32 v5, vcc_lo, v6, v5
	v_add_co_ci_u32_e32 v6, vcc_lo, 0, v7, vcc_lo
	s_delay_alu instid0(VALU_DEP_2) | instskip(NEXT) | instid1(VALU_DEP_2)
	v_add_co_u32 v3, vcc_lo, v3, v5
	v_add_co_ci_u32_e32 v4, vcc_lo, v4, v6, vcc_lo
	s_delay_alu instid0(VALU_DEP_2) | instskip(SKIP_1) | instid1(VALU_DEP_3)
	v_mul_hi_u32 v5, s2, v3
	v_mul_lo_u32 v7, s12, v3
	v_mul_lo_u32 v6, s2, v4
	s_delay_alu instid0(VALU_DEP_1) | instskip(SKIP_1) | instid1(VALU_DEP_2)
	v_add_nc_u32_e32 v5, v5, v6
	v_mul_lo_u32 v6, s2, v3
	v_add_nc_u32_e32 v5, v5, v7
	s_delay_alu instid0(VALU_DEP_2) | instskip(NEXT) | instid1(VALU_DEP_2)
	v_mul_hi_u32 v7, v3, v6
	v_mul_lo_u32 v8, v3, v5
	v_mul_hi_u32 v9, v3, v5
	v_mul_hi_u32 v10, v4, v6
	v_mul_lo_u32 v6, v4, v6
	v_mul_hi_u32 v11, v4, v5
	v_mul_lo_u32 v5, v4, v5
	v_add_co_u32 v7, vcc_lo, v7, v8
	v_add_co_ci_u32_e32 v8, vcc_lo, 0, v9, vcc_lo
	s_delay_alu instid0(VALU_DEP_2) | instskip(NEXT) | instid1(VALU_DEP_2)
	v_add_co_u32 v6, vcc_lo, v7, v6
	v_add_co_ci_u32_e32 v6, vcc_lo, v8, v10, vcc_lo
	v_add_co_ci_u32_e32 v7, vcc_lo, 0, v11, vcc_lo
	s_delay_alu instid0(VALU_DEP_2) | instskip(NEXT) | instid1(VALU_DEP_2)
	v_add_co_u32 v5, vcc_lo, v6, v5
	v_add_co_ci_u32_e32 v6, vcc_lo, 0, v7, vcc_lo
	s_delay_alu instid0(VALU_DEP_2) | instskip(NEXT) | instid1(VALU_DEP_2)
	v_add_co_u32 v7, vcc_lo, v3, v5
	v_add_co_ci_u32_e32 v9, vcc_lo, v4, v6, vcc_lo
	s_delay_alu instid0(VALU_DEP_2) | instskip(SKIP_1) | instid1(VALU_DEP_3)
	v_mul_hi_u32 v10, v1, v7
	v_mad_u64_u32 v[5:6], null, v2, v7, 0
	v_mad_u64_u32 v[3:4], null, v1, v9, 0
	;; [unrolled: 1-line block ×3, first 2 shown]
	s_delay_alu instid0(VALU_DEP_2) | instskip(NEXT) | instid1(VALU_DEP_3)
	v_add_co_u32 v3, vcc_lo, v10, v3
	v_add_co_ci_u32_e32 v4, vcc_lo, 0, v4, vcc_lo
	s_delay_alu instid0(VALU_DEP_2) | instskip(NEXT) | instid1(VALU_DEP_2)
	v_add_co_u32 v3, vcc_lo, v3, v5
	v_add_co_ci_u32_e32 v3, vcc_lo, v4, v6, vcc_lo
	v_add_co_ci_u32_e32 v4, vcc_lo, 0, v8, vcc_lo
	s_delay_alu instid0(VALU_DEP_2) | instskip(NEXT) | instid1(VALU_DEP_2)
	v_add_co_u32 v5, vcc_lo, v3, v7
	v_add_co_ci_u32_e32 v6, vcc_lo, 0, v4, vcc_lo
	s_delay_alu instid0(VALU_DEP_2) | instskip(SKIP_1) | instid1(VALU_DEP_3)
	v_mul_lo_u32 v7, s9, v5
	v_mad_u64_u32 v[3:4], null, s8, v5, 0
	v_mul_lo_u32 v8, s8, v6
	s_delay_alu instid0(VALU_DEP_2) | instskip(NEXT) | instid1(VALU_DEP_2)
	v_sub_co_u32 v3, vcc_lo, v1, v3
	v_add3_u32 v4, v4, v8, v7
	s_delay_alu instid0(VALU_DEP_1) | instskip(NEXT) | instid1(VALU_DEP_1)
	v_sub_nc_u32_e32 v7, v2, v4
	v_subrev_co_ci_u32_e64 v7, s2, s9, v7, vcc_lo
	v_add_co_u32 v8, s2, v5, 2
	s_delay_alu instid0(VALU_DEP_1) | instskip(SKIP_3) | instid1(VALU_DEP_3)
	v_add_co_ci_u32_e64 v9, s2, 0, v6, s2
	v_sub_co_u32 v10, s2, v3, s8
	v_sub_co_ci_u32_e32 v4, vcc_lo, v2, v4, vcc_lo
	v_subrev_co_ci_u32_e64 v7, s2, 0, v7, s2
	v_cmp_le_u32_e32 vcc_lo, s8, v10
	s_delay_alu instid0(VALU_DEP_3) | instskip(SKIP_1) | instid1(VALU_DEP_4)
	v_cmp_eq_u32_e64 s2, s9, v4
	v_cndmask_b32_e64 v10, 0, -1, vcc_lo
	v_cmp_le_u32_e32 vcc_lo, s9, v7
	v_cndmask_b32_e64 v11, 0, -1, vcc_lo
	v_cmp_le_u32_e32 vcc_lo, s8, v3
	;; [unrolled: 2-line block ×3, first 2 shown]
	v_cndmask_b32_e64 v12, 0, -1, vcc_lo
	v_cmp_eq_u32_e32 vcc_lo, s9, v7
	s_delay_alu instid0(VALU_DEP_2) | instskip(SKIP_3) | instid1(VALU_DEP_3)
	v_cndmask_b32_e64 v3, v12, v3, s2
	v_cndmask_b32_e32 v7, v11, v10, vcc_lo
	v_add_co_u32 v10, vcc_lo, v5, 1
	v_add_co_ci_u32_e32 v11, vcc_lo, 0, v6, vcc_lo
	v_cmp_ne_u32_e32 vcc_lo, 0, v7
	s_delay_alu instid0(VALU_DEP_2) | instskip(SKIP_1) | instid1(VALU_DEP_2)
	v_dual_cndmask_b32 v4, v11, v9 :: v_dual_cndmask_b32 v7, v10, v8
	v_cmp_ne_u32_e32 vcc_lo, 0, v3
	v_dual_cndmask_b32 v3, v6, v4 :: v_dual_cndmask_b32 v4, v5, v7
	s_delay_alu instid0(VALU_DEP_1) | instskip(NEXT) | instid1(VALU_DEP_2)
	v_xor_b32_e32 v5, s7, v3
	v_xor_b32_e32 v4, s6, v4
	s_delay_alu instid0(VALU_DEP_1) | instskip(NEXT) | instid1(VALU_DEP_3)
	v_sub_co_u32 v3, vcc_lo, v4, s6
	v_subrev_co_ci_u32_e32 v4, vcc_lo, s7, v5, vcc_lo
                                        ; implicit-def: $vgpr5_vgpr6
	s_and_not1_saveexec_b32 s2, s11
	s_cbranch_execz .LBB23_5
.LBB23_8:
	v_cvt_f32_u32_e32 v3, s10
	s_sub_i32 s6, 0, s10
	v_alignbit_b32 v5, v6, v5, 1
	s_delay_alu instid0(VALU_DEP_2) | instskip(SKIP_2) | instid1(VALU_DEP_1)
	v_rcp_iflag_f32_e32 v3, v3
	s_waitcnt_depctr 0xfff
	v_mul_f32_e32 v3, 0x4f7ffffe, v3
	v_cvt_u32_f32_e32 v3, v3
	s_delay_alu instid0(VALU_DEP_1) | instskip(NEXT) | instid1(VALU_DEP_1)
	v_mul_lo_u32 v4, s6, v3
	v_mul_hi_u32 v4, v3, v4
	s_delay_alu instid0(VALU_DEP_1) | instskip(NEXT) | instid1(VALU_DEP_1)
	v_add_nc_u32_e32 v3, v3, v4
	v_mul_hi_u32 v3, v5, v3
	s_delay_alu instid0(VALU_DEP_1) | instskip(NEXT) | instid1(VALU_DEP_1)
	v_mul_lo_u32 v4, v3, s10
	v_sub_nc_u32_e32 v4, v5, v4
	v_add_nc_u32_e32 v5, 1, v3
	s_delay_alu instid0(VALU_DEP_2) | instskip(SKIP_1) | instid1(VALU_DEP_2)
	v_subrev_nc_u32_e32 v6, s10, v4
	v_cmp_le_u32_e32 vcc_lo, s10, v4
	v_dual_cndmask_b32 v4, v4, v6 :: v_dual_cndmask_b32 v3, v3, v5
	s_delay_alu instid0(VALU_DEP_1) | instskip(NEXT) | instid1(VALU_DEP_2)
	v_cmp_le_u32_e32 vcc_lo, s10, v4
	v_dual_mov_b32 v4, 0 :: v_dual_add_nc_u32 v5, 1, v3
	s_delay_alu instid0(VALU_DEP_1) | instskip(SKIP_1) | instid1(SALU_CYCLE_1)
	v_cndmask_b32_e32 v3, v3, v5, vcc_lo
	s_or_b32 exec_lo, exec_lo, s2
	s_mov_b32 s2, exec_lo
	s_delay_alu instid0(VALU_DEP_1)
	v_cmpx_gt_i64_e64 s[4:5], v[3:4]
	s_cbranch_execz .LBB23_6
.LBB23_9:
	s_ashr_i32 s2, s3, 31
	s_load_b64 s[4:5], s[0:1], 0x10
	v_mul_lo_u32 v6, v3, s10
	v_mul_lo_u32 v7, v4, s3
	v_mad_u64_u32 v[4:5], null, v3, s3, 0
	v_mul_lo_u32 v3, v3, s2
	v_and_b32_e32 v39, 1, v0
	s_mov_b32 s2, exec_lo
	v_sub_nc_u32_e32 v6, v1, v6
	s_delay_alu instid0(VALU_DEP_3) | instskip(NEXT) | instid1(VALU_DEP_2)
	v_add3_u32 v5, v5, v3, v7
	v_dual_mov_b32 v7, 0 :: v_dual_lshlrev_b32 v6, 6, v6
	s_delay_alu instid0(VALU_DEP_2) | instskip(NEXT) | instid1(VALU_DEP_2)
	v_lshlrev_b64 v[3:4], 1, v[4:5]
	v_lshlrev_b64 v[5:6], 1, v[6:7]
	v_lshlrev_b32_e32 v7, 6, v39
	s_waitcnt lgkmcnt(0)
	s_delay_alu instid0(VALU_DEP_3) | instskip(NEXT) | instid1(VALU_DEP_4)
	v_add_co_u32 v3, vcc_lo, s4, v3
	v_add_co_ci_u32_e32 v4, vcc_lo, s5, v4, vcc_lo
	s_load_b64 s[4:5], s[0:1], 0x0
	s_delay_alu instid0(VALU_DEP_2) | instskip(NEXT) | instid1(VALU_DEP_2)
	v_add_co_u32 v3, vcc_lo, v3, v5
	v_add_co_ci_u32_e32 v4, vcc_lo, v4, v6, vcc_lo
	s_delay_alu instid0(VALU_DEP_2) | instskip(NEXT) | instid1(VALU_DEP_2)
	v_add_co_u32 v11, vcc_lo, v3, v7
	v_add_co_ci_u32_e32 v12, vcc_lo, 0, v4, vcc_lo
	s_clause 0x3
	global_load_b128 v[3:6], v[11:12], off
	global_load_b128 v[7:10], v[11:12], off offset:16
	global_load_b128 v[14:17], v[11:12], off offset:32
	;; [unrolled: 1-line block ×3, first 2 shown]
	s_waitcnt vmcnt(3)
	v_and_b32_e32 v11, 0xffff, v3
	v_lshrrev_b32_e32 v3, 16, v3
	v_and_b32_e32 v12, 0xffff, v4
	v_lshrrev_b32_e32 v4, 16, v4
	s_delay_alu instid0(VALU_DEP_4) | instskip(NEXT) | instid1(VALU_DEP_4)
	v_cvt_f32_u32_e32 v33, v11
	v_cvt_f32_u32_e32 v34, v3
	v_and_b32_e32 v3, 0xffff, v5
	v_lshrrev_b32_e32 v5, 16, v5
	v_cvt_f32_u32_e32 v31, v12
	v_cvt_f32_u32_e32 v32, v4
	v_max3_f32 v4, v33, 0x2edbe6ff, v34
	v_and_b32_e32 v11, 0xffff, v6
	v_lshrrev_b32_e32 v6, 16, v6
	v_cvt_f32_u32_e32 v27, v3
	v_cvt_f32_u32_e32 v28, v5
	v_max3_f32 v3, v4, v31, v32
	s_waitcnt vmcnt(2)
	v_and_b32_e32 v4, 0xffff, v7
	v_lshrrev_b32_e32 v5, 16, v7
	v_cvt_f32_u32_e32 v29, v11
	v_cvt_f32_u32_e32 v30, v6
	v_max3_f32 v3, v3, v27, v28
	v_and_b32_e32 v6, 0xffff, v8
	v_lshrrev_b32_e32 v7, 16, v8
	v_cvt_f32_u32_e32 v23, v4
	v_cvt_f32_u32_e32 v24, v5
	v_max3_f32 v3, v3, v29, v30
	v_and_b32_e32 v4, 0xffff, v9
	v_lshrrev_b32_e32 v5, 16, v9
	v_cvt_f32_u32_e32 v25, v6
	v_cvt_f32_u32_e32 v26, v7
	v_max3_f32 v3, v3, v23, v24
	v_and_b32_e32 v6, 0xffff, v10
	v_lshrrev_b32_e32 v7, 16, v10
	v_cvt_f32_u32_e32 v19, v4
	v_cvt_f32_u32_e32 v20, v5
	v_max3_f32 v3, v3, v25, v26
	s_waitcnt vmcnt(1)
	v_and_b32_e32 v4, 0xffff, v14
	v_lshrrev_b32_e32 v5, 16, v14
	v_cvt_f32_u32_e32 v21, v6
	v_cvt_f32_u32_e32 v22, v7
	v_max3_f32 v3, v3, v19, v20
	v_and_b32_e32 v6, 0xffff, v15
	v_lshrrev_b32_e32 v7, 16, v15
	v_cvt_f32_u32_e32 v13, v4
	v_cvt_f32_u32_e32 v14, v5
	v_max3_f32 v3, v3, v21, v22
	;; [unrolled: 21-line block ×3, first 2 shown]
	v_and_b32_e32 v4, 0xffff, v37
	v_lshrrev_b32_e32 v8, 16, v37
	v_cvt_f32_u32_e32 v5, v6
	v_cvt_f32_u32_e32 v6, v7
	v_max3_f32 v3, v3, v17, v18
	v_and_b32_e32 v35, 0xffff, v38
	v_lshrrev_b32_e32 v36, 16, v38
	v_cvt_f32_u32_e32 v7, v4
	v_cvt_f32_u32_e32 v8, v8
	v_max3_f32 v37, v3, v5, v6
	v_cvt_f32_u32_e32 v3, v35
	v_cvt_f32_u32_e32 v4, v36
	s_delay_alu instid0(VALU_DEP_3) | instskip(NEXT) | instid1(VALU_DEP_1)
	v_max3_f32 v35, v37, v7, v8
	v_max3_f32 v35, v35, v3, v4
	s_delay_alu instid0(VALU_DEP_1) | instskip(NEXT) | instid1(VALU_DEP_1)
	v_mov_b32_dpp v36, v35 quad_perm:[1,0,3,2] row_mask:0xf bank_mask:0xf
	v_cmp_gt_f32_e32 vcc_lo, v35, v36
	v_cndmask_b32_e32 v35, v36, v35, vcc_lo
	s_delay_alu instid0(VALU_DEP_1)
	v_mul_f32_e32 v35, 0x3b124925, v35
	v_cmpx_eq_u32_e32 0, v39
	s_cbranch_execz .LBB23_11
; %bb.10:
	s_load_b64 s[6:7], s[0:1], 0x8
	v_lshlrev_b64 v[36:37], 2, v[1:2]
	s_waitcnt lgkmcnt(0)
	s_delay_alu instid0(VALU_DEP_1) | instskip(NEXT) | instid1(VALU_DEP_2)
	v_add_co_u32 v36, vcc_lo, s6, v36
	v_add_co_ci_u32_e32 v37, vcc_lo, s7, v37, vcc_lo
	global_store_b32 v[36:37], v35, off
.LBB23_11:
	s_or_b32 exec_lo, exec_lo, s2
	s_delay_alu instid0(VALU_DEP_2) | instskip(SKIP_2) | instid1(VALU_DEP_2)
	v_div_scale_f32 v2, null, v35, v35, 1.0
	v_div_scale_f32 v38, vcc_lo, 1.0, v35, 1.0
	s_load_b32 s6, s[0:1], 0x30
	v_rcp_f32_e32 v36, v2
	v_lshlrev_b32_e32 v0, 5, v0
	s_waitcnt lgkmcnt(0)
	s_and_b32 s5, s5, 0xffff
	s_mov_b32 s7, -1
	v_lshlrev_b32_e32 v1, 6, v1
	s_waitcnt_depctr 0xfff
	v_fma_f32 v37, -v2, v36, 1.0
	s_delay_alu instid0(VALU_DEP_1) | instskip(NEXT) | instid1(VALU_DEP_1)
	v_fmac_f32_e32 v36, v37, v36
	v_mul_f32_e32 v37, v38, v36
	s_delay_alu instid0(VALU_DEP_1) | instskip(NEXT) | instid1(VALU_DEP_1)
	v_fma_f32 v39, -v2, v37, v38
	v_fmac_f32_e32 v37, v39, v36
	s_delay_alu instid0(VALU_DEP_1) | instskip(NEXT) | instid1(VALU_DEP_1)
	v_fma_f32 v2, -v2, v37, v38
	v_div_fmas_f32 v2, v2, v36, v37
	v_mov_b32_e32 v36, 0x43e00000
	s_delay_alu instid0(VALU_DEP_2) | instskip(SKIP_2) | instid1(VALU_DEP_3)
	v_div_fixup_f32 v2, v2, v35, 1.0
	v_mov_b32_e32 v35, 0xc3e00000
	v_and_or_b32 v37, v0, 32, v1
	v_mul_f32_e32 v0, v2, v33
	v_mul_f32_e32 v1, v2, v34
	;; [unrolled: 1-line block ×5, first 2 shown]
	;;#ASMSTART
	v_med3_f32 v0, v0, v35, v36
v_med3_f32 v1, v1, v35, v36
v_cvt_pk_fp8_f32 v9, v0, v1
	;;#ASMEND
	;;#ASMSTART
	v_med3_f32 v31, v31, v35, v36
v_med3_f32 v32, v32, v35, v36
v_cvt_pk_fp8_f32 v0, v31, v32
	;;#ASMEND
	v_perm_b32 v9, v0, v9, 0x5040100
	v_mul_f32_e32 v27, v2, v27
	v_mul_f32_e32 v28, v2, v28
	;; [unrolled: 1-line block ×12, first 2 shown]
	;;#ASMSTART
	v_med3_f32 v27, v27, v35, v36
v_med3_f32 v28, v28, v35, v36
v_cvt_pk_fp8_f32 v1, v27, v28
	;;#ASMEND
	;;#ASMSTART
	v_med3_f32 v29, v29, v35, v36
v_med3_f32 v30, v30, v35, v36
v_cvt_pk_fp8_f32 v10, v29, v30
	;;#ASMEND
	;; [unrolled: 5-line block ×3, first 2 shown]
	v_mul_f32_e32 v21, v2, v21
	v_mul_f32_e32 v22, v2, v22
	;; [unrolled: 1-line block ×3, first 2 shown]
	;;#ASMSTART
	v_med3_f32 v25, v25, v35, v36
v_med3_f32 v26, v26, v35, v36
v_cvt_pk_fp8_f32 v12, v25, v26
	;;#ASMEND
	;;#ASMSTART
	v_med3_f32 v19, v19, v35, v36
v_med3_f32 v20, v20, v35, v36
v_cvt_pk_fp8_f32 v23, v19, v20
	;;#ASMEND
	;; [unrolled: 5-line block ×3, first 2 shown]
	v_perm_b32 v10, v1, v10, 0x1000504
	v_perm_b32 v11, v11, v12, 0x1000504
	;; [unrolled: 1-line block ×4, first 2 shown]
	v_mul_f32_e32 v13, v2, v13
	v_mul_f32_e32 v14, v2, v14
	;; [unrolled: 1-line block ×8, first 2 shown]
	buffer_store_b128 v[9:12], v37, s[4:7], 0 offen
	;;#ASMSTART
	s_nop 0
	;;#ASMEND
	;;#ASMSTART
	v_med3_f32 v13, v13, v35, v36
v_med3_f32 v14, v14, v35, v36
v_cvt_pk_fp8_f32 v1, v13, v14
	;;#ASMEND
	;;#ASMSTART
	v_med3_f32 v15, v15, v35, v36
v_med3_f32 v16, v16, v35, v36
v_cvt_pk_fp8_f32 v8, v15, v16
	;;#ASMEND
	v_perm_b32 v11, v8, v1, 0x5040100
	v_mul_f32_e32 v17, v2, v17
	v_mul_f32_e32 v18, v2, v18
	;;#ASMSTART
	v_med3_f32 v33, v33, v35, v36
v_med3_f32 v34, v34, v35, v36
v_cvt_pk_fp8_f32 v9, v33, v34
	;;#ASMEND
	;;#ASMSTART
	v_med3_f32 v38, v38, v35, v36
v_med3_f32 v39, v39, v35, v36
v_cvt_pk_fp8_f32 v10, v38, v39
	;;#ASMEND
	v_perm_b32 v1, v9, v10, 0x1000504
	v_mul_f32_e32 v3, v2, v3
	v_mul_f32_e32 v4, v2, v4
	;;#ASMSTART
	v_med3_f32 v17, v17, v35, v36
v_med3_f32 v18, v18, v35, v36
v_cvt_pk_fp8_f32 v2, v17, v18
	;;#ASMEND
	;;#ASMSTART
	v_med3_f32 v0, v0, v35, v36
v_med3_f32 v5, v5, v35, v36
v_cvt_pk_fp8_f32 v9, v0, v5
	;;#ASMEND
	;; [unrolled: 5-line block ×4, first 2 shown]
	v_perm_b32 v2, v2, v9, 0x1000504
	v_perm_b32 v3, v0, v5, 0x1000504
	;; [unrolled: 1-line block ×3, first 2 shown]
	buffer_store_b128 v[0:3], v37, s[4:7], 16 offen
	;;#ASMSTART
	s_nop 0
	;;#ASMEND
	s_nop 0
	s_sendmsg sendmsg(MSG_DEALLOC_VGPRS)
	s_endpgm
	.section	.rodata,"a",@progbits
	.p2align	6, 0x0
	.amdhsa_kernel _ZN5aiter37dynamic_per_group_scaled_quant_kernelItDB8_Li32ELi64ELb0ELi64ELb0EEEvPT0_PfPKT_PKfliilPKii
		.amdhsa_group_segment_fixed_size 0
		.amdhsa_private_segment_fixed_size 0
		.amdhsa_kernarg_size 68
		.amdhsa_user_sgpr_count 15
		.amdhsa_user_sgpr_dispatch_ptr 0
		.amdhsa_user_sgpr_queue_ptr 0
		.amdhsa_user_sgpr_kernarg_segment_ptr 1
		.amdhsa_user_sgpr_dispatch_id 0
		.amdhsa_user_sgpr_private_segment_size 0
		.amdhsa_wavefront_size32 1
		.amdhsa_uses_dynamic_stack 0
		.amdhsa_enable_private_segment 0
		.amdhsa_system_sgpr_workgroup_id_x 1
		.amdhsa_system_sgpr_workgroup_id_y 0
		.amdhsa_system_sgpr_workgroup_id_z 0
		.amdhsa_system_sgpr_workgroup_info 0
		.amdhsa_system_vgpr_workitem_id 0
		.amdhsa_next_free_vgpr 40
		.amdhsa_next_free_sgpr 16
		.amdhsa_reserve_vcc 1
		.amdhsa_float_round_mode_32 0
		.amdhsa_float_round_mode_16_64 0
		.amdhsa_float_denorm_mode_32 3
		.amdhsa_float_denorm_mode_16_64 3
		.amdhsa_dx10_clamp 1
		.amdhsa_ieee_mode 1
		.amdhsa_fp16_overflow 0
		.amdhsa_workgroup_processor_mode 1
		.amdhsa_memory_ordered 1
		.amdhsa_forward_progress 0
		.amdhsa_shared_vgpr_count 0
		.amdhsa_exception_fp_ieee_invalid_op 0
		.amdhsa_exception_fp_denorm_src 0
		.amdhsa_exception_fp_ieee_div_zero 0
		.amdhsa_exception_fp_ieee_overflow 0
		.amdhsa_exception_fp_ieee_underflow 0
		.amdhsa_exception_fp_ieee_inexact 0
		.amdhsa_exception_int_div_zero 0
	.end_amdhsa_kernel
	.section	.text._ZN5aiter37dynamic_per_group_scaled_quant_kernelItDB8_Li32ELi64ELb0ELi64ELb0EEEvPT0_PfPKT_PKfliilPKii,"axG",@progbits,_ZN5aiter37dynamic_per_group_scaled_quant_kernelItDB8_Li32ELi64ELb0ELi64ELb0EEEvPT0_PfPKT_PKfliilPKii,comdat
.Lfunc_end23:
	.size	_ZN5aiter37dynamic_per_group_scaled_quant_kernelItDB8_Li32ELi64ELb0ELi64ELb0EEEvPT0_PfPKT_PKfliilPKii, .Lfunc_end23-_ZN5aiter37dynamic_per_group_scaled_quant_kernelItDB8_Li32ELi64ELb0ELi64ELb0EEEvPT0_PfPKT_PKfliilPKii
                                        ; -- End function
	.section	.AMDGPU.csdata,"",@progbits
; Kernel info:
; codeLenInByte = 3348
; NumSgprs: 18
; NumVgprs: 40
; ScratchSize: 0
; MemoryBound: 0
; FloatMode: 240
; IeeeMode: 1
; LDSByteSize: 0 bytes/workgroup (compile time only)
; SGPRBlocks: 2
; VGPRBlocks: 4
; NumSGPRsForWavesPerEU: 18
; NumVGPRsForWavesPerEU: 40
; Occupancy: 16
; WaveLimiterHint : 0
; COMPUTE_PGM_RSRC2:SCRATCH_EN: 0
; COMPUTE_PGM_RSRC2:USER_SGPR: 15
; COMPUTE_PGM_RSRC2:TRAP_HANDLER: 0
; COMPUTE_PGM_RSRC2:TGID_X_EN: 1
; COMPUTE_PGM_RSRC2:TGID_Y_EN: 0
; COMPUTE_PGM_RSRC2:TGID_Z_EN: 0
; COMPUTE_PGM_RSRC2:TIDIG_COMP_CNT: 0
	.section	.text._ZN5aiter37dynamic_per_group_scaled_quant_kernelIDF16_aLi32ELi64ELb0ELi64ELb0EEEvPT0_PfPKT_PKfliilPKii,"axG",@progbits,_ZN5aiter37dynamic_per_group_scaled_quant_kernelIDF16_aLi32ELi64ELb0ELi64ELb0EEEvPT0_PfPKT_PKfliilPKii,comdat
	.protected	_ZN5aiter37dynamic_per_group_scaled_quant_kernelIDF16_aLi32ELi64ELb0ELi64ELb0EEEvPT0_PfPKT_PKfliilPKii ; -- Begin function _ZN5aiter37dynamic_per_group_scaled_quant_kernelIDF16_aLi32ELi64ELb0ELi64ELb0EEEvPT0_PfPKT_PKfliilPKii
	.globl	_ZN5aiter37dynamic_per_group_scaled_quant_kernelIDF16_aLi32ELi64ELb0ELi64ELb0EEEvPT0_PfPKT_PKfliilPKii
	.p2align	8
	.type	_ZN5aiter37dynamic_per_group_scaled_quant_kernelIDF16_aLi32ELi64ELb0ELi64ELb0EEEvPT0_PfPKT_PKfliilPKii,@function
_ZN5aiter37dynamic_per_group_scaled_quant_kernelIDF16_aLi32ELi64ELb0ELi64ELb0EEEvPT0_PfPKT_PKfliilPKii: ; @_ZN5aiter37dynamic_per_group_scaled_quant_kernelIDF16_aLi32ELi64ELb0ELi64ELb0EEEvPT0_PfPKT_PKfliilPKii
; %bb.0:
	s_load_b64 s[2:3], s[0:1], 0x38
	s_mov_b32 s6, s15
	s_waitcnt lgkmcnt(0)
	s_cmp_eq_u64 s[2:3], 0
	s_cbranch_scc1 .LBB24_2
; %bb.1:
	s_load_b32 s4, s[0:1], 0x40
	s_load_b32 s2, s[2:3], 0x0
	s_waitcnt lgkmcnt(0)
	s_mul_hi_i32 s5, s2, s4
	s_mul_i32 s4, s2, s4
	s_branch .LBB24_3
.LBB24_2:
	s_load_b64 s[4:5], s[0:1], 0x20
.LBB24_3:
	s_load_b64 s[2:3], s[0:1], 0x28
	s_mov_b32 s7, 0
	v_mov_b32_e32 v1, 0
	s_lshl_b64 s[6:7], s[6:7], 6
	s_delay_alu instid0(SALU_CYCLE_1) | instskip(SKIP_1) | instid1(VALU_DEP_1)
	v_or_b32_e32 v3, s6, v0
	v_mov_b32_e32 v4, s7
	v_lshrrev_b64 v[17:18], 1, v[3:4]
	s_waitcnt lgkmcnt(0)
	s_ashr_i32 s6, s2, 31
	s_delay_alu instid0(SALU_CYCLE_1) | instskip(NEXT) | instid1(SALU_CYCLE_1)
	s_lshr_b32 s6, s6, 26
	s_add_i32 s2, s2, s6
	s_delay_alu instid0(SALU_CYCLE_1) | instskip(NEXT) | instid1(SALU_CYCLE_1)
	s_ashr_i32 s10, s2, 6
	s_ashr_i32 s2, s10, 31
	s_delay_alu instid0(SALU_CYCLE_1) | instskip(NEXT) | instid1(VALU_DEP_1)
	v_or_b32_e32 v2, s2, v18
	v_cmp_ne_u64_e32 vcc_lo, 0, v[1:2]
                                        ; implicit-def: $vgpr1_vgpr2
	s_and_saveexec_b32 s6, vcc_lo
	s_delay_alu instid0(SALU_CYCLE_1)
	s_xor_b32 s11, exec_lo, s6
	s_cbranch_execnz .LBB24_7
; %bb.4:
	s_and_not1_saveexec_b32 s2, s11
	s_cbranch_execnz .LBB24_8
.LBB24_5:
	s_or_b32 exec_lo, exec_lo, s2
	s_delay_alu instid0(SALU_CYCLE_1)
	s_mov_b32 s2, exec_lo
	v_cmpx_gt_i64_e64 s[4:5], v[1:2]
	s_cbranch_execnz .LBB24_9
.LBB24_6:
	s_endpgm
.LBB24_7:
	s_add_u32 s8, s10, s2
	s_mov_b32 s6, s2
	s_mov_b32 s7, s2
	s_addc_u32 s9, s2, s2
	s_delay_alu instid0(SALU_CYCLE_1) | instskip(NEXT) | instid1(SALU_CYCLE_1)
	s_xor_b64 s[8:9], s[8:9], s[6:7]
	v_cvt_f32_u32_e32 v1, s8
	v_cvt_f32_u32_e32 v2, s9
	s_sub_u32 s2, 0, s8
	s_subb_u32 s12, 0, s9
	s_delay_alu instid0(VALU_DEP_1) | instskip(NEXT) | instid1(VALU_DEP_1)
	v_fmamk_f32 v1, v2, 0x4f800000, v1
	v_rcp_f32_e32 v1, v1
	s_waitcnt_depctr 0xfff
	v_mul_f32_e32 v1, 0x5f7ffffc, v1
	s_delay_alu instid0(VALU_DEP_1) | instskip(NEXT) | instid1(VALU_DEP_1)
	v_mul_f32_e32 v2, 0x2f800000, v1
	v_trunc_f32_e32 v2, v2
	s_delay_alu instid0(VALU_DEP_1) | instskip(SKIP_1) | instid1(VALU_DEP_2)
	v_fmamk_f32 v1, v2, 0xcf800000, v1
	v_cvt_u32_f32_e32 v2, v2
	v_cvt_u32_f32_e32 v1, v1
	s_delay_alu instid0(VALU_DEP_2) | instskip(NEXT) | instid1(VALU_DEP_2)
	v_mul_lo_u32 v3, s2, v2
	v_mul_hi_u32 v4, s2, v1
	v_mul_lo_u32 v5, s12, v1
	s_delay_alu instid0(VALU_DEP_2) | instskip(SKIP_1) | instid1(VALU_DEP_2)
	v_add_nc_u32_e32 v3, v4, v3
	v_mul_lo_u32 v4, s2, v1
	v_add_nc_u32_e32 v3, v3, v5
	s_delay_alu instid0(VALU_DEP_2) | instskip(NEXT) | instid1(VALU_DEP_2)
	v_mul_hi_u32 v5, v1, v4
	v_mul_lo_u32 v6, v1, v3
	v_mul_hi_u32 v7, v1, v3
	v_mul_hi_u32 v8, v2, v4
	v_mul_lo_u32 v4, v2, v4
	v_mul_hi_u32 v9, v2, v3
	v_mul_lo_u32 v3, v2, v3
	v_add_co_u32 v5, vcc_lo, v5, v6
	v_add_co_ci_u32_e32 v6, vcc_lo, 0, v7, vcc_lo
	s_delay_alu instid0(VALU_DEP_2) | instskip(NEXT) | instid1(VALU_DEP_2)
	v_add_co_u32 v4, vcc_lo, v5, v4
	v_add_co_ci_u32_e32 v4, vcc_lo, v6, v8, vcc_lo
	v_add_co_ci_u32_e32 v5, vcc_lo, 0, v9, vcc_lo
	s_delay_alu instid0(VALU_DEP_2) | instskip(NEXT) | instid1(VALU_DEP_2)
	v_add_co_u32 v3, vcc_lo, v4, v3
	v_add_co_ci_u32_e32 v4, vcc_lo, 0, v5, vcc_lo
	s_delay_alu instid0(VALU_DEP_2) | instskip(NEXT) | instid1(VALU_DEP_2)
	v_add_co_u32 v1, vcc_lo, v1, v3
	v_add_co_ci_u32_e32 v2, vcc_lo, v2, v4, vcc_lo
	s_delay_alu instid0(VALU_DEP_2) | instskip(SKIP_1) | instid1(VALU_DEP_3)
	v_mul_hi_u32 v3, s2, v1
	v_mul_lo_u32 v5, s12, v1
	v_mul_lo_u32 v4, s2, v2
	s_delay_alu instid0(VALU_DEP_1) | instskip(SKIP_1) | instid1(VALU_DEP_2)
	v_add_nc_u32_e32 v3, v3, v4
	v_mul_lo_u32 v4, s2, v1
	v_add_nc_u32_e32 v3, v3, v5
	s_delay_alu instid0(VALU_DEP_2) | instskip(NEXT) | instid1(VALU_DEP_2)
	v_mul_hi_u32 v5, v1, v4
	v_mul_lo_u32 v6, v1, v3
	v_mul_hi_u32 v7, v1, v3
	v_mul_hi_u32 v8, v2, v4
	v_mul_lo_u32 v4, v2, v4
	v_mul_hi_u32 v9, v2, v3
	v_mul_lo_u32 v3, v2, v3
	v_add_co_u32 v5, vcc_lo, v5, v6
	v_add_co_ci_u32_e32 v6, vcc_lo, 0, v7, vcc_lo
	s_delay_alu instid0(VALU_DEP_2) | instskip(NEXT) | instid1(VALU_DEP_2)
	v_add_co_u32 v4, vcc_lo, v5, v4
	v_add_co_ci_u32_e32 v4, vcc_lo, v6, v8, vcc_lo
	v_add_co_ci_u32_e32 v5, vcc_lo, 0, v9, vcc_lo
	s_delay_alu instid0(VALU_DEP_2) | instskip(NEXT) | instid1(VALU_DEP_2)
	v_add_co_u32 v3, vcc_lo, v4, v3
	v_add_co_ci_u32_e32 v4, vcc_lo, 0, v5, vcc_lo
	s_delay_alu instid0(VALU_DEP_2) | instskip(NEXT) | instid1(VALU_DEP_2)
	v_add_co_u32 v5, vcc_lo, v1, v3
	v_add_co_ci_u32_e32 v7, vcc_lo, v2, v4, vcc_lo
	s_delay_alu instid0(VALU_DEP_2) | instskip(SKIP_1) | instid1(VALU_DEP_3)
	v_mul_hi_u32 v8, v17, v5
	v_mad_u64_u32 v[3:4], null, v18, v5, 0
	v_mad_u64_u32 v[1:2], null, v17, v7, 0
	;; [unrolled: 1-line block ×3, first 2 shown]
	s_delay_alu instid0(VALU_DEP_2) | instskip(NEXT) | instid1(VALU_DEP_3)
	v_add_co_u32 v1, vcc_lo, v8, v1
	v_add_co_ci_u32_e32 v2, vcc_lo, 0, v2, vcc_lo
	s_delay_alu instid0(VALU_DEP_2) | instskip(NEXT) | instid1(VALU_DEP_2)
	v_add_co_u32 v1, vcc_lo, v1, v3
	v_add_co_ci_u32_e32 v1, vcc_lo, v2, v4, vcc_lo
	v_add_co_ci_u32_e32 v2, vcc_lo, 0, v6, vcc_lo
	s_delay_alu instid0(VALU_DEP_2) | instskip(NEXT) | instid1(VALU_DEP_2)
	v_add_co_u32 v3, vcc_lo, v1, v5
	v_add_co_ci_u32_e32 v4, vcc_lo, 0, v2, vcc_lo
	s_delay_alu instid0(VALU_DEP_2) | instskip(SKIP_1) | instid1(VALU_DEP_3)
	v_mul_lo_u32 v5, s9, v3
	v_mad_u64_u32 v[1:2], null, s8, v3, 0
	v_mul_lo_u32 v6, s8, v4
	s_delay_alu instid0(VALU_DEP_2) | instskip(NEXT) | instid1(VALU_DEP_2)
	v_sub_co_u32 v1, vcc_lo, v17, v1
	v_add3_u32 v2, v2, v6, v5
	s_delay_alu instid0(VALU_DEP_1) | instskip(NEXT) | instid1(VALU_DEP_1)
	v_sub_nc_u32_e32 v5, v18, v2
	v_subrev_co_ci_u32_e64 v5, s2, s9, v5, vcc_lo
	v_add_co_u32 v6, s2, v3, 2
	s_delay_alu instid0(VALU_DEP_1) | instskip(SKIP_3) | instid1(VALU_DEP_3)
	v_add_co_ci_u32_e64 v7, s2, 0, v4, s2
	v_sub_co_u32 v8, s2, v1, s8
	v_sub_co_ci_u32_e32 v2, vcc_lo, v18, v2, vcc_lo
	v_subrev_co_ci_u32_e64 v5, s2, 0, v5, s2
	v_cmp_le_u32_e32 vcc_lo, s8, v8
	s_delay_alu instid0(VALU_DEP_3) | instskip(SKIP_1) | instid1(VALU_DEP_4)
	v_cmp_eq_u32_e64 s2, s9, v2
	v_cndmask_b32_e64 v8, 0, -1, vcc_lo
	v_cmp_le_u32_e32 vcc_lo, s9, v5
	v_cndmask_b32_e64 v9, 0, -1, vcc_lo
	v_cmp_le_u32_e32 vcc_lo, s8, v1
	;; [unrolled: 2-line block ×3, first 2 shown]
	v_cndmask_b32_e64 v10, 0, -1, vcc_lo
	v_cmp_eq_u32_e32 vcc_lo, s9, v5
	s_delay_alu instid0(VALU_DEP_2) | instskip(SKIP_3) | instid1(VALU_DEP_3)
	v_cndmask_b32_e64 v1, v10, v1, s2
	v_cndmask_b32_e32 v5, v9, v8, vcc_lo
	v_add_co_u32 v8, vcc_lo, v3, 1
	v_add_co_ci_u32_e32 v9, vcc_lo, 0, v4, vcc_lo
	v_cmp_ne_u32_e32 vcc_lo, 0, v5
	s_delay_alu instid0(VALU_DEP_2) | instskip(SKIP_1) | instid1(VALU_DEP_2)
	v_dual_cndmask_b32 v2, v9, v7 :: v_dual_cndmask_b32 v5, v8, v6
	v_cmp_ne_u32_e32 vcc_lo, 0, v1
	v_dual_cndmask_b32 v1, v4, v2 :: v_dual_cndmask_b32 v2, v3, v5
	s_delay_alu instid0(VALU_DEP_1) | instskip(NEXT) | instid1(VALU_DEP_2)
	v_xor_b32_e32 v3, s7, v1
	v_xor_b32_e32 v2, s6, v2
	s_delay_alu instid0(VALU_DEP_1) | instskip(NEXT) | instid1(VALU_DEP_3)
	v_sub_co_u32 v1, vcc_lo, v2, s6
	v_subrev_co_ci_u32_e32 v2, vcc_lo, s7, v3, vcc_lo
                                        ; implicit-def: $vgpr3_vgpr4
	s_and_not1_saveexec_b32 s2, s11
	s_cbranch_execz .LBB24_5
.LBB24_8:
	v_cvt_f32_u32_e32 v1, s10
	s_sub_i32 s6, 0, s10
	v_alignbit_b32 v3, v4, v3, 1
	s_delay_alu instid0(VALU_DEP_2) | instskip(SKIP_2) | instid1(VALU_DEP_1)
	v_rcp_iflag_f32_e32 v1, v1
	s_waitcnt_depctr 0xfff
	v_mul_f32_e32 v1, 0x4f7ffffe, v1
	v_cvt_u32_f32_e32 v1, v1
	s_delay_alu instid0(VALU_DEP_1) | instskip(NEXT) | instid1(VALU_DEP_1)
	v_mul_lo_u32 v2, s6, v1
	v_mul_hi_u32 v2, v1, v2
	s_delay_alu instid0(VALU_DEP_1) | instskip(NEXT) | instid1(VALU_DEP_1)
	v_add_nc_u32_e32 v1, v1, v2
	v_mul_hi_u32 v1, v3, v1
	s_delay_alu instid0(VALU_DEP_1) | instskip(NEXT) | instid1(VALU_DEP_1)
	v_mul_lo_u32 v2, v1, s10
	v_sub_nc_u32_e32 v2, v3, v2
	v_add_nc_u32_e32 v3, 1, v1
	s_delay_alu instid0(VALU_DEP_2) | instskip(SKIP_1) | instid1(VALU_DEP_2)
	v_subrev_nc_u32_e32 v4, s10, v2
	v_cmp_le_u32_e32 vcc_lo, s10, v2
	v_dual_cndmask_b32 v2, v2, v4 :: v_dual_cndmask_b32 v1, v1, v3
	s_delay_alu instid0(VALU_DEP_1) | instskip(NEXT) | instid1(VALU_DEP_2)
	v_cmp_le_u32_e32 vcc_lo, s10, v2
	v_dual_mov_b32 v2, 0 :: v_dual_add_nc_u32 v3, 1, v1
	s_delay_alu instid0(VALU_DEP_1) | instskip(SKIP_1) | instid1(SALU_CYCLE_1)
	v_cndmask_b32_e32 v1, v1, v3, vcc_lo
	s_or_b32 exec_lo, exec_lo, s2
	s_mov_b32 s2, exec_lo
	s_delay_alu instid0(VALU_DEP_1)
	v_cmpx_gt_i64_e64 s[4:5], v[1:2]
	s_cbranch_execz .LBB24_6
.LBB24_9:
	s_ashr_i32 s2, s3, 31
	s_load_b64 s[4:5], s[0:1], 0x10
	v_mul_lo_u32 v4, v1, s10
	v_mul_lo_u32 v5, v2, s3
	v_mad_u64_u32 v[2:3], null, v1, s3, 0
	v_mul_lo_u32 v1, v1, s2
	v_and_b32_e32 v36, 1, v0
	s_mov_b32 s2, exec_lo
	v_sub_nc_u32_e32 v4, v17, v4
	s_delay_alu instid0(VALU_DEP_3) | instskip(NEXT) | instid1(VALU_DEP_2)
	v_add3_u32 v3, v3, v1, v5
	v_dual_mov_b32 v5, 0 :: v_dual_lshlrev_b32 v4, 6, v4
	s_delay_alu instid0(VALU_DEP_2) | instskip(NEXT) | instid1(VALU_DEP_2)
	v_lshlrev_b64 v[1:2], 1, v[2:3]
	v_lshlrev_b64 v[3:4], 1, v[4:5]
	v_lshlrev_b32_e32 v5, 6, v36
	s_waitcnt lgkmcnt(0)
	s_delay_alu instid0(VALU_DEP_3) | instskip(NEXT) | instid1(VALU_DEP_4)
	v_add_co_u32 v1, vcc_lo, s4, v1
	v_add_co_ci_u32_e32 v2, vcc_lo, s5, v2, vcc_lo
	s_load_b64 s[4:5], s[0:1], 0x0
	s_delay_alu instid0(VALU_DEP_2) | instskip(NEXT) | instid1(VALU_DEP_2)
	v_add_co_u32 v1, vcc_lo, v1, v3
	v_add_co_ci_u32_e32 v2, vcc_lo, v2, v4, vcc_lo
	s_delay_alu instid0(VALU_DEP_2) | instskip(NEXT) | instid1(VALU_DEP_2)
	v_add_co_u32 v5, vcc_lo, v1, v5
	v_add_co_ci_u32_e32 v6, vcc_lo, 0, v2, vcc_lo
	s_clause 0x3
	global_load_b128 v[9:12], v[5:6], off
	global_load_b128 v[13:16], v[5:6], off offset:16
	global_load_b128 v[1:4], v[5:6], off offset:32
	;; [unrolled: 1-line block ×3, first 2 shown]
	s_waitcnt vmcnt(3)
	v_lshrrev_b32_e32 v28, 16, v9
	v_cvt_f32_f16_e64 v19, |v9|
	v_lshrrev_b32_e32 v27, 16, v10
	v_cvt_f32_f16_e64 v21, |v10|
	;; [unrolled: 2-line block ×4, first 2 shown]
	s_waitcnt vmcnt(2)
	v_lshrrev_b32_e32 v31, 16, v13
	v_cvt_f32_f16_e64 v23, |v29|
	v_max3_f32 v19, v19, 0x2edbe6ff, v20
	v_cvt_f32_f16_e64 v20, |v11|
	v_lshrrev_b32_e32 v32, 16, v14
	v_lshrrev_b32_e32 v33, 16, v15
	;; [unrolled: 1-line block ×3, first 2 shown]
	v_max3_f32 v19, v19, v21, v22
	v_cvt_f32_f16_e64 v21, |v12|
	v_cvt_f32_f16_e64 v22, |v30|
	s_delay_alu instid0(VALU_DEP_4) | instskip(NEXT) | instid1(VALU_DEP_4)
	v_cvt_f32_f16_e64 v24, |v34|
	v_max3_f32 v19, v19, v20, v23
	v_cvt_f32_f16_e64 v20, |v13|
	v_cvt_f32_f16_e64 v23, |v31|
	s_delay_alu instid0(VALU_DEP_3) | instskip(SKIP_2) | instid1(VALU_DEP_3)
	v_max3_f32 v19, v19, v21, v22
	v_cvt_f32_f16_e64 v21, |v14|
	v_cvt_f32_f16_e64 v22, |v32|
	v_max3_f32 v19, v19, v20, v23
	v_cvt_f32_f16_e64 v20, |v15|
	v_cvt_f32_f16_e64 v23, |v33|
	s_delay_alu instid0(VALU_DEP_3) | instskip(SKIP_3) | instid1(VALU_DEP_3)
	v_max3_f32 v21, v19, v21, v22
	v_cvt_f32_f16_e64 v22, |v16|
	s_waitcnt vmcnt(1)
	v_lshrrev_b32_e32 v19, 16, v1
	v_max3_f32 v21, v21, v20, v23
	v_cvt_f32_f16_e64 v23, |v1|
	v_lshrrev_b32_e32 v20, 16, v2
	s_delay_alu instid0(VALU_DEP_4) | instskip(NEXT) | instid1(VALU_DEP_4)
	v_cvt_f32_f16_e64 v25, |v19|
	v_max3_f32 v22, v21, v22, v24
	v_cvt_f32_f16_e64 v24, |v2|
	v_lshrrev_b32_e32 v21, 16, v3
	v_cvt_f32_f16_e64 v26, |v20|
	s_delay_alu instid0(VALU_DEP_4) | instskip(SKIP_3) | instid1(VALU_DEP_4)
	v_max3_f32 v23, v22, v23, v25
	v_cvt_f32_f16_e64 v25, |v3|
	v_lshrrev_b32_e32 v22, 16, v4
	v_cvt_f32_f16_e64 v35, |v21|
	v_max3_f32 v24, v23, v24, v26
	v_cvt_f32_f16_e64 v26, |v4|
	s_waitcnt vmcnt(0)
	v_lshrrev_b32_e32 v23, 16, v5
	v_cvt_f32_f16_e64 v37, |v22|
	v_max3_f32 v25, v24, v25, v35
	v_cvt_f32_f16_e64 v35, |v5|
	v_lshrrev_b32_e32 v24, 16, v6
	v_cvt_f32_f16_e64 v38, |v23|
	s_delay_alu instid0(VALU_DEP_4) | instskip(SKIP_3) | instid1(VALU_DEP_4)
	v_max3_f32 v25, v25, v26, v37
	v_cvt_f32_f16_e64 v37, |v6|
	v_lshrrev_b32_e32 v26, 16, v7
	v_cvt_f32_f16_e64 v39, |v24|
	v_max3_f32 v35, v25, v35, v38
	v_cvt_f32_f16_e64 v38, |v7|
	v_lshrrev_b32_e32 v25, 16, v8
	v_cvt_f32_f16_e64 v40, |v26|
	s_delay_alu instid0(VALU_DEP_4) | instskip(SKIP_1) | instid1(VALU_DEP_4)
	v_max3_f32 v35, v35, v37, v39
	v_cvt_f32_f16_e64 v37, |v8|
	v_cvt_f32_f16_e64 v39, |v25|
	s_delay_alu instid0(VALU_DEP_3) | instskip(NEXT) | instid1(VALU_DEP_1)
	v_max3_f32 v35, v35, v38, v40
	v_max3_f32 v35, v35, v37, v39
	s_delay_alu instid0(VALU_DEP_1) | instskip(NEXT) | instid1(VALU_DEP_1)
	v_mov_b32_dpp v37, v35 quad_perm:[1,0,3,2] row_mask:0xf bank_mask:0xf
	v_cmp_gt_f32_e32 vcc_lo, v35, v37
	v_cndmask_b32_e32 v35, v37, v35, vcc_lo
	s_delay_alu instid0(VALU_DEP_1)
	v_mul_f32_e32 v35, 0x3c010204, v35
	v_cmpx_eq_u32_e32 0, v36
	s_cbranch_execz .LBB24_11
; %bb.10:
	s_load_b64 s[6:7], s[0:1], 0x8
	v_lshlrev_b64 v[36:37], 2, v[17:18]
	s_waitcnt lgkmcnt(0)
	s_delay_alu instid0(VALU_DEP_1) | instskip(NEXT) | instid1(VALU_DEP_2)
	v_add_co_u32 v36, vcc_lo, s6, v36
	v_add_co_ci_u32_e32 v37, vcc_lo, s7, v37, vcc_lo
	global_store_b32 v[36:37], v35, off
.LBB24_11:
	s_or_b32 exec_lo, exec_lo, s2
	s_delay_alu instid0(VALU_DEP_2) | instskip(SKIP_2) | instid1(VALU_DEP_3)
	v_div_scale_f32 v18, null, v35, v35, 1.0
	v_div_scale_f32 v38, vcc_lo, 1.0, v35, 1.0
	v_cvt_f32_f16_e32 v9, v9
	v_rcp_f32_e32 v36, v18
	v_cvt_f32_f16_e32 v27, v27
	v_cvt_f32_f16_e32 v13, v13
	;; [unrolled: 1-line block ×9, first 2 shown]
	v_fma_f32 v37, -v18, v36, 1.0
	v_cvt_f32_f16_e32 v31, v31
	v_cvt_f32_f16_e32 v32, v32
	;; [unrolled: 1-line block ×4, first 2 shown]
	v_dual_fmac_f32 v36, v37, v36 :: v_dual_lshlrev_b32 v17, 6, v17
	v_cvt_f32_f16_e32 v16, v16
	v_cvt_f32_f16_e32 v11, v11
	;; [unrolled: 1-line block ×3, first 2 shown]
	s_delay_alu instid0(VALU_DEP_4)
	v_mul_f32_e32 v37, v38, v36
	v_cvt_f32_f16_e32 v34, v34
	v_cvt_f32_f16_e32 v1, v1
	;; [unrolled: 1-line block ×4, first 2 shown]
	v_fma_f32 v39, -v18, v37, v38
	v_cvt_f32_f16_e32 v3, v3
	v_cvt_f32_f16_e32 v6, v6
	;; [unrolled: 1-line block ×3, first 2 shown]
	s_load_b32 s6, s[0:1], 0x30
	v_fmac_f32_e32 v37, v39, v36
	s_waitcnt lgkmcnt(0)
	s_and_b32 s5, s5, 0xffff
	s_mov_b32 s7, -1
	s_delay_alu instid0(VALU_DEP_1) | instskip(NEXT) | instid1(VALU_DEP_1)
	v_fma_f32 v18, -v18, v37, v38
	v_div_fmas_f32 v18, v18, v36, v37
	s_delay_alu instid0(VALU_DEP_1) | instskip(NEXT) | instid1(VALU_DEP_1)
	v_div_fixup_f32 v18, v18, v35, 1.0
	v_dual_mul_f32 v27, v18, v27 :: v_dual_lshlrev_b32 v0, 5, v0
	s_delay_alu instid0(VALU_DEP_1)
	v_and_or_b32 v17, v0, 32, v17
	v_mul_f32_e32 v0, v18, v9
	v_mul_f32_e32 v13, v18, v13
	;; [unrolled: 1-line block ×4, first 2 shown]
	v_cvt_i32_f32_e32 v27, v27
	v_cvt_i32_f32_e32 v0, v0
	v_mul_f32_e32 v15, v18, v15
	v_cvt_i32_f32_e32 v13, v13
	v_mul_f32_e32 v12, v18, v12
	v_cvt_i32_f32_e32 v7, v7
	v_and_b32_e32 v0, 0xff, v0
	v_cvt_i32_f32_e32 v15, v15
	v_dual_mul_f32 v10, v18, v10 :: v_dual_and_b32 v13, 0xff, v13
	v_cvt_i32_f32_e32 v12, v12
	v_and_b32_e32 v7, 0xff, v7
	s_delay_alu instid0(VALU_DEP_4)
	v_and_b32_e32 v15, 0xff, v15
	v_cvt_i32_f32_e32 v5, v5
	v_cvt_i32_f32_e32 v10, v10
	v_mul_f32_e32 v9, v18, v28
	v_mul_f32_e32 v28, v18, v29
	v_dual_mul_f32 v29, v18, v30 :: v_dual_and_b32 v12, 0xff, v12
	v_mul_f32_e32 v30, v18, v31
	v_mul_f32_e32 v31, v18, v32
	;; [unrolled: 1-line block ×3, first 2 shown]
	v_dual_mul_f32 v16, v18, v16 :: v_dual_and_b32 v5, 0xff, v5
	v_cvt_i32_f32_e32 v29, v29
	v_cvt_i32_f32_e32 v30, v30
	s_delay_alu instid0(VALU_DEP_4) | instskip(NEXT) | instid1(VALU_DEP_4)
	v_cvt_i32_f32_e32 v32, v32
	v_cvt_i32_f32_e32 v16, v16
	v_mul_f32_e32 v11, v18, v11
	v_lshlrev_b16 v29, 8, v29
	v_lshlrev_b16 v27, 8, v27
	;; [unrolled: 1-line block ×3, first 2 shown]
	v_and_b32_e32 v16, 0xff, v16
	v_cvt_i32_f32_e32 v11, v11
	v_mul_f32_e32 v14, v18, v14
	v_or_b32_e32 v12, v12, v29
	v_or_b32_e32 v15, v15, v32
	v_and_b32_e32 v10, 0xff, v10
	v_and_b32_e32 v11, 0xff, v11
	v_cvt_i32_f32_e32 v9, v9
	v_lshlrev_b16 v30, 8, v30
	v_and_b32_e32 v15, 0xffff, v15
	v_cvt_i32_f32_e32 v28, v28
	v_cvt_i32_f32_e32 v31, v31
	;; [unrolled: 1-line block ×3, first 2 shown]
	v_lshlrev_b16 v9, 8, v9
	v_dual_mul_f32 v1, v18, v1 :: v_dual_lshlrev_b32 v12, 16, v12
	v_lshlrev_b16 v28, 8, v28
	v_or_b32_e32 v27, v10, v27
	v_or_b32_e32 v13, v13, v30
	v_lshlrev_b16 v30, 8, v31
	v_and_b32_e32 v14, 0xff, v14
	v_or_b32_e32 v11, v11, v28
	v_mul_f32_e32 v33, v18, v34
	v_or_b32_e32 v0, v0, v9
	v_and_b32_e32 v13, 0xffff, v13
	v_or_b32_e32 v14, v14, v30
	v_and_b32_e32 v28, 0xffff, v11
	v_cvt_i32_f32_e32 v33, v33
	v_cvt_i32_f32_e32 v1, v1
	v_mul_f32_e32 v8, v18, v8
	v_lshlrev_b32_e32 v14, 16, v14
	v_or_b32_e32 v9, v28, v12
	v_lshlrev_b16 v33, 8, v33
	v_mul_f32_e32 v6, v18, v6
	v_cvt_i32_f32_e32 v8, v8
	v_or_b32_e32 v10, v13, v14
	v_cvt_f32_f16_e32 v13, v19
	v_or_b32_e32 v16, v16, v33
	v_cvt_f32_f16_e32 v19, v23
	v_and_b32_e32 v1, 0xff, v1
	v_cvt_f32_f16_e32 v14, v20
	v_dual_mul_f32 v3, v18, v3 :: v_dual_and_b32 v8, 0xff, v8
	v_lshlrev_b32_e32 v16, 16, v16
	v_cvt_i32_f32_e32 v6, v6
	v_cvt_f32_f16_e32 v20, v24
	s_delay_alu instid0(VALU_DEP_4)
	v_cvt_i32_f32_e32 v3, v3
	v_dual_mul_f32 v13, v18, v13 :: v_dual_and_b32 v0, 0xffff, v0
	v_or_b32_e32 v11, v15, v16
	v_cvt_f32_f16_e32 v15, v21
	v_cvt_f32_f16_e32 v21, v26
	v_lshlrev_b32_e32 v12, 16, v27
	v_cvt_f32_f16_e32 v16, v22
	v_cvt_f32_f16_e32 v22, v25
	v_dual_mul_f32 v15, v18, v15 :: v_dual_and_b32 v6, 0xff, v6
	v_mul_f32_e32 v21, v18, v21
	s_delay_alu instid0(VALU_DEP_4) | instskip(NEXT) | instid1(VALU_DEP_4)
	v_dual_mul_f32 v16, v18, v16 :: v_dual_and_b32 v3, 0xff, v3
	v_mul_f32_e32 v22, v18, v22
	s_delay_alu instid0(VALU_DEP_4) | instskip(NEXT) | instid1(VALU_DEP_4)
	v_cvt_i32_f32_e32 v15, v15
	v_cvt_i32_f32_e32 v21, v21
	;; [unrolled: 1-line block ×5, first 2 shown]
	v_lshlrev_b16 v15, 8, v15
	v_lshlrev_b16 v21, 8, v21
	;; [unrolled: 1-line block ×5, first 2 shown]
	v_or_b32_e32 v3, v3, v15
	v_or_b32_e32 v7, v7, v21
	v_mul_f32_e32 v2, v18, v2
	v_or_b32_e32 v1, v1, v13
	v_or_b32_e32 v8, v8, v22
	s_delay_alu instid0(VALU_DEP_4) | instskip(NEXT) | instid1(VALU_DEP_4)
	v_dual_mul_f32 v14, v18, v14 :: v_dual_and_b32 v7, 0xffff, v7
	v_cvt_i32_f32_e32 v2, v2
	v_mul_f32_e32 v19, v18, v19
	v_and_b32_e32 v13, 0xffff, v3
	s_delay_alu instid0(VALU_DEP_3) | instskip(NEXT) | instid1(VALU_DEP_3)
	v_and_b32_e32 v2, 0xff, v2
	v_cvt_i32_f32_e32 v19, v19
	s_delay_alu instid0(VALU_DEP_1) | instskip(NEXT) | instid1(VALU_DEP_1)
	v_lshlrev_b16 v19, 8, v19
	v_or_b32_e32 v5, v5, v19
	v_lshlrev_b32_e32 v19, 16, v8
	v_cvt_i32_f32_e32 v14, v14
	s_delay_alu instid0(VALU_DEP_3) | instskip(NEXT) | instid1(VALU_DEP_3)
	v_dual_mul_f32 v4, v18, v4 :: v_dual_and_b32 v5, 0xffff, v5
	v_or_b32_e32 v3, v7, v19
	s_delay_alu instid0(VALU_DEP_3) | instskip(NEXT) | instid1(VALU_DEP_3)
	v_lshlrev_b16 v14, 8, v14
	v_cvt_i32_f32_e32 v4, v4
	s_delay_alu instid0(VALU_DEP_2) | instskip(SKIP_1) | instid1(VALU_DEP_3)
	v_or_b32_e32 v2, v2, v14
	v_mul_f32_e32 v20, v18, v20
	v_and_b32_e32 v4, 0xff, v4
	v_and_b32_e32 v14, 0xffff, v1
	s_delay_alu instid0(VALU_DEP_4) | instskip(NEXT) | instid1(VALU_DEP_4)
	v_lshlrev_b32_e32 v15, 16, v2
	v_cvt_i32_f32_e32 v18, v20
	s_delay_alu instid0(VALU_DEP_4) | instskip(NEXT) | instid1(VALU_DEP_2)
	v_or_b32_e32 v4, v4, v16
	v_lshlrev_b16 v8, 8, v18
	s_delay_alu instid0(VALU_DEP_2) | instskip(NEXT) | instid1(VALU_DEP_2)
	v_lshlrev_b32_e32 v4, 16, v4
	v_or_b32_e32 v6, v6, v8
	v_or_b32_e32 v8, v0, v12
	s_delay_alu instid0(VALU_DEP_3) | instskip(SKIP_1) | instid1(VALU_DEP_4)
	v_or_b32_e32 v1, v13, v4
	v_or_b32_e32 v0, v14, v15
	v_lshlrev_b32_e32 v6, 16, v6
	buffer_store_b128 v[8:11], v17, s[4:7], 0 offen
	;;#ASMSTART
	s_nop 0
	;;#ASMEND
	v_or_b32_e32 v2, v5, v6
	buffer_store_b128 v[0:3], v17, s[4:7], 16 offen
	;;#ASMSTART
	s_nop 0
	;;#ASMEND
	s_nop 0
	s_sendmsg sendmsg(MSG_DEALLOC_VGPRS)
	s_endpgm
	.section	.rodata,"a",@progbits
	.p2align	6, 0x0
	.amdhsa_kernel _ZN5aiter37dynamic_per_group_scaled_quant_kernelIDF16_aLi32ELi64ELb0ELi64ELb0EEEvPT0_PfPKT_PKfliilPKii
		.amdhsa_group_segment_fixed_size 0
		.amdhsa_private_segment_fixed_size 0
		.amdhsa_kernarg_size 68
		.amdhsa_user_sgpr_count 15
		.amdhsa_user_sgpr_dispatch_ptr 0
		.amdhsa_user_sgpr_queue_ptr 0
		.amdhsa_user_sgpr_kernarg_segment_ptr 1
		.amdhsa_user_sgpr_dispatch_id 0
		.amdhsa_user_sgpr_private_segment_size 0
		.amdhsa_wavefront_size32 1
		.amdhsa_uses_dynamic_stack 0
		.amdhsa_enable_private_segment 0
		.amdhsa_system_sgpr_workgroup_id_x 1
		.amdhsa_system_sgpr_workgroup_id_y 0
		.amdhsa_system_sgpr_workgroup_id_z 0
		.amdhsa_system_sgpr_workgroup_info 0
		.amdhsa_system_vgpr_workitem_id 0
		.amdhsa_next_free_vgpr 41
		.amdhsa_next_free_sgpr 16
		.amdhsa_reserve_vcc 1
		.amdhsa_float_round_mode_32 0
		.amdhsa_float_round_mode_16_64 0
		.amdhsa_float_denorm_mode_32 3
		.amdhsa_float_denorm_mode_16_64 3
		.amdhsa_dx10_clamp 1
		.amdhsa_ieee_mode 1
		.amdhsa_fp16_overflow 0
		.amdhsa_workgroup_processor_mode 1
		.amdhsa_memory_ordered 1
		.amdhsa_forward_progress 0
		.amdhsa_shared_vgpr_count 0
		.amdhsa_exception_fp_ieee_invalid_op 0
		.amdhsa_exception_fp_denorm_src 0
		.amdhsa_exception_fp_ieee_div_zero 0
		.amdhsa_exception_fp_ieee_overflow 0
		.amdhsa_exception_fp_ieee_underflow 0
		.amdhsa_exception_fp_ieee_inexact 0
		.amdhsa_exception_int_div_zero 0
	.end_amdhsa_kernel
	.section	.text._ZN5aiter37dynamic_per_group_scaled_quant_kernelIDF16_aLi32ELi64ELb0ELi64ELb0EEEvPT0_PfPKT_PKfliilPKii,"axG",@progbits,_ZN5aiter37dynamic_per_group_scaled_quant_kernelIDF16_aLi32ELi64ELb0ELi64ELb0EEEvPT0_PfPKT_PKfliilPKii,comdat
.Lfunc_end24:
	.size	_ZN5aiter37dynamic_per_group_scaled_quant_kernelIDF16_aLi32ELi64ELb0ELi64ELb0EEEvPT0_PfPKT_PKfliilPKii, .Lfunc_end24-_ZN5aiter37dynamic_per_group_scaled_quant_kernelIDF16_aLi32ELi64ELb0ELi64ELb0EEEvPT0_PfPKT_PKfliilPKii
                                        ; -- End function
	.section	.AMDGPU.csdata,"",@progbits
; Kernel info:
; codeLenInByte = 3036
; NumSgprs: 18
; NumVgprs: 41
; ScratchSize: 0
; MemoryBound: 0
; FloatMode: 240
; IeeeMode: 1
; LDSByteSize: 0 bytes/workgroup (compile time only)
; SGPRBlocks: 2
; VGPRBlocks: 5
; NumSGPRsForWavesPerEU: 18
; NumVGPRsForWavesPerEU: 41
; Occupancy: 16
; WaveLimiterHint : 0
; COMPUTE_PGM_RSRC2:SCRATCH_EN: 0
; COMPUTE_PGM_RSRC2:USER_SGPR: 15
; COMPUTE_PGM_RSRC2:TRAP_HANDLER: 0
; COMPUTE_PGM_RSRC2:TGID_X_EN: 1
; COMPUTE_PGM_RSRC2:TGID_Y_EN: 0
; COMPUTE_PGM_RSRC2:TGID_Z_EN: 0
; COMPUTE_PGM_RSRC2:TIDIG_COMP_CNT: 0
	.section	.text._ZN5aiter37dynamic_per_group_scaled_quant_kernelItaLi32ELi64ELb0ELi64ELb0EEEvPT0_PfPKT_PKfliilPKii,"axG",@progbits,_ZN5aiter37dynamic_per_group_scaled_quant_kernelItaLi32ELi64ELb0ELi64ELb0EEEvPT0_PfPKT_PKfliilPKii,comdat
	.protected	_ZN5aiter37dynamic_per_group_scaled_quant_kernelItaLi32ELi64ELb0ELi64ELb0EEEvPT0_PfPKT_PKfliilPKii ; -- Begin function _ZN5aiter37dynamic_per_group_scaled_quant_kernelItaLi32ELi64ELb0ELi64ELb0EEEvPT0_PfPKT_PKfliilPKii
	.globl	_ZN5aiter37dynamic_per_group_scaled_quant_kernelItaLi32ELi64ELb0ELi64ELb0EEEvPT0_PfPKT_PKfliilPKii
	.p2align	8
	.type	_ZN5aiter37dynamic_per_group_scaled_quant_kernelItaLi32ELi64ELb0ELi64ELb0EEEvPT0_PfPKT_PKfliilPKii,@function
_ZN5aiter37dynamic_per_group_scaled_quant_kernelItaLi32ELi64ELb0ELi64ELb0EEEvPT0_PfPKT_PKfliilPKii: ; @_ZN5aiter37dynamic_per_group_scaled_quant_kernelItaLi32ELi64ELb0ELi64ELb0EEEvPT0_PfPKT_PKfliilPKii
; %bb.0:
	s_load_b64 s[2:3], s[0:1], 0x38
	s_mov_b32 s6, s15
	s_waitcnt lgkmcnt(0)
	s_cmp_eq_u64 s[2:3], 0
	s_cbranch_scc1 .LBB25_2
; %bb.1:
	s_load_b32 s4, s[0:1], 0x40
	s_load_b32 s2, s[2:3], 0x0
	s_waitcnt lgkmcnt(0)
	s_mul_hi_i32 s5, s2, s4
	s_mul_i32 s4, s2, s4
	s_branch .LBB25_3
.LBB25_2:
	s_load_b64 s[4:5], s[0:1], 0x20
.LBB25_3:
	s_load_b64 s[2:3], s[0:1], 0x28
	s_mov_b32 s7, 0
	v_mov_b32_e32 v3, 0
	s_lshl_b64 s[6:7], s[6:7], 6
	s_delay_alu instid0(SALU_CYCLE_1) | instskip(SKIP_1) | instid1(VALU_DEP_1)
	v_or_b32_e32 v5, s6, v0
	v_mov_b32_e32 v6, s7
	v_lshrrev_b64 v[1:2], 1, v[5:6]
	s_waitcnt lgkmcnt(0)
	s_ashr_i32 s6, s2, 31
	s_delay_alu instid0(SALU_CYCLE_1) | instskip(NEXT) | instid1(SALU_CYCLE_1)
	s_lshr_b32 s6, s6, 26
	s_add_i32 s2, s2, s6
	s_delay_alu instid0(SALU_CYCLE_1) | instskip(NEXT) | instid1(SALU_CYCLE_1)
	s_ashr_i32 s10, s2, 6
	s_ashr_i32 s2, s10, 31
	s_delay_alu instid0(SALU_CYCLE_1) | instskip(NEXT) | instid1(VALU_DEP_1)
	v_or_b32_e32 v4, s2, v2
	v_cmp_ne_u64_e32 vcc_lo, 0, v[3:4]
                                        ; implicit-def: $vgpr3_vgpr4
	s_and_saveexec_b32 s6, vcc_lo
	s_delay_alu instid0(SALU_CYCLE_1)
	s_xor_b32 s11, exec_lo, s6
	s_cbranch_execnz .LBB25_7
; %bb.4:
	s_and_not1_saveexec_b32 s2, s11
	s_cbranch_execnz .LBB25_8
.LBB25_5:
	s_or_b32 exec_lo, exec_lo, s2
	s_delay_alu instid0(SALU_CYCLE_1)
	s_mov_b32 s2, exec_lo
	v_cmpx_gt_i64_e64 s[4:5], v[3:4]
	s_cbranch_execnz .LBB25_9
.LBB25_6:
	s_endpgm
.LBB25_7:
	s_add_u32 s8, s10, s2
	s_mov_b32 s6, s2
	s_mov_b32 s7, s2
	s_addc_u32 s9, s2, s2
	s_delay_alu instid0(SALU_CYCLE_1) | instskip(NEXT) | instid1(SALU_CYCLE_1)
	s_xor_b64 s[8:9], s[8:9], s[6:7]
	v_cvt_f32_u32_e32 v3, s8
	v_cvt_f32_u32_e32 v4, s9
	s_sub_u32 s2, 0, s8
	s_subb_u32 s12, 0, s9
	s_delay_alu instid0(VALU_DEP_1) | instskip(NEXT) | instid1(VALU_DEP_1)
	v_fmamk_f32 v3, v4, 0x4f800000, v3
	v_rcp_f32_e32 v3, v3
	s_waitcnt_depctr 0xfff
	v_mul_f32_e32 v3, 0x5f7ffffc, v3
	s_delay_alu instid0(VALU_DEP_1) | instskip(NEXT) | instid1(VALU_DEP_1)
	v_mul_f32_e32 v4, 0x2f800000, v3
	v_trunc_f32_e32 v4, v4
	s_delay_alu instid0(VALU_DEP_1) | instskip(SKIP_1) | instid1(VALU_DEP_2)
	v_fmamk_f32 v3, v4, 0xcf800000, v3
	v_cvt_u32_f32_e32 v4, v4
	v_cvt_u32_f32_e32 v3, v3
	s_delay_alu instid0(VALU_DEP_2) | instskip(NEXT) | instid1(VALU_DEP_2)
	v_mul_lo_u32 v5, s2, v4
	v_mul_hi_u32 v6, s2, v3
	v_mul_lo_u32 v7, s12, v3
	s_delay_alu instid0(VALU_DEP_2) | instskip(SKIP_1) | instid1(VALU_DEP_2)
	v_add_nc_u32_e32 v5, v6, v5
	v_mul_lo_u32 v6, s2, v3
	v_add_nc_u32_e32 v5, v5, v7
	s_delay_alu instid0(VALU_DEP_2) | instskip(NEXT) | instid1(VALU_DEP_2)
	v_mul_hi_u32 v7, v3, v6
	v_mul_lo_u32 v8, v3, v5
	v_mul_hi_u32 v9, v3, v5
	v_mul_hi_u32 v10, v4, v6
	v_mul_lo_u32 v6, v4, v6
	v_mul_hi_u32 v11, v4, v5
	v_mul_lo_u32 v5, v4, v5
	v_add_co_u32 v7, vcc_lo, v7, v8
	v_add_co_ci_u32_e32 v8, vcc_lo, 0, v9, vcc_lo
	s_delay_alu instid0(VALU_DEP_2) | instskip(NEXT) | instid1(VALU_DEP_2)
	v_add_co_u32 v6, vcc_lo, v7, v6
	v_add_co_ci_u32_e32 v6, vcc_lo, v8, v10, vcc_lo
	v_add_co_ci_u32_e32 v7, vcc_lo, 0, v11, vcc_lo
	s_delay_alu instid0(VALU_DEP_2) | instskip(NEXT) | instid1(VALU_DEP_2)
	v_add_co_u32 v5, vcc_lo, v6, v5
	v_add_co_ci_u32_e32 v6, vcc_lo, 0, v7, vcc_lo
	s_delay_alu instid0(VALU_DEP_2) | instskip(NEXT) | instid1(VALU_DEP_2)
	v_add_co_u32 v3, vcc_lo, v3, v5
	v_add_co_ci_u32_e32 v4, vcc_lo, v4, v6, vcc_lo
	s_delay_alu instid0(VALU_DEP_2) | instskip(SKIP_1) | instid1(VALU_DEP_3)
	v_mul_hi_u32 v5, s2, v3
	v_mul_lo_u32 v7, s12, v3
	v_mul_lo_u32 v6, s2, v4
	s_delay_alu instid0(VALU_DEP_1) | instskip(SKIP_1) | instid1(VALU_DEP_2)
	v_add_nc_u32_e32 v5, v5, v6
	v_mul_lo_u32 v6, s2, v3
	v_add_nc_u32_e32 v5, v5, v7
	s_delay_alu instid0(VALU_DEP_2) | instskip(NEXT) | instid1(VALU_DEP_2)
	v_mul_hi_u32 v7, v3, v6
	v_mul_lo_u32 v8, v3, v5
	v_mul_hi_u32 v9, v3, v5
	v_mul_hi_u32 v10, v4, v6
	v_mul_lo_u32 v6, v4, v6
	v_mul_hi_u32 v11, v4, v5
	v_mul_lo_u32 v5, v4, v5
	v_add_co_u32 v7, vcc_lo, v7, v8
	v_add_co_ci_u32_e32 v8, vcc_lo, 0, v9, vcc_lo
	s_delay_alu instid0(VALU_DEP_2) | instskip(NEXT) | instid1(VALU_DEP_2)
	v_add_co_u32 v6, vcc_lo, v7, v6
	v_add_co_ci_u32_e32 v6, vcc_lo, v8, v10, vcc_lo
	v_add_co_ci_u32_e32 v7, vcc_lo, 0, v11, vcc_lo
	s_delay_alu instid0(VALU_DEP_2) | instskip(NEXT) | instid1(VALU_DEP_2)
	v_add_co_u32 v5, vcc_lo, v6, v5
	v_add_co_ci_u32_e32 v6, vcc_lo, 0, v7, vcc_lo
	s_delay_alu instid0(VALU_DEP_2) | instskip(NEXT) | instid1(VALU_DEP_2)
	v_add_co_u32 v7, vcc_lo, v3, v5
	v_add_co_ci_u32_e32 v9, vcc_lo, v4, v6, vcc_lo
	s_delay_alu instid0(VALU_DEP_2) | instskip(SKIP_1) | instid1(VALU_DEP_3)
	v_mul_hi_u32 v10, v1, v7
	v_mad_u64_u32 v[5:6], null, v2, v7, 0
	v_mad_u64_u32 v[3:4], null, v1, v9, 0
	;; [unrolled: 1-line block ×3, first 2 shown]
	s_delay_alu instid0(VALU_DEP_2) | instskip(NEXT) | instid1(VALU_DEP_3)
	v_add_co_u32 v3, vcc_lo, v10, v3
	v_add_co_ci_u32_e32 v4, vcc_lo, 0, v4, vcc_lo
	s_delay_alu instid0(VALU_DEP_2) | instskip(NEXT) | instid1(VALU_DEP_2)
	v_add_co_u32 v3, vcc_lo, v3, v5
	v_add_co_ci_u32_e32 v3, vcc_lo, v4, v6, vcc_lo
	v_add_co_ci_u32_e32 v4, vcc_lo, 0, v8, vcc_lo
	s_delay_alu instid0(VALU_DEP_2) | instskip(NEXT) | instid1(VALU_DEP_2)
	v_add_co_u32 v5, vcc_lo, v3, v7
	v_add_co_ci_u32_e32 v6, vcc_lo, 0, v4, vcc_lo
	s_delay_alu instid0(VALU_DEP_2) | instskip(SKIP_1) | instid1(VALU_DEP_3)
	v_mul_lo_u32 v7, s9, v5
	v_mad_u64_u32 v[3:4], null, s8, v5, 0
	v_mul_lo_u32 v8, s8, v6
	s_delay_alu instid0(VALU_DEP_2) | instskip(NEXT) | instid1(VALU_DEP_2)
	v_sub_co_u32 v3, vcc_lo, v1, v3
	v_add3_u32 v4, v4, v8, v7
	s_delay_alu instid0(VALU_DEP_1) | instskip(NEXT) | instid1(VALU_DEP_1)
	v_sub_nc_u32_e32 v7, v2, v4
	v_subrev_co_ci_u32_e64 v7, s2, s9, v7, vcc_lo
	v_add_co_u32 v8, s2, v5, 2
	s_delay_alu instid0(VALU_DEP_1) | instskip(SKIP_3) | instid1(VALU_DEP_3)
	v_add_co_ci_u32_e64 v9, s2, 0, v6, s2
	v_sub_co_u32 v10, s2, v3, s8
	v_sub_co_ci_u32_e32 v4, vcc_lo, v2, v4, vcc_lo
	v_subrev_co_ci_u32_e64 v7, s2, 0, v7, s2
	v_cmp_le_u32_e32 vcc_lo, s8, v10
	s_delay_alu instid0(VALU_DEP_3) | instskip(SKIP_1) | instid1(VALU_DEP_4)
	v_cmp_eq_u32_e64 s2, s9, v4
	v_cndmask_b32_e64 v10, 0, -1, vcc_lo
	v_cmp_le_u32_e32 vcc_lo, s9, v7
	v_cndmask_b32_e64 v11, 0, -1, vcc_lo
	v_cmp_le_u32_e32 vcc_lo, s8, v3
	;; [unrolled: 2-line block ×3, first 2 shown]
	v_cndmask_b32_e64 v12, 0, -1, vcc_lo
	v_cmp_eq_u32_e32 vcc_lo, s9, v7
	s_delay_alu instid0(VALU_DEP_2) | instskip(SKIP_3) | instid1(VALU_DEP_3)
	v_cndmask_b32_e64 v3, v12, v3, s2
	v_cndmask_b32_e32 v7, v11, v10, vcc_lo
	v_add_co_u32 v10, vcc_lo, v5, 1
	v_add_co_ci_u32_e32 v11, vcc_lo, 0, v6, vcc_lo
	v_cmp_ne_u32_e32 vcc_lo, 0, v7
	s_delay_alu instid0(VALU_DEP_2) | instskip(SKIP_1) | instid1(VALU_DEP_2)
	v_dual_cndmask_b32 v4, v11, v9 :: v_dual_cndmask_b32 v7, v10, v8
	v_cmp_ne_u32_e32 vcc_lo, 0, v3
	v_dual_cndmask_b32 v3, v6, v4 :: v_dual_cndmask_b32 v4, v5, v7
	s_delay_alu instid0(VALU_DEP_1) | instskip(NEXT) | instid1(VALU_DEP_2)
	v_xor_b32_e32 v5, s7, v3
	v_xor_b32_e32 v4, s6, v4
	s_delay_alu instid0(VALU_DEP_1) | instskip(NEXT) | instid1(VALU_DEP_3)
	v_sub_co_u32 v3, vcc_lo, v4, s6
	v_subrev_co_ci_u32_e32 v4, vcc_lo, s7, v5, vcc_lo
                                        ; implicit-def: $vgpr5_vgpr6
	s_and_not1_saveexec_b32 s2, s11
	s_cbranch_execz .LBB25_5
.LBB25_8:
	v_cvt_f32_u32_e32 v3, s10
	s_sub_i32 s6, 0, s10
	v_alignbit_b32 v5, v6, v5, 1
	s_delay_alu instid0(VALU_DEP_2) | instskip(SKIP_2) | instid1(VALU_DEP_1)
	v_rcp_iflag_f32_e32 v3, v3
	s_waitcnt_depctr 0xfff
	v_mul_f32_e32 v3, 0x4f7ffffe, v3
	v_cvt_u32_f32_e32 v3, v3
	s_delay_alu instid0(VALU_DEP_1) | instskip(NEXT) | instid1(VALU_DEP_1)
	v_mul_lo_u32 v4, s6, v3
	v_mul_hi_u32 v4, v3, v4
	s_delay_alu instid0(VALU_DEP_1) | instskip(NEXT) | instid1(VALU_DEP_1)
	v_add_nc_u32_e32 v3, v3, v4
	v_mul_hi_u32 v3, v5, v3
	s_delay_alu instid0(VALU_DEP_1) | instskip(NEXT) | instid1(VALU_DEP_1)
	v_mul_lo_u32 v4, v3, s10
	v_sub_nc_u32_e32 v4, v5, v4
	v_add_nc_u32_e32 v5, 1, v3
	s_delay_alu instid0(VALU_DEP_2) | instskip(SKIP_1) | instid1(VALU_DEP_2)
	v_subrev_nc_u32_e32 v6, s10, v4
	v_cmp_le_u32_e32 vcc_lo, s10, v4
	v_dual_cndmask_b32 v4, v4, v6 :: v_dual_cndmask_b32 v3, v3, v5
	s_delay_alu instid0(VALU_DEP_1) | instskip(NEXT) | instid1(VALU_DEP_2)
	v_cmp_le_u32_e32 vcc_lo, s10, v4
	v_dual_mov_b32 v4, 0 :: v_dual_add_nc_u32 v5, 1, v3
	s_delay_alu instid0(VALU_DEP_1) | instskip(SKIP_1) | instid1(SALU_CYCLE_1)
	v_cndmask_b32_e32 v3, v3, v5, vcc_lo
	s_or_b32 exec_lo, exec_lo, s2
	s_mov_b32 s2, exec_lo
	s_delay_alu instid0(VALU_DEP_1)
	v_cmpx_gt_i64_e64 s[4:5], v[3:4]
	s_cbranch_execz .LBB25_6
.LBB25_9:
	s_ashr_i32 s2, s3, 31
	s_load_b64 s[4:5], s[0:1], 0x10
	v_mul_lo_u32 v6, v3, s10
	v_mul_lo_u32 v7, v4, s3
	v_mad_u64_u32 v[4:5], null, v3, s3, 0
	v_mul_lo_u32 v3, v3, s2
	v_and_b32_e32 v36, 1, v0
	s_mov_b32 s2, exec_lo
	v_sub_nc_u32_e32 v6, v1, v6
	s_delay_alu instid0(VALU_DEP_3) | instskip(NEXT) | instid1(VALU_DEP_2)
	v_add3_u32 v5, v5, v3, v7
	v_dual_mov_b32 v7, 0 :: v_dual_lshlrev_b32 v6, 6, v6
	s_delay_alu instid0(VALU_DEP_2) | instskip(NEXT) | instid1(VALU_DEP_2)
	v_lshlrev_b64 v[3:4], 1, v[4:5]
	v_lshlrev_b64 v[5:6], 1, v[6:7]
	v_lshlrev_b32_e32 v7, 6, v36
	s_waitcnt lgkmcnt(0)
	s_delay_alu instid0(VALU_DEP_3) | instskip(NEXT) | instid1(VALU_DEP_4)
	v_add_co_u32 v3, vcc_lo, s4, v3
	v_add_co_ci_u32_e32 v4, vcc_lo, s5, v4, vcc_lo
	s_load_b64 s[4:5], s[0:1], 0x0
	s_delay_alu instid0(VALU_DEP_2) | instskip(NEXT) | instid1(VALU_DEP_2)
	v_add_co_u32 v3, vcc_lo, v3, v5
	v_add_co_ci_u32_e32 v4, vcc_lo, v4, v6, vcc_lo
	s_delay_alu instid0(VALU_DEP_2) | instskip(NEXT) | instid1(VALU_DEP_2)
	v_add_co_u32 v15, vcc_lo, v3, v7
	v_add_co_ci_u32_e32 v16, vcc_lo, 0, v4, vcc_lo
	s_clause 0x3
	global_load_b128 v[3:6], v[15:16], off
	global_load_b128 v[7:10], v[15:16], off offset:16
	global_load_b128 v[11:14], v[15:16], off offset:32
	;; [unrolled: 1-line block ×3, first 2 shown]
	s_waitcnt vmcnt(3)
	v_and_b32_e32 v19, 0xffff, v3
	v_lshrrev_b32_e32 v3, 16, v3
	v_and_b32_e32 v21, 0xffff, v4
	v_lshrrev_b32_e32 v4, 16, v4
	v_and_b32_e32 v25, 0xffff, v6
	v_cvt_f32_u32_e32 v19, v19
	v_cvt_f32_u32_e32 v20, v3
	v_and_b32_e32 v3, 0xffff, v5
	v_lshrrev_b32_e32 v5, 16, v5
	v_cvt_f32_u32_e32 v21, v21
	v_cvt_f32_u32_e32 v22, v4
	v_max3_f32 v4, v19, 0x2edbe6ff, v20
	v_lshrrev_b32_e32 v6, 16, v6
	v_cvt_f32_u32_e32 v23, v3
	v_cvt_f32_u32_e32 v24, v5
	s_waitcnt vmcnt(2)
	v_lshrrev_b32_e32 v5, 16, v7
	v_max3_f32 v3, v4, v21, v22
	v_and_b32_e32 v4, 0xffff, v7
	v_cvt_f32_u32_e32 v25, v25
	v_cvt_f32_u32_e32 v26, v6
	v_and_b32_e32 v6, 0xffff, v8
	v_max3_f32 v3, v3, v23, v24
	v_lshrrev_b32_e32 v7, 16, v8
	v_cvt_f32_u32_e32 v27, v4
	v_cvt_f32_u32_e32 v28, v5
	v_and_b32_e32 v4, 0xffff, v9
	v_max3_f32 v3, v3, v25, v26
	v_lshrrev_b32_e32 v5, 16, v9
	;; [unrolled: 5-line block ×3, first 2 shown]
	v_cvt_f32_u32_e32 v31, v4
	v_cvt_f32_u32_e32 v32, v5
	s_waitcnt vmcnt(1)
	v_and_b32_e32 v4, 0xffff, v11
	v_max3_f32 v3, v3, v29, v30
	v_lshrrev_b32_e32 v5, 16, v11
	v_cvt_f32_u32_e32 v33, v6
	v_cvt_f32_u32_e32 v34, v7
	v_and_b32_e32 v6, 0xffff, v12
	v_max3_f32 v3, v3, v31, v32
	v_lshrrev_b32_e32 v7, 16, v12
	v_cvt_f32_u32_e32 v8, v4
	v_cvt_f32_u32_e32 v9, v5
	;; [unrolled: 5-line block ×4, first 2 shown]
	s_waitcnt vmcnt(0)
	v_and_b32_e32 v4, 0xffff, v15
	v_max3_f32 v3, v3, v10, v5
	v_lshrrev_b32_e32 v14, 16, v15
	v_cvt_f32_u32_e32 v11, v12
	v_cvt_f32_u32_e32 v12, v13
	v_and_b32_e32 v15, 0xffff, v16
	v_max3_f32 v3, v3, v6, v7
	v_lshrrev_b32_e32 v16, 16, v16
	v_cvt_f32_u32_e32 v13, v4
	v_cvt_f32_u32_e32 v14, v14
	;; [unrolled: 5-line block ×3, first 2 shown]
	v_lshrrev_b32_e32 v38, 16, v18
	v_max3_f32 v15, v35, v13, v14
	v_and_b32_e32 v35, 0xffff, v18
	v_cvt_f32_u32_e32 v16, v37
	v_cvt_f32_u32_e32 v18, v17
	;; [unrolled: 1-line block ×3, first 2 shown]
	v_max3_f32 v37, v15, v3, v4
	v_cvt_f32_u32_e32 v15, v35
	s_delay_alu instid0(VALU_DEP_2) | instskip(NEXT) | instid1(VALU_DEP_1)
	v_max3_f32 v35, v37, v16, v18
	v_max3_f32 v35, v35, v15, v17
	s_delay_alu instid0(VALU_DEP_1) | instskip(NEXT) | instid1(VALU_DEP_1)
	v_mov_b32_dpp v37, v35 quad_perm:[1,0,3,2] row_mask:0xf bank_mask:0xf
	v_cmp_gt_f32_e32 vcc_lo, v35, v37
	v_cndmask_b32_e32 v35, v37, v35, vcc_lo
	s_delay_alu instid0(VALU_DEP_1)
	v_mul_f32_e32 v35, 0x3c010204, v35
	v_cmpx_eq_u32_e32 0, v36
	s_cbranch_execz .LBB25_11
; %bb.10:
	s_load_b64 s[6:7], s[0:1], 0x8
	v_lshlrev_b64 v[36:37], 2, v[1:2]
	s_waitcnt lgkmcnt(0)
	s_delay_alu instid0(VALU_DEP_1) | instskip(NEXT) | instid1(VALU_DEP_2)
	v_add_co_u32 v36, vcc_lo, s6, v36
	v_add_co_ci_u32_e32 v37, vcc_lo, s7, v37, vcc_lo
	global_store_b32 v[36:37], v35, off
.LBB25_11:
	s_or_b32 exec_lo, exec_lo, s2
	s_delay_alu instid0(VALU_DEP_2) | instskip(SKIP_2) | instid1(VALU_DEP_2)
	v_div_scale_f32 v2, null, v35, v35, 1.0
	v_div_scale_f32 v38, vcc_lo, 1.0, v35, 1.0
	s_load_b32 s6, s[0:1], 0x30
	v_rcp_f32_e32 v36, v2
	s_waitcnt lgkmcnt(0)
	s_and_b32 s5, s5, 0xffff
	s_mov_b32 s7, -1
	v_lshlrev_b32_e32 v1, 6, v1
	s_waitcnt_depctr 0xfff
	v_fma_f32 v37, -v2, v36, 1.0
	s_delay_alu instid0(VALU_DEP_1) | instskip(NEXT) | instid1(VALU_DEP_1)
	v_fmac_f32_e32 v36, v37, v36
	v_mul_f32_e32 v37, v38, v36
	s_delay_alu instid0(VALU_DEP_1) | instskip(NEXT) | instid1(VALU_DEP_1)
	v_fma_f32 v39, -v2, v37, v38
	v_fmac_f32_e32 v37, v39, v36
	s_delay_alu instid0(VALU_DEP_1) | instskip(NEXT) | instid1(VALU_DEP_1)
	v_fma_f32 v2, -v2, v37, v38
	v_div_fmas_f32 v2, v2, v36, v37
	s_delay_alu instid0(VALU_DEP_1) | instskip(NEXT) | instid1(VALU_DEP_1)
	v_div_fixup_f32 v2, v2, v35, 1.0
	v_dual_mul_f32 v13, v2, v13 :: v_dual_lshlrev_b32 v0, 5, v0
	v_mul_f32_e32 v17, v2, v17
	v_mul_f32_e32 v15, v2, v15
	s_delay_alu instid0(VALU_DEP_3)
	v_and_or_b32 v35, v0, 32, v1
	v_mul_f32_e32 v0, v2, v19
	v_cvt_i32_f32_e32 v13, v13
	v_mul_f32_e32 v14, v2, v14
	v_cvt_i32_f32_e32 v17, v17
	v_cvt_i32_f32_e32 v15, v15
	s_delay_alu instid0(VALU_DEP_4) | instskip(NEXT) | instid1(VALU_DEP_4)
	v_dual_mul_f32 v12, v2, v12 :: v_dual_and_b32 v13, 0xff, v13
	v_cvt_i32_f32_e32 v14, v14
	s_delay_alu instid0(VALU_DEP_4) | instskip(NEXT) | instid1(VALU_DEP_4)
	v_lshlrev_b16 v17, 8, v17
	v_and_b32_e32 v15, 0xff, v15
	v_mul_f32_e32 v19, v2, v21
	v_cvt_i32_f32_e32 v0, v0
	v_lshlrev_b16 v14, 8, v14
	v_mul_f32_e32 v21, v2, v23
	v_mul_f32_e32 v23, v2, v25
	v_mul_f32_e32 v25, v2, v27
	v_mul_f32_e32 v27, v2, v29
	v_or_b32_e32 v13, v13, v14
	v_mul_f32_e32 v16, v2, v16
	v_or_b32_e32 v15, v15, v17
	v_mul_f32_e32 v1, v2, v20
	v_cvt_i32_f32_e32 v25, v25
	v_and_b32_e32 v13, 0xffff, v13
	v_cvt_i32_f32_e32 v16, v16
	v_mul_f32_e32 v29, v2, v31
	v_dual_mul_f32 v31, v2, v33 :: v_dual_lshlrev_b32 v14, 16, v15
	v_cvt_i32_f32_e32 v27, v27
	v_and_b32_e32 v0, 0xff, v0
	v_cvt_i32_f32_e32 v21, v21
	s_delay_alu instid0(VALU_DEP_4) | instskip(SKIP_3) | instid1(VALU_DEP_4)
	v_cvt_i32_f32_e32 v31, v31
	v_and_b32_e32 v16, 0xff, v16
	v_cvt_i32_f32_e32 v29, v29
	v_mul_f32_e32 v20, v2, v22
	v_dual_mul_f32 v22, v2, v24 :: v_dual_and_b32 v31, 0xff, v31
	v_dual_mul_f32 v24, v2, v26 :: v_dual_and_b32 v25, 0xff, v25
	;; [unrolled: 1-line block ×5, first 2 shown]
	v_cvt_i32_f32_e32 v20, v20
	v_cvt_i32_f32_e32 v22, v22
	;; [unrolled: 1-line block ×3, first 2 shown]
	s_delay_alu instid0(VALU_DEP_4)
	v_cvt_i32_f32_e32 v30, v30
	v_cvt_i32_f32_e32 v28, v28
	v_lshlrev_b16 v33, 8, v20
	v_cvt_i32_f32_e32 v24, v24
	v_lshlrev_b16 v26, 8, v26
	v_lshlrev_b16 v30, 8, v30
	;; [unrolled: 1-line block ×5, first 2 shown]
	v_or_b32_e32 v25, v25, v26
	v_or_b32_e32 v20, v29, v30
	;; [unrolled: 1-line block ×4, first 2 shown]
	v_cvt_i32_f32_e32 v19, v19
	v_mul_f32_e32 v10, v2, v10
	v_and_b32_e32 v20, 0xffff, v20
	v_cvt_i32_f32_e32 v23, v23
	s_delay_alu instid0(VALU_DEP_4) | instskip(NEXT) | instid1(VALU_DEP_4)
	v_dual_mul_f32 v8, v2, v8 :: v_dual_and_b32 v27, 0xff, v19
	v_cvt_i32_f32_e32 v10, v10
	v_mul_f32_e32 v11, v2, v11
	s_delay_alu instid0(VALU_DEP_4) | instskip(SKIP_3) | instid1(VALU_DEP_4)
	v_dual_mul_f32 v32, v2, v34 :: v_dual_and_b32 v23, 0xff, v23
	v_mul_f32_e32 v9, v2, v9
	v_mul_f32_e32 v6, v2, v6
	v_and_b32_e32 v10, 0xff, v10
	v_or_b32_e32 v22, v23, v24
	v_and_b32_e32 v24, 0xffff, v25
	v_lshlrev_b32_e32 v25, 16, v26
	v_and_b32_e32 v26, 0xffff, v21
	v_cvt_i32_f32_e32 v1, v1
	v_cvt_i32_f32_e32 v6, v6
	v_mul_f32_e32 v5, v2, v5
	v_cvt_i32_f32_e32 v8, v8
	v_mul_f32_e32 v7, v2, v7
	v_lshlrev_b16 v1, 8, v1
	v_and_b32_e32 v6, 0xff, v6
	v_cvt_i32_f32_e32 v5, v5
	v_and_b32_e32 v8, 0xff, v8
	v_cvt_i32_f32_e32 v11, v11
	v_or_b32_e32 v0, v0, v1
	v_or_b32_e32 v1, v27, v33
	v_lshlrev_b16 v5, 8, v5
	v_mul_f32_e32 v18, v2, v18
	v_dual_mul_f32 v4, v2, v4 :: v_dual_and_b32 v11, 0xff, v11
	s_delay_alu instid0(VALU_DEP_4) | instskip(NEXT) | instid1(VALU_DEP_4)
	v_lshlrev_b32_e32 v1, 16, v1
	v_or_b32_e32 v5, v10, v5
	v_mul_f32_e32 v2, v2, v3
	v_cvt_i32_f32_e32 v32, v32
	v_cvt_i32_f32_e32 v7, v7
	;; [unrolled: 1-line block ×3, first 2 shown]
	v_lshlrev_b32_e32 v5, 16, v5
	v_cvt_i32_f32_e32 v2, v2
	v_cvt_i32_f32_e32 v18, v18
	;; [unrolled: 1-line block ×3, first 2 shown]
	v_lshlrev_b16 v32, 8, v32
	v_lshlrev_b16 v7, 8, v7
	v_and_b32_e32 v2, 0xff, v2
	v_cvt_i32_f32_e32 v9, v9
	v_lshlrev_b16 v18, 8, v18
	v_lshlrev_b16 v4, 8, v4
	;; [unrolled: 1-line block ×3, first 2 shown]
	v_or_b32_e32 v29, v31, v32
	v_lshlrev_b16 v9, 8, v9
	v_or_b32_e32 v3, v16, v18
	v_or_b32_e32 v2, v2, v4
	;; [unrolled: 1-line block ×5, first 2 shown]
	v_lshlrev_b32_e32 v23, 16, v29
	v_lshlrev_b32_e32 v22, 16, v22
	v_and_b32_e32 v0, 0xffff, v0
	v_and_b32_e32 v3, 0xffff, v3
	v_lshlrev_b32_e32 v2, 16, v2
	v_and_b32_e32 v4, 0xffff, v4
	v_lshlrev_b32_e32 v6, 16, v6
	v_and_b32_e32 v7, 0xffff, v7
	v_or_b32_e32 v21, v20, v23
	v_or_b32_e32 v20, v24, v25
	;; [unrolled: 1-line block ×8, first 2 shown]
	buffer_store_b128 v[18:21], v35, s[4:7], 0 offen
	;;#ASMSTART
	s_nop 0
	;;#ASMEND
	buffer_store_b128 v[0:3], v35, s[4:7], 16 offen
	;;#ASMSTART
	s_nop 0
	;;#ASMEND
	s_nop 0
	s_sendmsg sendmsg(MSG_DEALLOC_VGPRS)
	s_endpgm
	.section	.rodata,"a",@progbits
	.p2align	6, 0x0
	.amdhsa_kernel _ZN5aiter37dynamic_per_group_scaled_quant_kernelItaLi32ELi64ELb0ELi64ELb0EEEvPT0_PfPKT_PKfliilPKii
		.amdhsa_group_segment_fixed_size 0
		.amdhsa_private_segment_fixed_size 0
		.amdhsa_kernarg_size 68
		.amdhsa_user_sgpr_count 15
		.amdhsa_user_sgpr_dispatch_ptr 0
		.amdhsa_user_sgpr_queue_ptr 0
		.amdhsa_user_sgpr_kernarg_segment_ptr 1
		.amdhsa_user_sgpr_dispatch_id 0
		.amdhsa_user_sgpr_private_segment_size 0
		.amdhsa_wavefront_size32 1
		.amdhsa_uses_dynamic_stack 0
		.amdhsa_enable_private_segment 0
		.amdhsa_system_sgpr_workgroup_id_x 1
		.amdhsa_system_sgpr_workgroup_id_y 0
		.amdhsa_system_sgpr_workgroup_id_z 0
		.amdhsa_system_sgpr_workgroup_info 0
		.amdhsa_system_vgpr_workitem_id 0
		.amdhsa_next_free_vgpr 40
		.amdhsa_next_free_sgpr 16
		.amdhsa_reserve_vcc 1
		.amdhsa_float_round_mode_32 0
		.amdhsa_float_round_mode_16_64 0
		.amdhsa_float_denorm_mode_32 3
		.amdhsa_float_denorm_mode_16_64 3
		.amdhsa_dx10_clamp 1
		.amdhsa_ieee_mode 1
		.amdhsa_fp16_overflow 0
		.amdhsa_workgroup_processor_mode 1
		.amdhsa_memory_ordered 1
		.amdhsa_forward_progress 0
		.amdhsa_shared_vgpr_count 0
		.amdhsa_exception_fp_ieee_invalid_op 0
		.amdhsa_exception_fp_denorm_src 0
		.amdhsa_exception_fp_ieee_div_zero 0
		.amdhsa_exception_fp_ieee_overflow 0
		.amdhsa_exception_fp_ieee_underflow 0
		.amdhsa_exception_fp_ieee_inexact 0
		.amdhsa_exception_int_div_zero 0
	.end_amdhsa_kernel
	.section	.text._ZN5aiter37dynamic_per_group_scaled_quant_kernelItaLi32ELi64ELb0ELi64ELb0EEEvPT0_PfPKT_PKfliilPKii,"axG",@progbits,_ZN5aiter37dynamic_per_group_scaled_quant_kernelItaLi32ELi64ELb0ELi64ELb0EEEvPT0_PfPKT_PKfliilPKii,comdat
.Lfunc_end25:
	.size	_ZN5aiter37dynamic_per_group_scaled_quant_kernelItaLi32ELi64ELb0ELi64ELb0EEEvPT0_PfPKT_PKfliilPKii, .Lfunc_end25-_ZN5aiter37dynamic_per_group_scaled_quant_kernelItaLi32ELi64ELb0ELi64ELb0EEEvPT0_PfPKT_PKfliilPKii
                                        ; -- End function
	.section	.AMDGPU.csdata,"",@progbits
; Kernel info:
; codeLenInByte = 2856
; NumSgprs: 18
; NumVgprs: 40
; ScratchSize: 0
; MemoryBound: 0
; FloatMode: 240
; IeeeMode: 1
; LDSByteSize: 0 bytes/workgroup (compile time only)
; SGPRBlocks: 2
; VGPRBlocks: 4
; NumSGPRsForWavesPerEU: 18
; NumVGPRsForWavesPerEU: 40
; Occupancy: 16
; WaveLimiterHint : 0
; COMPUTE_PGM_RSRC2:SCRATCH_EN: 0
; COMPUTE_PGM_RSRC2:USER_SGPR: 15
; COMPUTE_PGM_RSRC2:TRAP_HANDLER: 0
; COMPUTE_PGM_RSRC2:TGID_X_EN: 1
; COMPUTE_PGM_RSRC2:TGID_Y_EN: 0
; COMPUTE_PGM_RSRC2:TGID_Z_EN: 0
; COMPUTE_PGM_RSRC2:TIDIG_COMP_CNT: 0
	.section	.text._ZN5aiter37dynamic_per_group_scaled_quant_kernelIDF16_DB8_Li32ELi128ELb1ELi64ELb0EEEvPT0_PfPKT_PKfliilPKii,"axG",@progbits,_ZN5aiter37dynamic_per_group_scaled_quant_kernelIDF16_DB8_Li32ELi128ELb1ELi64ELb0EEEvPT0_PfPKT_PKfliilPKii,comdat
	.protected	_ZN5aiter37dynamic_per_group_scaled_quant_kernelIDF16_DB8_Li32ELi128ELb1ELi64ELb0EEEvPT0_PfPKT_PKfliilPKii ; -- Begin function _ZN5aiter37dynamic_per_group_scaled_quant_kernelIDF16_DB8_Li32ELi128ELb1ELi64ELb0EEEvPT0_PfPKT_PKfliilPKii
	.globl	_ZN5aiter37dynamic_per_group_scaled_quant_kernelIDF16_DB8_Li32ELi128ELb1ELi64ELb0EEEvPT0_PfPKT_PKfliilPKii
	.p2align	8
	.type	_ZN5aiter37dynamic_per_group_scaled_quant_kernelIDF16_DB8_Li32ELi128ELb1ELi64ELb0EEEvPT0_PfPKT_PKfliilPKii,@function
_ZN5aiter37dynamic_per_group_scaled_quant_kernelIDF16_DB8_Li32ELi128ELb1ELi64ELb0EEEvPT0_PfPKT_PKfliilPKii: ; @_ZN5aiter37dynamic_per_group_scaled_quant_kernelIDF16_DB8_Li32ELi128ELb1ELi64ELb0EEEvPT0_PfPKT_PKfliilPKii
; %bb.0:
	s_load_b64 s[2:3], s[0:1], 0x38
	s_mov_b32 s4, s15
	s_waitcnt lgkmcnt(0)
	s_cmp_eq_u64 s[2:3], 0
	s_cbranch_scc1 .LBB26_2
; %bb.1:
	s_load_b32 s5, s[0:1], 0x40
	s_load_b32 s2, s[2:3], 0x0
	s_waitcnt lgkmcnt(0)
	s_mul_hi_i32 s7, s2, s5
	s_mul_i32 s6, s2, s5
	s_branch .LBB26_3
.LBB26_2:
	s_load_b64 s[6:7], s[0:1], 0x20
.LBB26_3:
	s_load_b64 s[2:3], s[0:1], 0x28
	s_mov_b32 s5, 0
                                        ; implicit-def: $vgpr19_vgpr20
	v_mov_b32_e32 v3, 0
	s_lshl_b64 s[4:5], s[4:5], 6
	s_delay_alu instid0(SALU_CYCLE_1) | instskip(SKIP_1) | instid1(VALU_DEP_1)
	v_or_b32_e32 v1, s4, v0
	v_mov_b32_e32 v2, s5
	v_lshrrev_b64 v[17:18], 2, v[1:2]
	s_waitcnt lgkmcnt(0)
	s_ashr_i32 s4, s2, 31
	s_delay_alu instid0(SALU_CYCLE_1) | instskip(NEXT) | instid1(SALU_CYCLE_1)
	s_lshr_b32 s4, s4, 25
	s_add_i32 s2, s2, s4
	s_delay_alu instid0(SALU_CYCLE_1) | instskip(SKIP_2) | instid1(SALU_CYCLE_1)
	s_ashr_i32 s10, s2, 7
	s_mov_b32 s2, exec_lo
	s_ashr_i32 s11, s10, 31
	v_or_b32_e32 v4, s11, v18
	s_delay_alu instid0(VALU_DEP_1)
	v_cmpx_ne_u64_e32 0, v[3:4]
	s_xor_b32 s12, exec_lo, s2
	s_cbranch_execnz .LBB26_7
; %bb.4:
	s_and_not1_saveexec_b32 s2, s12
	s_cbranch_execnz .LBB26_8
.LBB26_5:
	s_or_b32 exec_lo, exec_lo, s2
	s_delay_alu instid0(SALU_CYCLE_1)
	s_mov_b32 s2, exec_lo
	v_cmpx_gt_i64_e64 s[6:7], v[19:20]
	s_cbranch_execnz .LBB26_9
.LBB26_6:
	s_endpgm
.LBB26_7:
	s_add_u32 s8, s10, s11
	s_mov_b32 s4, s11
	s_mov_b32 s5, s11
	s_addc_u32 s9, s11, s11
	s_delay_alu instid0(SALU_CYCLE_1) | instskip(NEXT) | instid1(SALU_CYCLE_1)
	s_xor_b64 s[8:9], s[8:9], s[4:5]
	v_cvt_f32_u32_e32 v1, s8
	v_cvt_f32_u32_e32 v2, s9
	s_sub_u32 s2, 0, s8
	s_subb_u32 s13, 0, s9
	s_delay_alu instid0(VALU_DEP_1) | instskip(NEXT) | instid1(VALU_DEP_1)
	v_fmamk_f32 v1, v2, 0x4f800000, v1
	v_rcp_f32_e32 v1, v1
	s_waitcnt_depctr 0xfff
	v_mul_f32_e32 v1, 0x5f7ffffc, v1
	s_delay_alu instid0(VALU_DEP_1) | instskip(NEXT) | instid1(VALU_DEP_1)
	v_mul_f32_e32 v2, 0x2f800000, v1
	v_trunc_f32_e32 v2, v2
	s_delay_alu instid0(VALU_DEP_1) | instskip(SKIP_1) | instid1(VALU_DEP_2)
	v_fmamk_f32 v1, v2, 0xcf800000, v1
	v_cvt_u32_f32_e32 v2, v2
	v_cvt_u32_f32_e32 v1, v1
	s_delay_alu instid0(VALU_DEP_2) | instskip(NEXT) | instid1(VALU_DEP_2)
	v_mul_lo_u32 v3, s2, v2
	v_mul_hi_u32 v4, s2, v1
	v_mul_lo_u32 v5, s13, v1
	s_delay_alu instid0(VALU_DEP_2) | instskip(SKIP_1) | instid1(VALU_DEP_2)
	v_add_nc_u32_e32 v3, v4, v3
	v_mul_lo_u32 v4, s2, v1
	v_add_nc_u32_e32 v3, v3, v5
	s_delay_alu instid0(VALU_DEP_2) | instskip(NEXT) | instid1(VALU_DEP_2)
	v_mul_hi_u32 v5, v1, v4
	v_mul_lo_u32 v6, v1, v3
	v_mul_hi_u32 v7, v1, v3
	v_mul_hi_u32 v8, v2, v4
	v_mul_lo_u32 v4, v2, v4
	v_mul_hi_u32 v9, v2, v3
	v_mul_lo_u32 v3, v2, v3
	v_add_co_u32 v5, vcc_lo, v5, v6
	v_add_co_ci_u32_e32 v6, vcc_lo, 0, v7, vcc_lo
	s_delay_alu instid0(VALU_DEP_2) | instskip(NEXT) | instid1(VALU_DEP_2)
	v_add_co_u32 v4, vcc_lo, v5, v4
	v_add_co_ci_u32_e32 v4, vcc_lo, v6, v8, vcc_lo
	v_add_co_ci_u32_e32 v5, vcc_lo, 0, v9, vcc_lo
	s_delay_alu instid0(VALU_DEP_2) | instskip(NEXT) | instid1(VALU_DEP_2)
	v_add_co_u32 v3, vcc_lo, v4, v3
	v_add_co_ci_u32_e32 v4, vcc_lo, 0, v5, vcc_lo
	s_delay_alu instid0(VALU_DEP_2) | instskip(NEXT) | instid1(VALU_DEP_2)
	v_add_co_u32 v1, vcc_lo, v1, v3
	v_add_co_ci_u32_e32 v2, vcc_lo, v2, v4, vcc_lo
	s_delay_alu instid0(VALU_DEP_2) | instskip(SKIP_1) | instid1(VALU_DEP_3)
	v_mul_hi_u32 v3, s2, v1
	v_mul_lo_u32 v5, s13, v1
	v_mul_lo_u32 v4, s2, v2
	s_delay_alu instid0(VALU_DEP_1) | instskip(SKIP_1) | instid1(VALU_DEP_2)
	v_add_nc_u32_e32 v3, v3, v4
	v_mul_lo_u32 v4, s2, v1
	v_add_nc_u32_e32 v3, v3, v5
	s_delay_alu instid0(VALU_DEP_2) | instskip(NEXT) | instid1(VALU_DEP_2)
	v_mul_hi_u32 v5, v1, v4
	v_mul_lo_u32 v6, v1, v3
	v_mul_hi_u32 v7, v1, v3
	v_mul_hi_u32 v8, v2, v4
	v_mul_lo_u32 v4, v2, v4
	v_mul_hi_u32 v9, v2, v3
	v_mul_lo_u32 v3, v2, v3
	v_add_co_u32 v5, vcc_lo, v5, v6
	v_add_co_ci_u32_e32 v6, vcc_lo, 0, v7, vcc_lo
	s_delay_alu instid0(VALU_DEP_2) | instskip(NEXT) | instid1(VALU_DEP_2)
	v_add_co_u32 v4, vcc_lo, v5, v4
	v_add_co_ci_u32_e32 v4, vcc_lo, v6, v8, vcc_lo
	v_add_co_ci_u32_e32 v5, vcc_lo, 0, v9, vcc_lo
	s_delay_alu instid0(VALU_DEP_2) | instskip(NEXT) | instid1(VALU_DEP_2)
	v_add_co_u32 v3, vcc_lo, v4, v3
	v_add_co_ci_u32_e32 v4, vcc_lo, 0, v5, vcc_lo
	s_delay_alu instid0(VALU_DEP_2) | instskip(NEXT) | instid1(VALU_DEP_2)
	v_add_co_u32 v5, vcc_lo, v1, v3
	v_add_co_ci_u32_e32 v7, vcc_lo, v2, v4, vcc_lo
	s_delay_alu instid0(VALU_DEP_2) | instskip(SKIP_1) | instid1(VALU_DEP_3)
	v_mul_hi_u32 v8, v17, v5
	v_mad_u64_u32 v[3:4], null, v18, v5, 0
	v_mad_u64_u32 v[1:2], null, v17, v7, 0
	;; [unrolled: 1-line block ×3, first 2 shown]
	s_delay_alu instid0(VALU_DEP_2) | instskip(NEXT) | instid1(VALU_DEP_3)
	v_add_co_u32 v1, vcc_lo, v8, v1
	v_add_co_ci_u32_e32 v2, vcc_lo, 0, v2, vcc_lo
	s_delay_alu instid0(VALU_DEP_2) | instskip(NEXT) | instid1(VALU_DEP_2)
	v_add_co_u32 v1, vcc_lo, v1, v3
	v_add_co_ci_u32_e32 v1, vcc_lo, v2, v4, vcc_lo
	v_add_co_ci_u32_e32 v2, vcc_lo, 0, v6, vcc_lo
	s_delay_alu instid0(VALU_DEP_2) | instskip(NEXT) | instid1(VALU_DEP_2)
	v_add_co_u32 v3, vcc_lo, v1, v5
	v_add_co_ci_u32_e32 v4, vcc_lo, 0, v2, vcc_lo
	s_delay_alu instid0(VALU_DEP_2) | instskip(SKIP_1) | instid1(VALU_DEP_3)
	v_mul_lo_u32 v5, s9, v3
	v_mad_u64_u32 v[1:2], null, s8, v3, 0
	v_mul_lo_u32 v6, s8, v4
	s_delay_alu instid0(VALU_DEP_2) | instskip(NEXT) | instid1(VALU_DEP_2)
	v_sub_co_u32 v1, vcc_lo, v17, v1
	v_add3_u32 v2, v2, v6, v5
	s_delay_alu instid0(VALU_DEP_1) | instskip(NEXT) | instid1(VALU_DEP_1)
	v_sub_nc_u32_e32 v5, v18, v2
	v_subrev_co_ci_u32_e64 v5, s2, s9, v5, vcc_lo
	v_add_co_u32 v6, s2, v3, 2
	s_delay_alu instid0(VALU_DEP_1) | instskip(SKIP_3) | instid1(VALU_DEP_3)
	v_add_co_ci_u32_e64 v7, s2, 0, v4, s2
	v_sub_co_u32 v8, s2, v1, s8
	v_sub_co_ci_u32_e32 v2, vcc_lo, v18, v2, vcc_lo
	v_subrev_co_ci_u32_e64 v5, s2, 0, v5, s2
	v_cmp_le_u32_e32 vcc_lo, s8, v8
	s_delay_alu instid0(VALU_DEP_3) | instskip(SKIP_1) | instid1(VALU_DEP_4)
	v_cmp_eq_u32_e64 s2, s9, v2
	v_cndmask_b32_e64 v8, 0, -1, vcc_lo
	v_cmp_le_u32_e32 vcc_lo, s9, v5
	v_cndmask_b32_e64 v9, 0, -1, vcc_lo
	v_cmp_le_u32_e32 vcc_lo, s8, v1
	;; [unrolled: 2-line block ×3, first 2 shown]
	v_cndmask_b32_e64 v10, 0, -1, vcc_lo
	v_cmp_eq_u32_e32 vcc_lo, s9, v5
	s_delay_alu instid0(VALU_DEP_2) | instskip(SKIP_3) | instid1(VALU_DEP_3)
	v_cndmask_b32_e64 v1, v10, v1, s2
	v_cndmask_b32_e32 v5, v9, v8, vcc_lo
	v_add_co_u32 v8, vcc_lo, v3, 1
	v_add_co_ci_u32_e32 v9, vcc_lo, 0, v4, vcc_lo
	v_cmp_ne_u32_e32 vcc_lo, 0, v5
	s_delay_alu instid0(VALU_DEP_2) | instskip(SKIP_1) | instid1(VALU_DEP_2)
	v_dual_cndmask_b32 v2, v9, v7 :: v_dual_cndmask_b32 v5, v8, v6
	v_cmp_ne_u32_e32 vcc_lo, 0, v1
	v_dual_cndmask_b32 v1, v4, v2 :: v_dual_cndmask_b32 v2, v3, v5
	s_delay_alu instid0(VALU_DEP_1) | instskip(NEXT) | instid1(VALU_DEP_2)
	v_xor_b32_e32 v1, s5, v1
	v_xor_b32_e32 v2, s4, v2
	s_delay_alu instid0(VALU_DEP_1) | instskip(NEXT) | instid1(VALU_DEP_3)
	v_sub_co_u32 v19, vcc_lo, v2, s4
	v_subrev_co_ci_u32_e32 v20, vcc_lo, s5, v1, vcc_lo
                                        ; implicit-def: $vgpr1_vgpr2
	s_and_not1_saveexec_b32 s2, s12
	s_cbranch_execz .LBB26_5
.LBB26_8:
	v_cvt_f32_u32_e32 v3, s10
	s_sub_i32 s4, 0, s10
	v_alignbit_b32 v1, v2, v1, 2
	v_mov_b32_e32 v20, 0
	s_delay_alu instid0(VALU_DEP_3) | instskip(SKIP_2) | instid1(VALU_DEP_1)
	v_rcp_iflag_f32_e32 v3, v3
	s_waitcnt_depctr 0xfff
	v_mul_f32_e32 v3, 0x4f7ffffe, v3
	v_cvt_u32_f32_e32 v3, v3
	s_delay_alu instid0(VALU_DEP_1) | instskip(NEXT) | instid1(VALU_DEP_1)
	v_mul_lo_u32 v4, s4, v3
	v_mul_hi_u32 v4, v3, v4
	s_delay_alu instid0(VALU_DEP_1) | instskip(NEXT) | instid1(VALU_DEP_1)
	v_add_nc_u32_e32 v2, v3, v4
	v_mul_hi_u32 v2, v1, v2
	s_delay_alu instid0(VALU_DEP_1) | instskip(NEXT) | instid1(VALU_DEP_1)
	v_mul_lo_u32 v3, v2, s10
	v_sub_nc_u32_e32 v1, v1, v3
	v_add_nc_u32_e32 v3, 1, v2
	s_delay_alu instid0(VALU_DEP_2) | instskip(SKIP_1) | instid1(VALU_DEP_2)
	v_subrev_nc_u32_e32 v4, s10, v1
	v_cmp_le_u32_e32 vcc_lo, s10, v1
	v_dual_cndmask_b32 v1, v1, v4 :: v_dual_cndmask_b32 v2, v2, v3
	s_delay_alu instid0(VALU_DEP_1) | instskip(NEXT) | instid1(VALU_DEP_2)
	v_cmp_le_u32_e32 vcc_lo, s10, v1
	v_add_nc_u32_e32 v3, 1, v2
	s_delay_alu instid0(VALU_DEP_1) | instskip(SKIP_1) | instid1(SALU_CYCLE_1)
	v_cndmask_b32_e32 v19, v2, v3, vcc_lo
	s_or_b32 exec_lo, exec_lo, s2
	s_mov_b32 s2, exec_lo
	s_delay_alu instid0(VALU_DEP_1)
	v_cmpx_gt_i64_e64 s[6:7], v[19:20]
	s_cbranch_execz .LBB26_6
.LBB26_9:
	s_ashr_i32 s2, s3, 31
	s_load_b64 s[4:5], s[0:1], 0x10
	v_mul_lo_u32 v5, v20, s10
	v_mul_lo_u32 v6, v19, s11
	v_mad_u64_u32 v[1:2], null, v19, s10, 0
	v_mul_lo_u32 v7, v20, s3
	v_mul_lo_u32 v8, v19, s2
	v_mad_u64_u32 v[3:4], null, v19, s3, 0
	v_and_b32_e32 v39, 3, v0
	s_mov_b32 s2, exec_lo
	v_add3_u32 v2, v2, v6, v5
	v_sub_co_u32 v28, vcc_lo, v17, v1
	s_delay_alu instid0(VALU_DEP_3) | instskip(SKIP_1) | instid1(VALU_DEP_4)
	v_lshlrev_b32_e32 v5, 6, v39
	v_add3_u32 v4, v4, v8, v7
	v_sub_co_ci_u32_e32 v29, vcc_lo, v18, v2, vcc_lo
	s_delay_alu instid0(VALU_DEP_4) | instskip(NEXT) | instid1(VALU_DEP_3)
	v_dual_mov_b32 v2, 0 :: v_dual_lshlrev_b32 v1, 7, v28
	v_lshlrev_b64 v[3:4], 1, v[3:4]
	s_delay_alu instid0(VALU_DEP_2) | instskip(SKIP_1) | instid1(VALU_DEP_2)
	v_lshlrev_b64 v[1:2], 1, v[1:2]
	s_waitcnt lgkmcnt(0)
	v_add_co_u32 v3, vcc_lo, s4, v3
	s_delay_alu instid0(VALU_DEP_3) | instskip(SKIP_1) | instid1(VALU_DEP_2)
	v_add_co_ci_u32_e32 v4, vcc_lo, s5, v4, vcc_lo
	s_load_b64 s[4:5], s[0:1], 0x0
	v_add_co_u32 v1, vcc_lo, v3, v1
	s_delay_alu instid0(VALU_DEP_2) | instskip(NEXT) | instid1(VALU_DEP_2)
	v_add_co_ci_u32_e32 v2, vcc_lo, v4, v2, vcc_lo
	v_add_co_u32 v1, vcc_lo, v1, v5
	s_delay_alu instid0(VALU_DEP_2)
	v_add_co_ci_u32_e32 v2, vcc_lo, 0, v2, vcc_lo
	s_clause 0x3
	global_load_b128 v[9:12], v[1:2], off
	global_load_b128 v[13:16], v[1:2], off offset:16
	global_load_b128 v[5:8], v[1:2], off offset:32
	;; [unrolled: 1-line block ×3, first 2 shown]
	s_waitcnt vmcnt(3)
	v_lshrrev_b32_e32 v30, 16, v9
	v_cvt_f32_f16_e64 v18, |v9|
	v_lshrrev_b32_e32 v31, 16, v10
	v_cvt_f32_f16_e64 v22, |v10|
	;; [unrolled: 2-line block ×4, first 2 shown]
	s_waitcnt vmcnt(2)
	v_lshrrev_b32_e32 v34, 16, v13
	v_cvt_f32_f16_e64 v24, |v32|
	v_max3_f32 v18, v18, 0x2edbe6ff, v21
	v_cvt_f32_f16_e64 v21, |v11|
	v_lshrrev_b32_e32 v35, 16, v14
	v_lshrrev_b32_e32 v36, 16, v15
	;; [unrolled: 1-line block ×3, first 2 shown]
	v_max3_f32 v18, v18, v22, v23
	v_cvt_f32_f16_e64 v22, |v12|
	v_cvt_f32_f16_e64 v23, |v33|
	;; [unrolled: 1-line block ×4, first 2 shown]
	v_max3_f32 v18, v18, v21, v24
	v_cvt_f32_f16_e64 v21, |v13|
	v_cvt_f32_f16_e64 v24, |v34|
	s_waitcnt vmcnt(1)
	v_cvt_f32_f16_e64 v38, |v7|
	v_max3_f32 v18, v18, v22, v23
	v_cvt_f32_f16_e64 v22, |v14|
	v_cvt_f32_f16_e64 v23, |v35|
	s_delay_alu instid0(VALU_DEP_3) | instskip(SKIP_2) | instid1(VALU_DEP_3)
	v_max3_f32 v18, v18, v21, v24
	v_cvt_f32_f16_e64 v24, |v15|
	v_lshrrev_b32_e32 v21, 16, v5
	v_max3_f32 v18, v18, v22, v23
	v_cvt_f32_f16_e64 v23, |v16|
	v_lshrrev_b32_e32 v22, 16, v6
	s_delay_alu instid0(VALU_DEP_4) | instskip(NEXT) | instid1(VALU_DEP_4)
	v_cvt_f32_f16_e64 v27, |v21|
	v_max3_f32 v18, v18, v24, v25
	v_cvt_f32_f16_e64 v25, |v5|
	v_lshrrev_b32_e32 v24, 16, v7
	s_delay_alu instid0(VALU_DEP_3) | instskip(SKIP_2) | instid1(VALU_DEP_4)
	v_max3_f32 v18, v18, v23, v26
	v_cvt_f32_f16_e64 v23, |v6|
	v_cvt_f32_f16_e64 v26, |v22|
	;; [unrolled: 1-line block ×3, first 2 shown]
	s_delay_alu instid0(VALU_DEP_4) | instskip(SKIP_3) | instid1(VALU_DEP_3)
	v_max3_f32 v18, v18, v25, v27
	v_lshrrev_b32_e32 v25, 16, v8
	s_waitcnt vmcnt(0)
	v_lshrrev_b32_e32 v27, 16, v1
	v_max3_f32 v18, v18, v23, v26
	v_cvt_f32_f16_e64 v26, |v8|
	v_cvt_f32_f16_e64 v41, |v25|
	v_lshrrev_b32_e32 v23, 16, v2
	s_delay_alu instid0(VALU_DEP_4) | instskip(SKIP_2) | instid1(VALU_DEP_4)
	v_max3_f32 v18, v18, v38, v40
	v_cvt_f32_f16_e64 v38, |v1|
	v_cvt_f32_f16_e64 v40, |v27|
	;; [unrolled: 1-line block ×3, first 2 shown]
	s_delay_alu instid0(VALU_DEP_4) | instskip(SKIP_2) | instid1(VALU_DEP_3)
	v_max3_f32 v18, v18, v26, v41
	v_cvt_f32_f16_e64 v41, |v2|
	v_lshrrev_b32_e32 v26, 16, v3
	v_max3_f32 v38, v18, v38, v40
	v_cvt_f32_f16_e64 v40, |v3|
	v_lshrrev_b32_e32 v18, 16, v4
	s_delay_alu instid0(VALU_DEP_4) | instskip(NEXT) | instid1(VALU_DEP_4)
	v_cvt_f32_f16_e64 v43, |v26|
	v_max3_f32 v38, v38, v41, v42
	v_cvt_f32_f16_e64 v41, |v4|
	s_delay_alu instid0(VALU_DEP_4) | instskip(NEXT) | instid1(VALU_DEP_3)
	v_cvt_f32_f16_e64 v42, |v18|
	v_max3_f32 v38, v38, v40, v43
	s_delay_alu instid0(VALU_DEP_1) | instskip(NEXT) | instid1(VALU_DEP_1)
	v_max3_f32 v38, v38, v41, v42
	v_mov_b32_dpp v40, v38 quad_perm:[1,0,3,2] row_mask:0xf bank_mask:0xf
	s_delay_alu instid0(VALU_DEP_1) | instskip(SKIP_1) | instid1(VALU_DEP_1)
	v_cmp_gt_f32_e32 vcc_lo, v38, v40
	v_cndmask_b32_e32 v38, v40, v38, vcc_lo
	v_mov_b32_dpp v40, v38 quad_perm:[2,3,0,1] row_mask:0xf bank_mask:0xf
	s_delay_alu instid0(VALU_DEP_1) | instskip(SKIP_1) | instid1(VALU_DEP_1)
	v_cmp_gt_f32_e32 vcc_lo, v38, v40
	v_cndmask_b32_e32 v38, v40, v38, vcc_lo
	v_mul_f32_e32 v38, 0x3b124925, v38
	v_cmpx_eq_u32_e32 0, v39
	s_cbranch_execz .LBB26_11
; %bb.10:
	s_load_b64 s[8:9], s[0:1], 0x8
	v_mul_lo_u32 v29, v29, s6
	v_mul_lo_u32 v41, v28, s7
	v_mad_u64_u32 v[39:40], null, v28, s6, 0
	v_lshlrev_b64 v[19:20], 2, v[19:20]
	s_delay_alu instid0(VALU_DEP_2) | instskip(NEXT) | instid1(VALU_DEP_1)
	v_add3_u32 v40, v40, v41, v29
	v_lshlrev_b64 v[28:29], 2, v[39:40]
	s_waitcnt lgkmcnt(0)
	s_delay_alu instid0(VALU_DEP_1) | instskip(NEXT) | instid1(VALU_DEP_2)
	v_add_co_u32 v28, vcc_lo, s8, v28
	v_add_co_ci_u32_e32 v29, vcc_lo, s9, v29, vcc_lo
	s_delay_alu instid0(VALU_DEP_2) | instskip(NEXT) | instid1(VALU_DEP_2)
	v_add_co_u32 v19, vcc_lo, v28, v19
	v_add_co_ci_u32_e32 v20, vcc_lo, v29, v20, vcc_lo
	global_store_b32 v[19:20], v38, off
.LBB26_11:
	s_or_b32 exec_lo, exec_lo, s2
	s_delay_alu instid0(VALU_DEP_2) | instskip(SKIP_2) | instid1(VALU_DEP_2)
	v_div_scale_f32 v19, null, v38, v38, 1.0
	v_div_scale_f32 v29, vcc_lo, 1.0, v38, 1.0
	s_load_b32 s6, s[0:1], 0x30
	v_rcp_f32_e32 v20, v19
	v_cvt_f32_f16_e32 v9, v9
	v_cvt_f32_f16_e32 v30, v30
	;; [unrolled: 1-line block ×9, first 2 shown]
	v_fma_f32 v28, -v19, v20, 1.0
	v_cvt_f32_f16_e32 v14, v14
	v_cvt_f32_f16_e32 v15, v15
	;; [unrolled: 1-line block ×3, first 2 shown]
	s_waitcnt lgkmcnt(0)
	s_and_b32 s5, s5, 0xffff
	v_dual_fmac_f32 v20, v28, v20 :: v_dual_lshlrev_b32 v17, 7, v17
	s_mov_b32 s7, -1
	v_cvt_f32_f16_e32 v6, v6
	v_cvt_f32_f16_e32 v7, v7
	s_delay_alu instid0(VALU_DEP_3)
	v_mul_f32_e32 v28, v29, v20
	v_cvt_f32_f16_e32 v8, v8
	v_cvt_f32_f16_e32 v2, v2
	;; [unrolled: 1-line block ×4, first 2 shown]
	v_fma_f32 v39, -v19, v28, v29
	s_delay_alu instid0(VALU_DEP_1) | instskip(NEXT) | instid1(VALU_DEP_1)
	v_fmac_f32_e32 v28, v39, v20
	v_fma_f32 v19, -v19, v28, v29
	v_cvt_f32_f16_e32 v29, v34
	v_cvt_f32_f16_e32 v34, v37
	s_delay_alu instid0(VALU_DEP_3) | instskip(SKIP_3) | instid1(VALU_DEP_4)
	v_div_fmas_f32 v19, v19, v20, v28
	v_cvt_f32_f16_e32 v20, v35
	v_mov_b32_e32 v35, 0xc3e00000
	v_cvt_f32_f16_e32 v28, v36
	v_div_fixup_f32 v19, v19, v38, 1.0
	v_lshlrev_b32_e32 v0, 5, v0
	s_delay_alu instid0(VALU_DEP_2) | instskip(NEXT) | instid1(VALU_DEP_2)
	v_dual_mov_b32 v36, 0x43e00000 :: v_dual_mul_f32 v11, v19, v11
	v_and_or_b32 v17, 0x60, v0, v17
	v_mul_f32_e32 v0, v19, v9
	v_mul_f32_e32 v9, v19, v30
	;; [unrolled: 1-line block ×7, first 2 shown]
	;;#ASMSTART
	v_med3_f32 v0, v0, v35, v36
v_med3_f32 v9, v9, v35, v36
v_cvt_pk_fp8_f32 v34, v0, v9
	;;#ASMEND
	v_mul_f32_e32 v12, v19, v12
	;;#ASMSTART
	v_med3_f32 v10, v10, v35, v36
v_med3_f32 v30, v30, v35, v36
v_cvt_pk_fp8_f32 v0, v10, v30
	;;#ASMEND
	v_mul_f32_e32 v13, v19, v13
	v_mul_f32_e32 v29, v19, v29
	;; [unrolled: 1-line block ×4, first 2 shown]
	;;#ASMSTART
	v_med3_f32 v11, v11, v35, v36
v_med3_f32 v31, v31, v35, v36
v_cvt_pk_fp8_f32 v9, v11, v31
	;;#ASMEND
	;;#ASMSTART
	v_med3_f32 v12, v12, v35, v36
v_med3_f32 v32, v32, v35, v36
v_cvt_pk_fp8_f32 v10, v12, v32
	;;#ASMEND
	;; [unrolled: 5-line block ×4, first 2 shown]
	v_perm_b32 v14, v0, v34, 0x5040100
	v_mul_f32_e32 v15, v19, v15
	v_mul_f32_e32 v28, v19, v28
	v_mul_f32_e32 v16, v19, v16
	;;#ASMSTART
	v_med3_f32 v15, v15, v35, v36
v_med3_f32 v28, v28, v35, v36
v_cvt_pk_fp8_f32 v13, v15, v28
	;;#ASMEND
	;;#ASMSTART
	v_med3_f32 v16, v16, v35, v36
v_med3_f32 v33, v33, v35, v36
v_cvt_pk_fp8_f32 v15, v16, v33
	;;#ASMEND
	v_perm_b32 v10, v9, v10, 0x1000504
	v_perm_b32 v11, v11, v12, 0x1000504
	;; [unrolled: 1-line block ×4, first 2 shown]
	v_cvt_f32_f16_e32 v0, v5
	v_cvt_f32_f16_e32 v5, v21
	v_cvt_f32_f16_e32 v13, v27
	v_cvt_f32_f16_e32 v14, v26
	buffer_store_b128 v[9:12], v17, s[4:7], 0 offen
	v_cvt_f32_f16_e32 v9, v22
	v_cvt_f32_f16_e32 v10, v24
	;; [unrolled: 1-line block ×3, first 2 shown]
	v_mul_f32_e32 v0, v19, v0
	v_mul_f32_e32 v1, v19, v5
	;;#ASMSTART
	s_nop 0
	;;#ASMEND
	v_mul_f32_e32 v5, v19, v6
	v_mul_f32_e32 v6, v19, v9
	;;#ASMSTART
	v_med3_f32 v0, v0, v35, v36
v_med3_f32 v1, v1, v35, v36
v_cvt_pk_fp8_f32 v15, v0, v1
	;;#ASMEND
	v_cvt_f32_f16_e32 v11, v25
	;;#ASMSTART
	v_med3_f32 v5, v5, v35, v36
v_med3_f32 v6, v6, v35, v36
v_cvt_pk_fp8_f32 v0, v5, v6
	;;#ASMEND
	v_perm_b32 v1, v0, v15, 0x5040100
	v_cvt_f32_f16_e32 v9, v23
	v_mul_f32_e32 v6, v19, v10
	v_cvt_f32_f16_e32 v10, v18
	v_mul_f32_e32 v5, v19, v7
	v_mul_f32_e32 v7, v19, v8
	v_mul_f32_e32 v8, v19, v11
	v_perm_b32 v0, v1, v0, 0x1060504
	;;#ASMSTART
	v_med3_f32 v5, v5, v35, v36
v_med3_f32 v6, v6, v35, v36
v_cvt_pk_fp8_f32 v1, v5, v6
	;;#ASMEND
	;;#ASMSTART
	v_med3_f32 v7, v7, v35, v36
v_med3_f32 v8, v8, v35, v36
v_cvt_pk_fp8_f32 v5, v7, v8
	;;#ASMEND
	v_perm_b32 v1, v1, v5, 0x1000504
	v_mul_f32_e32 v5, v19, v12
	v_mul_f32_e32 v6, v19, v13
	;; [unrolled: 1-line block ×5, first 2 shown]
	;;#ASMSTART
	v_med3_f32 v5, v5, v35, v36
v_med3_f32 v6, v6, v35, v36
v_cvt_pk_fp8_f32 v10, v5, v6
	;;#ASMEND
	v_mul_f32_e32 v3, v19, v3
	v_mul_f32_e32 v8, v19, v14
	;;#ASMSTART
	v_med3_f32 v2, v2, v35, v36
v_med3_f32 v7, v7, v35, v36
v_cvt_pk_fp8_f32 v5, v2, v7
	;;#ASMEND
	v_mul_f32_e32 v4, v19, v4
	v_perm_b32 v2, v10, v5, 0x1000504
	;;#ASMSTART
	v_med3_f32 v3, v3, v35, v36
v_med3_f32 v8, v8, v35, v36
v_cvt_pk_fp8_f32 v5, v3, v8
	;;#ASMEND
	;;#ASMSTART
	v_med3_f32 v4, v4, v35, v36
v_med3_f32 v9, v9, v35, v36
v_cvt_pk_fp8_f32 v3, v4, v9
	;;#ASMEND
	v_perm_b32 v3, v5, v3, 0x1000504
	buffer_store_b128 v[0:3], v17, s[4:7], 16 offen
	;;#ASMSTART
	s_nop 0
	;;#ASMEND
	s_nop 0
	s_sendmsg sendmsg(MSG_DEALLOC_VGPRS)
	s_endpgm
	.section	.rodata,"a",@progbits
	.p2align	6, 0x0
	.amdhsa_kernel _ZN5aiter37dynamic_per_group_scaled_quant_kernelIDF16_DB8_Li32ELi128ELb1ELi64ELb0EEEvPT0_PfPKT_PKfliilPKii
		.amdhsa_group_segment_fixed_size 0
		.amdhsa_private_segment_fixed_size 0
		.amdhsa_kernarg_size 68
		.amdhsa_user_sgpr_count 15
		.amdhsa_user_sgpr_dispatch_ptr 0
		.amdhsa_user_sgpr_queue_ptr 0
		.amdhsa_user_sgpr_kernarg_segment_ptr 1
		.amdhsa_user_sgpr_dispatch_id 0
		.amdhsa_user_sgpr_private_segment_size 0
		.amdhsa_wavefront_size32 1
		.amdhsa_uses_dynamic_stack 0
		.amdhsa_enable_private_segment 0
		.amdhsa_system_sgpr_workgroup_id_x 1
		.amdhsa_system_sgpr_workgroup_id_y 0
		.amdhsa_system_sgpr_workgroup_id_z 0
		.amdhsa_system_sgpr_workgroup_info 0
		.amdhsa_system_vgpr_workitem_id 0
		.amdhsa_next_free_vgpr 44
		.amdhsa_next_free_sgpr 16
		.amdhsa_reserve_vcc 1
		.amdhsa_float_round_mode_32 0
		.amdhsa_float_round_mode_16_64 0
		.amdhsa_float_denorm_mode_32 3
		.amdhsa_float_denorm_mode_16_64 3
		.amdhsa_dx10_clamp 1
		.amdhsa_ieee_mode 1
		.amdhsa_fp16_overflow 0
		.amdhsa_workgroup_processor_mode 1
		.amdhsa_memory_ordered 1
		.amdhsa_forward_progress 0
		.amdhsa_shared_vgpr_count 0
		.amdhsa_exception_fp_ieee_invalid_op 0
		.amdhsa_exception_fp_denorm_src 0
		.amdhsa_exception_fp_ieee_div_zero 0
		.amdhsa_exception_fp_ieee_overflow 0
		.amdhsa_exception_fp_ieee_underflow 0
		.amdhsa_exception_fp_ieee_inexact 0
		.amdhsa_exception_int_div_zero 0
	.end_amdhsa_kernel
	.section	.text._ZN5aiter37dynamic_per_group_scaled_quant_kernelIDF16_DB8_Li32ELi128ELb1ELi64ELb0EEEvPT0_PfPKT_PKfliilPKii,"axG",@progbits,_ZN5aiter37dynamic_per_group_scaled_quant_kernelIDF16_DB8_Li32ELi128ELb1ELi64ELb0EEEvPT0_PfPKT_PKfliilPKii,comdat
.Lfunc_end26:
	.size	_ZN5aiter37dynamic_per_group_scaled_quant_kernelIDF16_DB8_Li32ELi128ELb1ELi64ELb0EEEvPT0_PfPKT_PKfliilPKii, .Lfunc_end26-_ZN5aiter37dynamic_per_group_scaled_quant_kernelIDF16_DB8_Li32ELi128ELb1ELi64ELb0EEEvPT0_PfPKT_PKfliilPKii
                                        ; -- End function
	.section	.AMDGPU.csdata,"",@progbits
; Kernel info:
; codeLenInByte = 3612
; NumSgprs: 18
; NumVgprs: 44
; ScratchSize: 0
; MemoryBound: 0
; FloatMode: 240
; IeeeMode: 1
; LDSByteSize: 0 bytes/workgroup (compile time only)
; SGPRBlocks: 2
; VGPRBlocks: 5
; NumSGPRsForWavesPerEU: 18
; NumVGPRsForWavesPerEU: 44
; Occupancy: 16
; WaveLimiterHint : 0
; COMPUTE_PGM_RSRC2:SCRATCH_EN: 0
; COMPUTE_PGM_RSRC2:USER_SGPR: 15
; COMPUTE_PGM_RSRC2:TRAP_HANDLER: 0
; COMPUTE_PGM_RSRC2:TGID_X_EN: 1
; COMPUTE_PGM_RSRC2:TGID_Y_EN: 0
; COMPUTE_PGM_RSRC2:TGID_Z_EN: 0
; COMPUTE_PGM_RSRC2:TIDIG_COMP_CNT: 0
	.section	.text._ZN5aiter37dynamic_per_group_scaled_quant_kernelItDB8_Li32ELi128ELb1ELi64ELb0EEEvPT0_PfPKT_PKfliilPKii,"axG",@progbits,_ZN5aiter37dynamic_per_group_scaled_quant_kernelItDB8_Li32ELi128ELb1ELi64ELb0EEEvPT0_PfPKT_PKfliilPKii,comdat
	.protected	_ZN5aiter37dynamic_per_group_scaled_quant_kernelItDB8_Li32ELi128ELb1ELi64ELb0EEEvPT0_PfPKT_PKfliilPKii ; -- Begin function _ZN5aiter37dynamic_per_group_scaled_quant_kernelItDB8_Li32ELi128ELb1ELi64ELb0EEEvPT0_PfPKT_PKfliilPKii
	.globl	_ZN5aiter37dynamic_per_group_scaled_quant_kernelItDB8_Li32ELi128ELb1ELi64ELb0EEEvPT0_PfPKT_PKfliilPKii
	.p2align	8
	.type	_ZN5aiter37dynamic_per_group_scaled_quant_kernelItDB8_Li32ELi128ELb1ELi64ELb0EEEvPT0_PfPKT_PKfliilPKii,@function
_ZN5aiter37dynamic_per_group_scaled_quant_kernelItDB8_Li32ELi128ELb1ELi64ELb0EEEvPT0_PfPKT_PKfliilPKii: ; @_ZN5aiter37dynamic_per_group_scaled_quant_kernelItDB8_Li32ELi128ELb1ELi64ELb0EEEvPT0_PfPKT_PKfliilPKii
; %bb.0:
	s_load_b64 s[2:3], s[0:1], 0x38
	s_mov_b32 s4, s15
	s_waitcnt lgkmcnt(0)
	s_cmp_eq_u64 s[2:3], 0
	s_cbranch_scc1 .LBB27_2
; %bb.1:
	s_load_b32 s5, s[0:1], 0x40
	s_load_b32 s2, s[2:3], 0x0
	s_waitcnt lgkmcnt(0)
	s_mul_hi_i32 s7, s2, s5
	s_mul_i32 s6, s2, s5
	s_branch .LBB27_3
.LBB27_2:
	s_load_b64 s[6:7], s[0:1], 0x20
.LBB27_3:
	s_load_b64 s[2:3], s[0:1], 0x28
	s_mov_b32 s5, 0
	v_mov_b32_e32 v3, 0
	s_lshl_b64 s[4:5], s[4:5], 6
	s_delay_alu instid0(SALU_CYCLE_1) | instskip(SKIP_1) | instid1(VALU_DEP_1)
	v_or_b32_e32 v5, s4, v0
	v_mov_b32_e32 v6, s5
	v_lshrrev_b64 v[1:2], 2, v[5:6]
	s_waitcnt lgkmcnt(0)
	s_ashr_i32 s4, s2, 31
	s_delay_alu instid0(SALU_CYCLE_1) | instskip(NEXT) | instid1(SALU_CYCLE_1)
	s_lshr_b32 s4, s4, 25
	s_add_i32 s2, s2, s4
	s_delay_alu instid0(SALU_CYCLE_1) | instskip(NEXT) | instid1(SALU_CYCLE_1)
	s_ashr_i32 s10, s2, 7
	s_ashr_i32 s11, s10, 31
	s_delay_alu instid0(SALU_CYCLE_1) | instskip(NEXT) | instid1(VALU_DEP_1)
	v_or_b32_e32 v4, s11, v2
	v_cmp_ne_u64_e32 vcc_lo, 0, v[3:4]
                                        ; implicit-def: $vgpr3_vgpr4
	s_and_saveexec_b32 s2, vcc_lo
	s_delay_alu instid0(SALU_CYCLE_1)
	s_xor_b32 s12, exec_lo, s2
	s_cbranch_execnz .LBB27_7
; %bb.4:
	s_and_not1_saveexec_b32 s2, s12
	s_cbranch_execnz .LBB27_8
.LBB27_5:
	s_or_b32 exec_lo, exec_lo, s2
	s_delay_alu instid0(SALU_CYCLE_1)
	s_mov_b32 s2, exec_lo
	v_cmpx_gt_i64_e64 s[6:7], v[3:4]
	s_cbranch_execnz .LBB27_9
.LBB27_6:
	s_endpgm
.LBB27_7:
	s_add_u32 s8, s10, s11
	s_mov_b32 s4, s11
	s_mov_b32 s5, s11
	s_addc_u32 s9, s11, s11
	s_delay_alu instid0(SALU_CYCLE_1) | instskip(NEXT) | instid1(SALU_CYCLE_1)
	s_xor_b64 s[8:9], s[8:9], s[4:5]
	v_cvt_f32_u32_e32 v3, s8
	v_cvt_f32_u32_e32 v4, s9
	s_sub_u32 s2, 0, s8
	s_subb_u32 s13, 0, s9
	s_delay_alu instid0(VALU_DEP_1) | instskip(NEXT) | instid1(VALU_DEP_1)
	v_fmamk_f32 v3, v4, 0x4f800000, v3
	v_rcp_f32_e32 v3, v3
	s_waitcnt_depctr 0xfff
	v_mul_f32_e32 v3, 0x5f7ffffc, v3
	s_delay_alu instid0(VALU_DEP_1) | instskip(NEXT) | instid1(VALU_DEP_1)
	v_mul_f32_e32 v4, 0x2f800000, v3
	v_trunc_f32_e32 v4, v4
	s_delay_alu instid0(VALU_DEP_1) | instskip(SKIP_1) | instid1(VALU_DEP_2)
	v_fmamk_f32 v3, v4, 0xcf800000, v3
	v_cvt_u32_f32_e32 v4, v4
	v_cvt_u32_f32_e32 v3, v3
	s_delay_alu instid0(VALU_DEP_2) | instskip(NEXT) | instid1(VALU_DEP_2)
	v_mul_lo_u32 v5, s2, v4
	v_mul_hi_u32 v6, s2, v3
	v_mul_lo_u32 v7, s13, v3
	s_delay_alu instid0(VALU_DEP_2) | instskip(SKIP_1) | instid1(VALU_DEP_2)
	v_add_nc_u32_e32 v5, v6, v5
	v_mul_lo_u32 v6, s2, v3
	v_add_nc_u32_e32 v5, v5, v7
	s_delay_alu instid0(VALU_DEP_2) | instskip(NEXT) | instid1(VALU_DEP_2)
	v_mul_hi_u32 v7, v3, v6
	v_mul_lo_u32 v8, v3, v5
	v_mul_hi_u32 v9, v3, v5
	v_mul_hi_u32 v10, v4, v6
	v_mul_lo_u32 v6, v4, v6
	v_mul_hi_u32 v11, v4, v5
	v_mul_lo_u32 v5, v4, v5
	v_add_co_u32 v7, vcc_lo, v7, v8
	v_add_co_ci_u32_e32 v8, vcc_lo, 0, v9, vcc_lo
	s_delay_alu instid0(VALU_DEP_2) | instskip(NEXT) | instid1(VALU_DEP_2)
	v_add_co_u32 v6, vcc_lo, v7, v6
	v_add_co_ci_u32_e32 v6, vcc_lo, v8, v10, vcc_lo
	v_add_co_ci_u32_e32 v7, vcc_lo, 0, v11, vcc_lo
	s_delay_alu instid0(VALU_DEP_2) | instskip(NEXT) | instid1(VALU_DEP_2)
	v_add_co_u32 v5, vcc_lo, v6, v5
	v_add_co_ci_u32_e32 v6, vcc_lo, 0, v7, vcc_lo
	s_delay_alu instid0(VALU_DEP_2) | instskip(NEXT) | instid1(VALU_DEP_2)
	v_add_co_u32 v3, vcc_lo, v3, v5
	v_add_co_ci_u32_e32 v4, vcc_lo, v4, v6, vcc_lo
	s_delay_alu instid0(VALU_DEP_2) | instskip(SKIP_1) | instid1(VALU_DEP_3)
	v_mul_hi_u32 v5, s2, v3
	v_mul_lo_u32 v7, s13, v3
	v_mul_lo_u32 v6, s2, v4
	s_delay_alu instid0(VALU_DEP_1) | instskip(SKIP_1) | instid1(VALU_DEP_2)
	v_add_nc_u32_e32 v5, v5, v6
	v_mul_lo_u32 v6, s2, v3
	v_add_nc_u32_e32 v5, v5, v7
	s_delay_alu instid0(VALU_DEP_2) | instskip(NEXT) | instid1(VALU_DEP_2)
	v_mul_hi_u32 v7, v3, v6
	v_mul_lo_u32 v8, v3, v5
	v_mul_hi_u32 v9, v3, v5
	v_mul_hi_u32 v10, v4, v6
	v_mul_lo_u32 v6, v4, v6
	v_mul_hi_u32 v11, v4, v5
	v_mul_lo_u32 v5, v4, v5
	v_add_co_u32 v7, vcc_lo, v7, v8
	v_add_co_ci_u32_e32 v8, vcc_lo, 0, v9, vcc_lo
	s_delay_alu instid0(VALU_DEP_2) | instskip(NEXT) | instid1(VALU_DEP_2)
	v_add_co_u32 v6, vcc_lo, v7, v6
	v_add_co_ci_u32_e32 v6, vcc_lo, v8, v10, vcc_lo
	v_add_co_ci_u32_e32 v7, vcc_lo, 0, v11, vcc_lo
	s_delay_alu instid0(VALU_DEP_2) | instskip(NEXT) | instid1(VALU_DEP_2)
	v_add_co_u32 v5, vcc_lo, v6, v5
	v_add_co_ci_u32_e32 v6, vcc_lo, 0, v7, vcc_lo
	s_delay_alu instid0(VALU_DEP_2) | instskip(NEXT) | instid1(VALU_DEP_2)
	v_add_co_u32 v7, vcc_lo, v3, v5
	v_add_co_ci_u32_e32 v9, vcc_lo, v4, v6, vcc_lo
	s_delay_alu instid0(VALU_DEP_2) | instskip(SKIP_1) | instid1(VALU_DEP_3)
	v_mul_hi_u32 v10, v1, v7
	v_mad_u64_u32 v[5:6], null, v2, v7, 0
	v_mad_u64_u32 v[3:4], null, v1, v9, 0
	;; [unrolled: 1-line block ×3, first 2 shown]
	s_delay_alu instid0(VALU_DEP_2) | instskip(NEXT) | instid1(VALU_DEP_3)
	v_add_co_u32 v3, vcc_lo, v10, v3
	v_add_co_ci_u32_e32 v4, vcc_lo, 0, v4, vcc_lo
	s_delay_alu instid0(VALU_DEP_2) | instskip(NEXT) | instid1(VALU_DEP_2)
	v_add_co_u32 v3, vcc_lo, v3, v5
	v_add_co_ci_u32_e32 v3, vcc_lo, v4, v6, vcc_lo
	v_add_co_ci_u32_e32 v4, vcc_lo, 0, v8, vcc_lo
	s_delay_alu instid0(VALU_DEP_2) | instskip(NEXT) | instid1(VALU_DEP_2)
	v_add_co_u32 v5, vcc_lo, v3, v7
	v_add_co_ci_u32_e32 v6, vcc_lo, 0, v4, vcc_lo
	s_delay_alu instid0(VALU_DEP_2) | instskip(SKIP_1) | instid1(VALU_DEP_3)
	v_mul_lo_u32 v7, s9, v5
	v_mad_u64_u32 v[3:4], null, s8, v5, 0
	v_mul_lo_u32 v8, s8, v6
	s_delay_alu instid0(VALU_DEP_2) | instskip(NEXT) | instid1(VALU_DEP_2)
	v_sub_co_u32 v3, vcc_lo, v1, v3
	v_add3_u32 v4, v4, v8, v7
	s_delay_alu instid0(VALU_DEP_1) | instskip(NEXT) | instid1(VALU_DEP_1)
	v_sub_nc_u32_e32 v7, v2, v4
	v_subrev_co_ci_u32_e64 v7, s2, s9, v7, vcc_lo
	v_add_co_u32 v8, s2, v5, 2
	s_delay_alu instid0(VALU_DEP_1) | instskip(SKIP_3) | instid1(VALU_DEP_3)
	v_add_co_ci_u32_e64 v9, s2, 0, v6, s2
	v_sub_co_u32 v10, s2, v3, s8
	v_sub_co_ci_u32_e32 v4, vcc_lo, v2, v4, vcc_lo
	v_subrev_co_ci_u32_e64 v7, s2, 0, v7, s2
	v_cmp_le_u32_e32 vcc_lo, s8, v10
	s_delay_alu instid0(VALU_DEP_3) | instskip(SKIP_1) | instid1(VALU_DEP_4)
	v_cmp_eq_u32_e64 s2, s9, v4
	v_cndmask_b32_e64 v10, 0, -1, vcc_lo
	v_cmp_le_u32_e32 vcc_lo, s9, v7
	v_cndmask_b32_e64 v11, 0, -1, vcc_lo
	v_cmp_le_u32_e32 vcc_lo, s8, v3
	;; [unrolled: 2-line block ×3, first 2 shown]
	v_cndmask_b32_e64 v12, 0, -1, vcc_lo
	v_cmp_eq_u32_e32 vcc_lo, s9, v7
	s_delay_alu instid0(VALU_DEP_2) | instskip(SKIP_3) | instid1(VALU_DEP_3)
	v_cndmask_b32_e64 v3, v12, v3, s2
	v_cndmask_b32_e32 v7, v11, v10, vcc_lo
	v_add_co_u32 v10, vcc_lo, v5, 1
	v_add_co_ci_u32_e32 v11, vcc_lo, 0, v6, vcc_lo
	v_cmp_ne_u32_e32 vcc_lo, 0, v7
	s_delay_alu instid0(VALU_DEP_2) | instskip(SKIP_1) | instid1(VALU_DEP_2)
	v_dual_cndmask_b32 v4, v11, v9 :: v_dual_cndmask_b32 v7, v10, v8
	v_cmp_ne_u32_e32 vcc_lo, 0, v3
	v_dual_cndmask_b32 v3, v6, v4 :: v_dual_cndmask_b32 v4, v5, v7
	s_delay_alu instid0(VALU_DEP_1) | instskip(NEXT) | instid1(VALU_DEP_2)
	v_xor_b32_e32 v5, s5, v3
	v_xor_b32_e32 v4, s4, v4
	s_delay_alu instid0(VALU_DEP_1) | instskip(NEXT) | instid1(VALU_DEP_3)
	v_sub_co_u32 v3, vcc_lo, v4, s4
	v_subrev_co_ci_u32_e32 v4, vcc_lo, s5, v5, vcc_lo
                                        ; implicit-def: $vgpr5_vgpr6
	s_and_not1_saveexec_b32 s2, s12
	s_cbranch_execz .LBB27_5
.LBB27_8:
	v_cvt_f32_u32_e32 v3, s10
	s_sub_i32 s4, 0, s10
	v_alignbit_b32 v5, v6, v5, 2
	s_delay_alu instid0(VALU_DEP_2) | instskip(SKIP_2) | instid1(VALU_DEP_1)
	v_rcp_iflag_f32_e32 v3, v3
	s_waitcnt_depctr 0xfff
	v_mul_f32_e32 v3, 0x4f7ffffe, v3
	v_cvt_u32_f32_e32 v3, v3
	s_delay_alu instid0(VALU_DEP_1) | instskip(NEXT) | instid1(VALU_DEP_1)
	v_mul_lo_u32 v4, s4, v3
	v_mul_hi_u32 v4, v3, v4
	s_delay_alu instid0(VALU_DEP_1) | instskip(NEXT) | instid1(VALU_DEP_1)
	v_add_nc_u32_e32 v3, v3, v4
	v_mul_hi_u32 v3, v5, v3
	s_delay_alu instid0(VALU_DEP_1) | instskip(NEXT) | instid1(VALU_DEP_1)
	v_mul_lo_u32 v4, v3, s10
	v_sub_nc_u32_e32 v4, v5, v4
	v_add_nc_u32_e32 v5, 1, v3
	s_delay_alu instid0(VALU_DEP_2) | instskip(SKIP_1) | instid1(VALU_DEP_2)
	v_subrev_nc_u32_e32 v6, s10, v4
	v_cmp_le_u32_e32 vcc_lo, s10, v4
	v_dual_cndmask_b32 v4, v4, v6 :: v_dual_cndmask_b32 v3, v3, v5
	s_delay_alu instid0(VALU_DEP_1) | instskip(NEXT) | instid1(VALU_DEP_2)
	v_cmp_le_u32_e32 vcc_lo, s10, v4
	v_dual_mov_b32 v4, 0 :: v_dual_add_nc_u32 v5, 1, v3
	s_delay_alu instid0(VALU_DEP_1) | instskip(SKIP_1) | instid1(SALU_CYCLE_1)
	v_cndmask_b32_e32 v3, v3, v5, vcc_lo
	s_or_b32 exec_lo, exec_lo, s2
	s_mov_b32 s2, exec_lo
	s_delay_alu instid0(VALU_DEP_1)
	v_cmpx_gt_i64_e64 s[6:7], v[3:4]
	s_cbranch_execz .LBB27_6
.LBB27_9:
	s_ashr_i32 s2, s3, 31
	s_load_b64 s[4:5], s[0:1], 0x10
	v_mul_lo_u32 v9, v4, s10
	v_mul_lo_u32 v10, v3, s11
	v_mad_u64_u32 v[5:6], null, v3, s10, 0
	v_mul_lo_u32 v11, v4, s3
	v_mul_lo_u32 v12, v3, s2
	v_mad_u64_u32 v[7:8], null, v3, s3, 0
	v_and_b32_e32 v42, 3, v0
	s_mov_b32 s2, exec_lo
	v_add3_u32 v6, v6, v10, v9
	v_sub_co_u32 v5, vcc_lo, v1, v5
	v_mov_b32_e32 v10, 0
	v_add3_u32 v8, v8, v12, v11
	s_delay_alu instid0(VALU_DEP_4) | instskip(NEXT) | instid1(VALU_DEP_4)
	v_sub_co_ci_u32_e32 v2, vcc_lo, v2, v6, vcc_lo
	v_lshlrev_b32_e32 v9, 7, v5
	s_delay_alu instid0(VALU_DEP_3) | instskip(NEXT) | instid1(VALU_DEP_2)
	v_lshlrev_b64 v[6:7], 1, v[7:8]
	v_lshlrev_b64 v[8:9], 1, v[9:10]
	v_lshlrev_b32_e32 v10, 6, v42
	s_waitcnt lgkmcnt(0)
	s_delay_alu instid0(VALU_DEP_3) | instskip(NEXT) | instid1(VALU_DEP_4)
	v_add_co_u32 v6, vcc_lo, s4, v6
	v_add_co_ci_u32_e32 v7, vcc_lo, s5, v7, vcc_lo
	s_load_b64 s[4:5], s[0:1], 0x0
	s_delay_alu instid0(VALU_DEP_2) | instskip(NEXT) | instid1(VALU_DEP_2)
	v_add_co_u32 v6, vcc_lo, v6, v8
	v_add_co_ci_u32_e32 v7, vcc_lo, v7, v9, vcc_lo
	s_delay_alu instid0(VALU_DEP_2) | instskip(NEXT) | instid1(VALU_DEP_2)
	v_add_co_u32 v14, vcc_lo, v6, v10
	v_add_co_ci_u32_e32 v15, vcc_lo, 0, v7, vcc_lo
	s_clause 0x3
	global_load_b128 v[6:9], v[14:15], off
	global_load_b128 v[10:13], v[14:15], off offset:16
	global_load_b128 v[17:20], v[14:15], off offset:32
	;; [unrolled: 1-line block ×3, first 2 shown]
	s_waitcnt vmcnt(3)
	v_and_b32_e32 v14, 0xffff, v6
	v_lshrrev_b32_e32 v6, 16, v6
	v_and_b32_e32 v15, 0xffff, v7
	v_lshrrev_b32_e32 v7, 16, v7
	s_delay_alu instid0(VALU_DEP_4) | instskip(NEXT) | instid1(VALU_DEP_4)
	v_cvt_f32_u32_e32 v36, v14
	v_cvt_f32_u32_e32 v37, v6
	v_and_b32_e32 v6, 0xffff, v8
	v_lshrrev_b32_e32 v8, 16, v8
	v_cvt_f32_u32_e32 v34, v15
	v_cvt_f32_u32_e32 v35, v7
	v_max3_f32 v7, v36, 0x2edbe6ff, v37
	v_and_b32_e32 v14, 0xffff, v9
	v_lshrrev_b32_e32 v9, 16, v9
	v_cvt_f32_u32_e32 v30, v6
	v_cvt_f32_u32_e32 v31, v8
	v_max3_f32 v6, v7, v34, v35
	s_waitcnt vmcnt(2)
	v_and_b32_e32 v7, 0xffff, v10
	v_lshrrev_b32_e32 v8, 16, v10
	v_cvt_f32_u32_e32 v32, v14
	v_cvt_f32_u32_e32 v33, v9
	v_max3_f32 v6, v6, v30, v31
	v_and_b32_e32 v9, 0xffff, v11
	v_lshrrev_b32_e32 v10, 16, v11
	v_cvt_f32_u32_e32 v26, v7
	v_cvt_f32_u32_e32 v27, v8
	v_max3_f32 v6, v6, v32, v33
	v_and_b32_e32 v7, 0xffff, v12
	v_lshrrev_b32_e32 v8, 16, v12
	v_cvt_f32_u32_e32 v28, v9
	v_cvt_f32_u32_e32 v29, v10
	v_max3_f32 v6, v6, v26, v27
	v_and_b32_e32 v9, 0xffff, v13
	v_lshrrev_b32_e32 v10, 16, v13
	v_cvt_f32_u32_e32 v22, v7
	v_cvt_f32_u32_e32 v23, v8
	v_max3_f32 v6, v6, v28, v29
	s_waitcnt vmcnt(1)
	v_and_b32_e32 v7, 0xffff, v17
	v_lshrrev_b32_e32 v8, 16, v17
	v_cvt_f32_u32_e32 v24, v9
	v_cvt_f32_u32_e32 v25, v10
	v_max3_f32 v6, v6, v22, v23
	v_and_b32_e32 v9, 0xffff, v18
	v_lshrrev_b32_e32 v10, 16, v18
	v_cvt_f32_u32_e32 v16, v7
	v_cvt_f32_u32_e32 v17, v8
	v_max3_f32 v6, v6, v24, v25
	v_and_b32_e32 v7, 0xffff, v19
	v_lshrrev_b32_e32 v8, 16, v19
	v_cvt_f32_u32_e32 v18, v9
	v_cvt_f32_u32_e32 v19, v10
	v_max3_f32 v6, v6, v16, v17
	v_and_b32_e32 v9, 0xffff, v20
	v_lshrrev_b32_e32 v10, 16, v20
	v_cvt_f32_u32_e32 v12, v7
	v_cvt_f32_u32_e32 v13, v8
	v_max3_f32 v6, v6, v18, v19
	s_waitcnt vmcnt(0)
	v_and_b32_e32 v7, 0xffff, v38
	v_lshrrev_b32_e32 v8, 16, v38
	v_cvt_f32_u32_e32 v14, v9
	v_cvt_f32_u32_e32 v15, v10
	v_max3_f32 v6, v6, v12, v13
	v_and_b32_e32 v9, 0xffff, v39
	v_lshrrev_b32_e32 v10, 16, v39
	v_cvt_f32_u32_e32 v20, v7
	v_cvt_f32_u32_e32 v21, v8
	v_max3_f32 v6, v6, v14, v15
	v_and_b32_e32 v7, 0xffff, v40
	v_lshrrev_b32_e32 v11, 16, v40
	v_cvt_f32_u32_e32 v8, v9
	v_cvt_f32_u32_e32 v9, v10
	v_max3_f32 v6, v6, v20, v21
	v_and_b32_e32 v38, 0xffff, v41
	v_lshrrev_b32_e32 v39, 16, v41
	v_cvt_f32_u32_e32 v10, v7
	v_cvt_f32_u32_e32 v11, v11
	v_max3_f32 v40, v6, v8, v9
	v_cvt_f32_u32_e32 v6, v38
	v_cvt_f32_u32_e32 v7, v39
	s_delay_alu instid0(VALU_DEP_3) | instskip(NEXT) | instid1(VALU_DEP_1)
	v_max3_f32 v38, v40, v10, v11
	v_max3_f32 v38, v38, v6, v7
	s_delay_alu instid0(VALU_DEP_1) | instskip(NEXT) | instid1(VALU_DEP_1)
	v_mov_b32_dpp v39, v38 quad_perm:[1,0,3,2] row_mask:0xf bank_mask:0xf
	v_cmp_gt_f32_e32 vcc_lo, v38, v39
	v_cndmask_b32_e32 v38, v39, v38, vcc_lo
	s_delay_alu instid0(VALU_DEP_1) | instskip(NEXT) | instid1(VALU_DEP_1)
	v_mov_b32_dpp v39, v38 quad_perm:[2,3,0,1] row_mask:0xf bank_mask:0xf
	v_cmp_gt_f32_e32 vcc_lo, v38, v39
	v_cndmask_b32_e32 v38, v39, v38, vcc_lo
	s_delay_alu instid0(VALU_DEP_1)
	v_mul_f32_e32 v38, 0x3b124925, v38
	v_cmpx_eq_u32_e32 0, v42
	s_cbranch_execz .LBB27_11
; %bb.10:
	s_load_b64 s[8:9], s[0:1], 0x8
	v_mul_lo_u32 v2, v2, s6
	v_mul_lo_u32 v41, v5, s7
	v_mad_u64_u32 v[39:40], null, v5, s6, 0
	s_delay_alu instid0(VALU_DEP_1) | instskip(SKIP_1) | instid1(VALU_DEP_2)
	v_add3_u32 v40, v40, v41, v2
	v_lshlrev_b64 v[2:3], 2, v[3:4]
	v_lshlrev_b64 v[39:40], 2, v[39:40]
	s_waitcnt lgkmcnt(0)
	s_delay_alu instid0(VALU_DEP_1) | instskip(NEXT) | instid1(VALU_DEP_2)
	v_add_co_u32 v4, vcc_lo, s8, v39
	v_add_co_ci_u32_e32 v5, vcc_lo, s9, v40, vcc_lo
	s_delay_alu instid0(VALU_DEP_2) | instskip(NEXT) | instid1(VALU_DEP_2)
	v_add_co_u32 v2, vcc_lo, v4, v2
	v_add_co_ci_u32_e32 v3, vcc_lo, v5, v3, vcc_lo
	global_store_b32 v[2:3], v38, off
.LBB27_11:
	s_or_b32 exec_lo, exec_lo, s2
	s_delay_alu instid0(VALU_DEP_2) | instskip(SKIP_2) | instid1(VALU_DEP_2)
	v_div_scale_f32 v2, null, v38, v38, 1.0
	v_div_scale_f32 v5, vcc_lo, 1.0, v38, 1.0
	s_load_b32 s6, s[0:1], 0x30
	v_rcp_f32_e32 v3, v2
	s_waitcnt lgkmcnt(0)
	s_and_b32 s5, s5, 0xffff
	s_mov_b32 s7, -1
	v_lshlrev_b32_e32 v0, 5, v0
	v_lshlrev_b32_e32 v1, 7, v1
	s_waitcnt_depctr 0xfff
	v_fma_f32 v4, -v2, v3, 1.0
	s_delay_alu instid0(VALU_DEP_1) | instskip(NEXT) | instid1(VALU_DEP_1)
	v_fmac_f32_e32 v3, v4, v3
	v_mul_f32_e32 v4, v5, v3
	s_delay_alu instid0(VALU_DEP_1) | instskip(NEXT) | instid1(VALU_DEP_1)
	v_fma_f32 v39, -v2, v4, v5
	v_fmac_f32_e32 v4, v39, v3
	v_and_or_b32 v39, 0x60, v0, v1
	s_delay_alu instid0(VALU_DEP_2) | instskip(SKIP_1) | instid1(VALU_DEP_2)
	v_fma_f32 v2, -v2, v4, v5
	v_mov_b32_e32 v5, 0xc3e00000
	v_div_fmas_f32 v2, v2, v3, v4
	s_delay_alu instid0(VALU_DEP_1) | instskip(NEXT) | instid1(VALU_DEP_1)
	v_div_fixup_f32 v4, v2, v38, 1.0
	v_dual_mov_b32 v38, 0x43e00000 :: v_dual_mul_f32 v1, v4, v37
	v_mul_f32_e32 v0, v4, v36
	v_mul_f32_e32 v2, v4, v34
	v_mul_f32_e32 v3, v4, v35
	;;#ASMSTART
	v_med3_f32 v0, v0, v5, v38
v_med3_f32 v1, v1, v5, v38
v_cvt_pk_fp8_f32 v34, v0, v1
	;;#ASMEND
	v_mul_f32_e32 v30, v4, v30
	v_mul_f32_e32 v31, v4, v31
	;; [unrolled: 1-line block ×6, first 2 shown]
	;;#ASMSTART
	v_med3_f32 v2, v2, v5, v38
v_med3_f32 v3, v3, v5, v38
v_cvt_pk_fp8_f32 v0, v2, v3
	;;#ASMEND
	v_mul_f32_e32 v28, v4, v28
	v_mul_f32_e32 v29, v4, v29
	v_mul_f32_e32 v22, v4, v22
	v_mul_f32_e32 v23, v4, v23
	;;#ASMSTART
	v_med3_f32 v30, v30, v5, v38
v_med3_f32 v31, v31, v5, v38
v_cvt_pk_fp8_f32 v1, v30, v31
	;;#ASMEND
	;;#ASMSTART
	v_med3_f32 v32, v32, v5, v38
v_med3_f32 v33, v33, v5, v38
v_cvt_pk_fp8_f32 v2, v32, v33
	;;#ASMEND
	;; [unrolled: 5-line block ×5, first 2 shown]
	v_perm_b32 v22, v0, v34, 0x5040100
	v_mul_f32_e32 v24, v4, v24
	v_mul_f32_e32 v25, v4, v25
	;;#ASMSTART
	v_med3_f32 v24, v24, v5, v38
v_med3_f32 v25, v25, v5, v38
v_cvt_pk_fp8_f32 v23, v24, v25
	;;#ASMEND
	v_perm_b32 v1, v1, v2, 0x1000504
	v_perm_b32 v2, v3, v26, 0x1000504
	;; [unrolled: 1-line block ×4, first 2 shown]
	v_mul_f32_e32 v16, v4, v16
	v_mul_f32_e32 v17, v4, v17
	;; [unrolled: 1-line block ×4, first 2 shown]
	buffer_store_b128 v[0:3], v39, s[4:7], 0 offen
	;;#ASMSTART
	s_nop 0
	;;#ASMEND
	;;#ASMSTART
	v_med3_f32 v16, v16, v5, v38
v_med3_f32 v17, v17, v5, v38
v_cvt_pk_fp8_f32 v0, v16, v17
	;;#ASMEND
	;;#ASMSTART
	v_med3_f32 v18, v18, v5, v38
v_med3_f32 v19, v19, v5, v38
v_cvt_pk_fp8_f32 v16, v18, v19
	;;#ASMEND
	v_perm_b32 v0, v16, v0, 0x5040100
	v_mul_f32_e32 v12, v4, v12
	v_mul_f32_e32 v13, v4, v13
	;; [unrolled: 1-line block ×8, first 2 shown]
	;;#ASMSTART
	v_med3_f32 v12, v12, v5, v38
v_med3_f32 v13, v13, v5, v38
v_cvt_pk_fp8_f32 v1, v12, v13
	;;#ASMEND
	;;#ASMSTART
	v_med3_f32 v14, v14, v5, v38
v_med3_f32 v15, v15, v5, v38
v_cvt_pk_fp8_f32 v2, v14, v15
	;;#ASMEND
	v_mul_f32_e32 v10, v4, v10
	v_mul_f32_e32 v11, v4, v11
	v_perm_b32 v1, v1, v2, 0x1000504
	v_mul_f32_e32 v3, v4, v6
	v_mul_f32_e32 v4, v4, v7
	;;#ASMSTART
	v_med3_f32 v20, v20, v5, v38
v_med3_f32 v21, v21, v5, v38
v_cvt_pk_fp8_f32 v2, v20, v21
	;;#ASMEND
	;;#ASMSTART
	v_med3_f32 v8, v8, v5, v38
v_med3_f32 v9, v9, v5, v38
v_cvt_pk_fp8_f32 v6, v8, v9
	;;#ASMEND
	v_perm_b32 v2, v2, v6, 0x1000504
	;;#ASMSTART
	v_med3_f32 v10, v10, v5, v38
v_med3_f32 v11, v11, v5, v38
v_cvt_pk_fp8_f32 v6, v10, v11
	;;#ASMEND
	;;#ASMSTART
	v_med3_f32 v3, v3, v5, v38
v_med3_f32 v4, v4, v5, v38
v_cvt_pk_fp8_f32 v5, v3, v4
	;;#ASMEND
	v_perm_b32 v3, v6, v5, 0x1000504
	v_perm_b32 v0, v0, v16, 0x1060504
	buffer_store_b128 v[0:3], v39, s[4:7], 16 offen
	;;#ASMSTART
	s_nop 0
	;;#ASMEND
	s_nop 0
	s_sendmsg sendmsg(MSG_DEALLOC_VGPRS)
	s_endpgm
	.section	.rodata,"a",@progbits
	.p2align	6, 0x0
	.amdhsa_kernel _ZN5aiter37dynamic_per_group_scaled_quant_kernelItDB8_Li32ELi128ELb1ELi64ELb0EEEvPT0_PfPKT_PKfliilPKii
		.amdhsa_group_segment_fixed_size 0
		.amdhsa_private_segment_fixed_size 0
		.amdhsa_kernarg_size 68
		.amdhsa_user_sgpr_count 15
		.amdhsa_user_sgpr_dispatch_ptr 0
		.amdhsa_user_sgpr_queue_ptr 0
		.amdhsa_user_sgpr_kernarg_segment_ptr 1
		.amdhsa_user_sgpr_dispatch_id 0
		.amdhsa_user_sgpr_private_segment_size 0
		.amdhsa_wavefront_size32 1
		.amdhsa_uses_dynamic_stack 0
		.amdhsa_enable_private_segment 0
		.amdhsa_system_sgpr_workgroup_id_x 1
		.amdhsa_system_sgpr_workgroup_id_y 0
		.amdhsa_system_sgpr_workgroup_id_z 0
		.amdhsa_system_sgpr_workgroup_info 0
		.amdhsa_system_vgpr_workitem_id 0
		.amdhsa_next_free_vgpr 43
		.amdhsa_next_free_sgpr 16
		.amdhsa_reserve_vcc 1
		.amdhsa_float_round_mode_32 0
		.amdhsa_float_round_mode_16_64 0
		.amdhsa_float_denorm_mode_32 3
		.amdhsa_float_denorm_mode_16_64 3
		.amdhsa_dx10_clamp 1
		.amdhsa_ieee_mode 1
		.amdhsa_fp16_overflow 0
		.amdhsa_workgroup_processor_mode 1
		.amdhsa_memory_ordered 1
		.amdhsa_forward_progress 0
		.amdhsa_shared_vgpr_count 0
		.amdhsa_exception_fp_ieee_invalid_op 0
		.amdhsa_exception_fp_denorm_src 0
		.amdhsa_exception_fp_ieee_div_zero 0
		.amdhsa_exception_fp_ieee_overflow 0
		.amdhsa_exception_fp_ieee_underflow 0
		.amdhsa_exception_fp_ieee_inexact 0
		.amdhsa_exception_int_div_zero 0
	.end_amdhsa_kernel
	.section	.text._ZN5aiter37dynamic_per_group_scaled_quant_kernelItDB8_Li32ELi128ELb1ELi64ELb0EEEvPT0_PfPKT_PKfliilPKii,"axG",@progbits,_ZN5aiter37dynamic_per_group_scaled_quant_kernelItDB8_Li32ELi128ELb1ELi64ELb0EEEvPT0_PfPKT_PKfliilPKii,comdat
.Lfunc_end27:
	.size	_ZN5aiter37dynamic_per_group_scaled_quant_kernelItDB8_Li32ELi128ELb1ELi64ELb0EEEvPT0_PfPKT_PKfliilPKii, .Lfunc_end27-_ZN5aiter37dynamic_per_group_scaled_quant_kernelItDB8_Li32ELi128ELb1ELi64ELb0EEEvPT0_PfPKT_PKfliilPKii
                                        ; -- End function
	.section	.AMDGPU.csdata,"",@progbits
; Kernel info:
; codeLenInByte = 3464
; NumSgprs: 18
; NumVgprs: 43
; ScratchSize: 0
; MemoryBound: 0
; FloatMode: 240
; IeeeMode: 1
; LDSByteSize: 0 bytes/workgroup (compile time only)
; SGPRBlocks: 2
; VGPRBlocks: 5
; NumSGPRsForWavesPerEU: 18
; NumVGPRsForWavesPerEU: 43
; Occupancy: 16
; WaveLimiterHint : 0
; COMPUTE_PGM_RSRC2:SCRATCH_EN: 0
; COMPUTE_PGM_RSRC2:USER_SGPR: 15
; COMPUTE_PGM_RSRC2:TRAP_HANDLER: 0
; COMPUTE_PGM_RSRC2:TGID_X_EN: 1
; COMPUTE_PGM_RSRC2:TGID_Y_EN: 0
; COMPUTE_PGM_RSRC2:TGID_Z_EN: 0
; COMPUTE_PGM_RSRC2:TIDIG_COMP_CNT: 0
	.section	.text._ZN5aiter37dynamic_per_group_scaled_quant_kernelIDF16_aLi32ELi128ELb1ELi64ELb0EEEvPT0_PfPKT_PKfliilPKii,"axG",@progbits,_ZN5aiter37dynamic_per_group_scaled_quant_kernelIDF16_aLi32ELi128ELb1ELi64ELb0EEEvPT0_PfPKT_PKfliilPKii,comdat
	.protected	_ZN5aiter37dynamic_per_group_scaled_quant_kernelIDF16_aLi32ELi128ELb1ELi64ELb0EEEvPT0_PfPKT_PKfliilPKii ; -- Begin function _ZN5aiter37dynamic_per_group_scaled_quant_kernelIDF16_aLi32ELi128ELb1ELi64ELb0EEEvPT0_PfPKT_PKfliilPKii
	.globl	_ZN5aiter37dynamic_per_group_scaled_quant_kernelIDF16_aLi32ELi128ELb1ELi64ELb0EEEvPT0_PfPKT_PKfliilPKii
	.p2align	8
	.type	_ZN5aiter37dynamic_per_group_scaled_quant_kernelIDF16_aLi32ELi128ELb1ELi64ELb0EEEvPT0_PfPKT_PKfliilPKii,@function
_ZN5aiter37dynamic_per_group_scaled_quant_kernelIDF16_aLi32ELi128ELb1ELi64ELb0EEEvPT0_PfPKT_PKfliilPKii: ; @_ZN5aiter37dynamic_per_group_scaled_quant_kernelIDF16_aLi32ELi128ELb1ELi64ELb0EEEvPT0_PfPKT_PKfliilPKii
; %bb.0:
	s_load_b64 s[2:3], s[0:1], 0x38
	s_mov_b32 s4, s15
	s_waitcnt lgkmcnt(0)
	s_cmp_eq_u64 s[2:3], 0
	s_cbranch_scc1 .LBB28_2
; %bb.1:
	s_load_b32 s5, s[0:1], 0x40
	s_load_b32 s2, s[2:3], 0x0
	s_waitcnt lgkmcnt(0)
	s_mul_hi_i32 s7, s2, s5
	s_mul_i32 s6, s2, s5
	s_branch .LBB28_3
.LBB28_2:
	s_load_b64 s[6:7], s[0:1], 0x20
.LBB28_3:
	s_load_b64 s[2:3], s[0:1], 0x28
	s_mov_b32 s5, 0
                                        ; implicit-def: $vgpr19_vgpr20
	v_mov_b32_e32 v3, 0
	s_lshl_b64 s[4:5], s[4:5], 6
	s_delay_alu instid0(SALU_CYCLE_1) | instskip(SKIP_1) | instid1(VALU_DEP_1)
	v_or_b32_e32 v1, s4, v0
	v_mov_b32_e32 v2, s5
	v_lshrrev_b64 v[17:18], 2, v[1:2]
	s_waitcnt lgkmcnt(0)
	s_ashr_i32 s4, s2, 31
	s_delay_alu instid0(SALU_CYCLE_1) | instskip(NEXT) | instid1(SALU_CYCLE_1)
	s_lshr_b32 s4, s4, 25
	s_add_i32 s2, s2, s4
	s_delay_alu instid0(SALU_CYCLE_1) | instskip(SKIP_2) | instid1(SALU_CYCLE_1)
	s_ashr_i32 s10, s2, 7
	s_mov_b32 s2, exec_lo
	s_ashr_i32 s11, s10, 31
	v_or_b32_e32 v4, s11, v18
	s_delay_alu instid0(VALU_DEP_1)
	v_cmpx_ne_u64_e32 0, v[3:4]
	s_xor_b32 s12, exec_lo, s2
	s_cbranch_execnz .LBB28_7
; %bb.4:
	s_and_not1_saveexec_b32 s2, s12
	s_cbranch_execnz .LBB28_8
.LBB28_5:
	s_or_b32 exec_lo, exec_lo, s2
	s_delay_alu instid0(SALU_CYCLE_1)
	s_mov_b32 s2, exec_lo
	v_cmpx_gt_i64_e64 s[6:7], v[19:20]
	s_cbranch_execnz .LBB28_9
.LBB28_6:
	s_endpgm
.LBB28_7:
	s_add_u32 s8, s10, s11
	s_mov_b32 s4, s11
	s_mov_b32 s5, s11
	s_addc_u32 s9, s11, s11
	s_delay_alu instid0(SALU_CYCLE_1) | instskip(NEXT) | instid1(SALU_CYCLE_1)
	s_xor_b64 s[8:9], s[8:9], s[4:5]
	v_cvt_f32_u32_e32 v1, s8
	v_cvt_f32_u32_e32 v2, s9
	s_sub_u32 s2, 0, s8
	s_subb_u32 s13, 0, s9
	s_delay_alu instid0(VALU_DEP_1) | instskip(NEXT) | instid1(VALU_DEP_1)
	v_fmamk_f32 v1, v2, 0x4f800000, v1
	v_rcp_f32_e32 v1, v1
	s_waitcnt_depctr 0xfff
	v_mul_f32_e32 v1, 0x5f7ffffc, v1
	s_delay_alu instid0(VALU_DEP_1) | instskip(NEXT) | instid1(VALU_DEP_1)
	v_mul_f32_e32 v2, 0x2f800000, v1
	v_trunc_f32_e32 v2, v2
	s_delay_alu instid0(VALU_DEP_1) | instskip(SKIP_1) | instid1(VALU_DEP_2)
	v_fmamk_f32 v1, v2, 0xcf800000, v1
	v_cvt_u32_f32_e32 v2, v2
	v_cvt_u32_f32_e32 v1, v1
	s_delay_alu instid0(VALU_DEP_2) | instskip(NEXT) | instid1(VALU_DEP_2)
	v_mul_lo_u32 v3, s2, v2
	v_mul_hi_u32 v4, s2, v1
	v_mul_lo_u32 v5, s13, v1
	s_delay_alu instid0(VALU_DEP_2) | instskip(SKIP_1) | instid1(VALU_DEP_2)
	v_add_nc_u32_e32 v3, v4, v3
	v_mul_lo_u32 v4, s2, v1
	v_add_nc_u32_e32 v3, v3, v5
	s_delay_alu instid0(VALU_DEP_2) | instskip(NEXT) | instid1(VALU_DEP_2)
	v_mul_hi_u32 v5, v1, v4
	v_mul_lo_u32 v6, v1, v3
	v_mul_hi_u32 v7, v1, v3
	v_mul_hi_u32 v8, v2, v4
	v_mul_lo_u32 v4, v2, v4
	v_mul_hi_u32 v9, v2, v3
	v_mul_lo_u32 v3, v2, v3
	v_add_co_u32 v5, vcc_lo, v5, v6
	v_add_co_ci_u32_e32 v6, vcc_lo, 0, v7, vcc_lo
	s_delay_alu instid0(VALU_DEP_2) | instskip(NEXT) | instid1(VALU_DEP_2)
	v_add_co_u32 v4, vcc_lo, v5, v4
	v_add_co_ci_u32_e32 v4, vcc_lo, v6, v8, vcc_lo
	v_add_co_ci_u32_e32 v5, vcc_lo, 0, v9, vcc_lo
	s_delay_alu instid0(VALU_DEP_2) | instskip(NEXT) | instid1(VALU_DEP_2)
	v_add_co_u32 v3, vcc_lo, v4, v3
	v_add_co_ci_u32_e32 v4, vcc_lo, 0, v5, vcc_lo
	s_delay_alu instid0(VALU_DEP_2) | instskip(NEXT) | instid1(VALU_DEP_2)
	v_add_co_u32 v1, vcc_lo, v1, v3
	v_add_co_ci_u32_e32 v2, vcc_lo, v2, v4, vcc_lo
	s_delay_alu instid0(VALU_DEP_2) | instskip(SKIP_1) | instid1(VALU_DEP_3)
	v_mul_hi_u32 v3, s2, v1
	v_mul_lo_u32 v5, s13, v1
	v_mul_lo_u32 v4, s2, v2
	s_delay_alu instid0(VALU_DEP_1) | instskip(SKIP_1) | instid1(VALU_DEP_2)
	v_add_nc_u32_e32 v3, v3, v4
	v_mul_lo_u32 v4, s2, v1
	v_add_nc_u32_e32 v3, v3, v5
	s_delay_alu instid0(VALU_DEP_2) | instskip(NEXT) | instid1(VALU_DEP_2)
	v_mul_hi_u32 v5, v1, v4
	v_mul_lo_u32 v6, v1, v3
	v_mul_hi_u32 v7, v1, v3
	v_mul_hi_u32 v8, v2, v4
	v_mul_lo_u32 v4, v2, v4
	v_mul_hi_u32 v9, v2, v3
	v_mul_lo_u32 v3, v2, v3
	v_add_co_u32 v5, vcc_lo, v5, v6
	v_add_co_ci_u32_e32 v6, vcc_lo, 0, v7, vcc_lo
	s_delay_alu instid0(VALU_DEP_2) | instskip(NEXT) | instid1(VALU_DEP_2)
	v_add_co_u32 v4, vcc_lo, v5, v4
	v_add_co_ci_u32_e32 v4, vcc_lo, v6, v8, vcc_lo
	v_add_co_ci_u32_e32 v5, vcc_lo, 0, v9, vcc_lo
	s_delay_alu instid0(VALU_DEP_2) | instskip(NEXT) | instid1(VALU_DEP_2)
	v_add_co_u32 v3, vcc_lo, v4, v3
	v_add_co_ci_u32_e32 v4, vcc_lo, 0, v5, vcc_lo
	s_delay_alu instid0(VALU_DEP_2) | instskip(NEXT) | instid1(VALU_DEP_2)
	v_add_co_u32 v5, vcc_lo, v1, v3
	v_add_co_ci_u32_e32 v7, vcc_lo, v2, v4, vcc_lo
	s_delay_alu instid0(VALU_DEP_2) | instskip(SKIP_1) | instid1(VALU_DEP_3)
	v_mul_hi_u32 v8, v17, v5
	v_mad_u64_u32 v[3:4], null, v18, v5, 0
	v_mad_u64_u32 v[1:2], null, v17, v7, 0
	;; [unrolled: 1-line block ×3, first 2 shown]
	s_delay_alu instid0(VALU_DEP_2) | instskip(NEXT) | instid1(VALU_DEP_3)
	v_add_co_u32 v1, vcc_lo, v8, v1
	v_add_co_ci_u32_e32 v2, vcc_lo, 0, v2, vcc_lo
	s_delay_alu instid0(VALU_DEP_2) | instskip(NEXT) | instid1(VALU_DEP_2)
	v_add_co_u32 v1, vcc_lo, v1, v3
	v_add_co_ci_u32_e32 v1, vcc_lo, v2, v4, vcc_lo
	v_add_co_ci_u32_e32 v2, vcc_lo, 0, v6, vcc_lo
	s_delay_alu instid0(VALU_DEP_2) | instskip(NEXT) | instid1(VALU_DEP_2)
	v_add_co_u32 v3, vcc_lo, v1, v5
	v_add_co_ci_u32_e32 v4, vcc_lo, 0, v2, vcc_lo
	s_delay_alu instid0(VALU_DEP_2) | instskip(SKIP_1) | instid1(VALU_DEP_3)
	v_mul_lo_u32 v5, s9, v3
	v_mad_u64_u32 v[1:2], null, s8, v3, 0
	v_mul_lo_u32 v6, s8, v4
	s_delay_alu instid0(VALU_DEP_2) | instskip(NEXT) | instid1(VALU_DEP_2)
	v_sub_co_u32 v1, vcc_lo, v17, v1
	v_add3_u32 v2, v2, v6, v5
	s_delay_alu instid0(VALU_DEP_1) | instskip(NEXT) | instid1(VALU_DEP_1)
	v_sub_nc_u32_e32 v5, v18, v2
	v_subrev_co_ci_u32_e64 v5, s2, s9, v5, vcc_lo
	v_add_co_u32 v6, s2, v3, 2
	s_delay_alu instid0(VALU_DEP_1) | instskip(SKIP_3) | instid1(VALU_DEP_3)
	v_add_co_ci_u32_e64 v7, s2, 0, v4, s2
	v_sub_co_u32 v8, s2, v1, s8
	v_sub_co_ci_u32_e32 v2, vcc_lo, v18, v2, vcc_lo
	v_subrev_co_ci_u32_e64 v5, s2, 0, v5, s2
	v_cmp_le_u32_e32 vcc_lo, s8, v8
	s_delay_alu instid0(VALU_DEP_3) | instskip(SKIP_1) | instid1(VALU_DEP_4)
	v_cmp_eq_u32_e64 s2, s9, v2
	v_cndmask_b32_e64 v8, 0, -1, vcc_lo
	v_cmp_le_u32_e32 vcc_lo, s9, v5
	v_cndmask_b32_e64 v9, 0, -1, vcc_lo
	v_cmp_le_u32_e32 vcc_lo, s8, v1
	;; [unrolled: 2-line block ×3, first 2 shown]
	v_cndmask_b32_e64 v10, 0, -1, vcc_lo
	v_cmp_eq_u32_e32 vcc_lo, s9, v5
	s_delay_alu instid0(VALU_DEP_2) | instskip(SKIP_3) | instid1(VALU_DEP_3)
	v_cndmask_b32_e64 v1, v10, v1, s2
	v_cndmask_b32_e32 v5, v9, v8, vcc_lo
	v_add_co_u32 v8, vcc_lo, v3, 1
	v_add_co_ci_u32_e32 v9, vcc_lo, 0, v4, vcc_lo
	v_cmp_ne_u32_e32 vcc_lo, 0, v5
	s_delay_alu instid0(VALU_DEP_2) | instskip(SKIP_1) | instid1(VALU_DEP_2)
	v_dual_cndmask_b32 v2, v9, v7 :: v_dual_cndmask_b32 v5, v8, v6
	v_cmp_ne_u32_e32 vcc_lo, 0, v1
	v_dual_cndmask_b32 v1, v4, v2 :: v_dual_cndmask_b32 v2, v3, v5
	s_delay_alu instid0(VALU_DEP_1) | instskip(NEXT) | instid1(VALU_DEP_2)
	v_xor_b32_e32 v1, s5, v1
	v_xor_b32_e32 v2, s4, v2
	s_delay_alu instid0(VALU_DEP_1) | instskip(NEXT) | instid1(VALU_DEP_3)
	v_sub_co_u32 v19, vcc_lo, v2, s4
	v_subrev_co_ci_u32_e32 v20, vcc_lo, s5, v1, vcc_lo
                                        ; implicit-def: $vgpr1_vgpr2
	s_and_not1_saveexec_b32 s2, s12
	s_cbranch_execz .LBB28_5
.LBB28_8:
	v_cvt_f32_u32_e32 v3, s10
	s_sub_i32 s4, 0, s10
	v_alignbit_b32 v1, v2, v1, 2
	v_mov_b32_e32 v20, 0
	s_delay_alu instid0(VALU_DEP_3) | instskip(SKIP_2) | instid1(VALU_DEP_1)
	v_rcp_iflag_f32_e32 v3, v3
	s_waitcnt_depctr 0xfff
	v_mul_f32_e32 v3, 0x4f7ffffe, v3
	v_cvt_u32_f32_e32 v3, v3
	s_delay_alu instid0(VALU_DEP_1) | instskip(NEXT) | instid1(VALU_DEP_1)
	v_mul_lo_u32 v4, s4, v3
	v_mul_hi_u32 v4, v3, v4
	s_delay_alu instid0(VALU_DEP_1) | instskip(NEXT) | instid1(VALU_DEP_1)
	v_add_nc_u32_e32 v2, v3, v4
	v_mul_hi_u32 v2, v1, v2
	s_delay_alu instid0(VALU_DEP_1) | instskip(NEXT) | instid1(VALU_DEP_1)
	v_mul_lo_u32 v3, v2, s10
	v_sub_nc_u32_e32 v1, v1, v3
	v_add_nc_u32_e32 v3, 1, v2
	s_delay_alu instid0(VALU_DEP_2) | instskip(SKIP_1) | instid1(VALU_DEP_2)
	v_subrev_nc_u32_e32 v4, s10, v1
	v_cmp_le_u32_e32 vcc_lo, s10, v1
	v_dual_cndmask_b32 v1, v1, v4 :: v_dual_cndmask_b32 v2, v2, v3
	s_delay_alu instid0(VALU_DEP_1) | instskip(NEXT) | instid1(VALU_DEP_2)
	v_cmp_le_u32_e32 vcc_lo, s10, v1
	v_add_nc_u32_e32 v3, 1, v2
	s_delay_alu instid0(VALU_DEP_1) | instskip(SKIP_1) | instid1(SALU_CYCLE_1)
	v_cndmask_b32_e32 v19, v2, v3, vcc_lo
	s_or_b32 exec_lo, exec_lo, s2
	s_mov_b32 s2, exec_lo
	s_delay_alu instid0(VALU_DEP_1)
	v_cmpx_gt_i64_e64 s[6:7], v[19:20]
	s_cbranch_execz .LBB28_6
.LBB28_9:
	s_ashr_i32 s2, s3, 31
	s_load_b64 s[4:5], s[0:1], 0x10
	v_mul_lo_u32 v5, v20, s10
	v_mul_lo_u32 v6, v19, s11
	v_mad_u64_u32 v[1:2], null, v19, s10, 0
	v_mul_lo_u32 v7, v20, s3
	v_mul_lo_u32 v8, v19, s2
	v_mad_u64_u32 v[3:4], null, v19, s3, 0
	v_and_b32_e32 v39, 3, v0
	s_mov_b32 s2, exec_lo
	v_add3_u32 v2, v2, v6, v5
	v_sub_co_u32 v28, vcc_lo, v17, v1
	s_delay_alu instid0(VALU_DEP_3) | instskip(SKIP_1) | instid1(VALU_DEP_4)
	v_lshlrev_b32_e32 v5, 6, v39
	v_add3_u32 v4, v4, v8, v7
	v_sub_co_ci_u32_e32 v29, vcc_lo, v18, v2, vcc_lo
	s_delay_alu instid0(VALU_DEP_4) | instskip(NEXT) | instid1(VALU_DEP_3)
	v_dual_mov_b32 v2, 0 :: v_dual_lshlrev_b32 v1, 7, v28
	v_lshlrev_b64 v[3:4], 1, v[3:4]
	s_delay_alu instid0(VALU_DEP_2) | instskip(SKIP_1) | instid1(VALU_DEP_2)
	v_lshlrev_b64 v[1:2], 1, v[1:2]
	s_waitcnt lgkmcnt(0)
	v_add_co_u32 v3, vcc_lo, s4, v3
	s_delay_alu instid0(VALU_DEP_3) | instskip(SKIP_1) | instid1(VALU_DEP_2)
	v_add_co_ci_u32_e32 v4, vcc_lo, s5, v4, vcc_lo
	s_load_b64 s[4:5], s[0:1], 0x0
	v_add_co_u32 v1, vcc_lo, v3, v1
	s_delay_alu instid0(VALU_DEP_2) | instskip(NEXT) | instid1(VALU_DEP_2)
	v_add_co_ci_u32_e32 v2, vcc_lo, v4, v2, vcc_lo
	v_add_co_u32 v5, vcc_lo, v1, v5
	s_delay_alu instid0(VALU_DEP_2)
	v_add_co_ci_u32_e32 v6, vcc_lo, 0, v2, vcc_lo
	s_clause 0x3
	global_load_b128 v[9:12], v[5:6], off
	global_load_b128 v[13:16], v[5:6], off offset:16
	global_load_b128 v[1:4], v[5:6], off offset:32
	;; [unrolled: 1-line block ×3, first 2 shown]
	s_waitcnt vmcnt(3)
	v_lshrrev_b32_e32 v31, 16, v9
	v_cvt_f32_f16_e64 v18, |v9|
	v_lshrrev_b32_e32 v30, 16, v10
	v_cvt_f32_f16_e64 v22, |v10|
	;; [unrolled: 2-line block ×4, first 2 shown]
	s_waitcnt vmcnt(2)
	v_lshrrev_b32_e32 v34, 16, v13
	v_cvt_f32_f16_e64 v24, |v32|
	v_max3_f32 v18, v18, 0x2edbe6ff, v21
	v_cvt_f32_f16_e64 v21, |v11|
	v_lshrrev_b32_e32 v35, 16, v14
	v_lshrrev_b32_e32 v36, 16, v15
	;; [unrolled: 1-line block ×3, first 2 shown]
	v_max3_f32 v18, v18, v22, v23
	v_cvt_f32_f16_e64 v22, |v12|
	v_cvt_f32_f16_e64 v23, |v33|
	s_delay_alu instid0(VALU_DEP_4) | instskip(NEXT) | instid1(VALU_DEP_4)
	v_cvt_f32_f16_e64 v25, |v37|
	v_max3_f32 v18, v18, v21, v24
	v_cvt_f32_f16_e64 v21, |v13|
	v_cvt_f32_f16_e64 v24, |v34|
	s_delay_alu instid0(VALU_DEP_3) | instskip(SKIP_2) | instid1(VALU_DEP_3)
	v_max3_f32 v18, v18, v22, v23
	v_cvt_f32_f16_e64 v22, |v14|
	v_cvt_f32_f16_e64 v23, |v35|
	v_max3_f32 v18, v18, v21, v24
	v_cvt_f32_f16_e64 v21, |v15|
	v_cvt_f32_f16_e64 v24, |v36|
	s_delay_alu instid0(VALU_DEP_3) | instskip(SKIP_3) | instid1(VALU_DEP_3)
	v_max3_f32 v22, v18, v22, v23
	v_cvt_f32_f16_e64 v23, |v16|
	s_waitcnt vmcnt(1)
	v_lshrrev_b32_e32 v18, 16, v1
	v_max3_f32 v22, v22, v21, v24
	v_cvt_f32_f16_e64 v24, |v1|
	v_lshrrev_b32_e32 v21, 16, v2
	s_delay_alu instid0(VALU_DEP_4) | instskip(NEXT) | instid1(VALU_DEP_4)
	v_cvt_f32_f16_e64 v26, |v18|
	v_max3_f32 v23, v22, v23, v25
	v_cvt_f32_f16_e64 v25, |v2|
	v_lshrrev_b32_e32 v22, 16, v3
	v_cvt_f32_f16_e64 v27, |v21|
	s_delay_alu instid0(VALU_DEP_4) | instskip(SKIP_3) | instid1(VALU_DEP_4)
	v_max3_f32 v24, v23, v24, v26
	v_cvt_f32_f16_e64 v26, |v3|
	v_lshrrev_b32_e32 v23, 16, v4
	v_cvt_f32_f16_e64 v38, |v22|
	v_max3_f32 v25, v24, v25, v27
	v_cvt_f32_f16_e64 v27, |v4|
	s_waitcnt vmcnt(0)
	v_lshrrev_b32_e32 v24, 16, v5
	v_cvt_f32_f16_e64 v40, |v23|
	v_max3_f32 v26, v25, v26, v38
	v_cvt_f32_f16_e64 v38, |v5|
	v_lshrrev_b32_e32 v25, 16, v6
	v_cvt_f32_f16_e64 v41, |v24|
	s_delay_alu instid0(VALU_DEP_4) | instskip(SKIP_3) | instid1(VALU_DEP_4)
	v_max3_f32 v26, v26, v27, v40
	v_cvt_f32_f16_e64 v40, |v6|
	v_lshrrev_b32_e32 v27, 16, v7
	v_cvt_f32_f16_e64 v42, |v25|
	v_max3_f32 v38, v26, v38, v41
	v_cvt_f32_f16_e64 v41, |v7|
	v_lshrrev_b32_e32 v26, 16, v8
	v_cvt_f32_f16_e64 v43, |v27|
	s_delay_alu instid0(VALU_DEP_4) | instskip(SKIP_1) | instid1(VALU_DEP_4)
	v_max3_f32 v38, v38, v40, v42
	v_cvt_f32_f16_e64 v40, |v8|
	v_cvt_f32_f16_e64 v42, |v26|
	s_delay_alu instid0(VALU_DEP_3) | instskip(NEXT) | instid1(VALU_DEP_1)
	v_max3_f32 v38, v38, v41, v43
	v_max3_f32 v38, v38, v40, v42
	s_delay_alu instid0(VALU_DEP_1) | instskip(NEXT) | instid1(VALU_DEP_1)
	v_mov_b32_dpp v40, v38 quad_perm:[1,0,3,2] row_mask:0xf bank_mask:0xf
	v_cmp_gt_f32_e32 vcc_lo, v38, v40
	v_cndmask_b32_e32 v38, v40, v38, vcc_lo
	s_delay_alu instid0(VALU_DEP_1) | instskip(NEXT) | instid1(VALU_DEP_1)
	v_mov_b32_dpp v40, v38 quad_perm:[2,3,0,1] row_mask:0xf bank_mask:0xf
	v_cmp_gt_f32_e32 vcc_lo, v38, v40
	v_cndmask_b32_e32 v38, v40, v38, vcc_lo
	s_delay_alu instid0(VALU_DEP_1)
	v_mul_f32_e32 v38, 0x3c010204, v38
	v_cmpx_eq_u32_e32 0, v39
	s_cbranch_execz .LBB28_11
; %bb.10:
	s_load_b64 s[8:9], s[0:1], 0x8
	v_mul_lo_u32 v29, v29, s6
	v_mul_lo_u32 v41, v28, s7
	v_mad_u64_u32 v[39:40], null, v28, s6, 0
	v_lshlrev_b64 v[19:20], 2, v[19:20]
	s_delay_alu instid0(VALU_DEP_2) | instskip(NEXT) | instid1(VALU_DEP_1)
	v_add3_u32 v40, v40, v41, v29
	v_lshlrev_b64 v[28:29], 2, v[39:40]
	s_waitcnt lgkmcnt(0)
	s_delay_alu instid0(VALU_DEP_1) | instskip(NEXT) | instid1(VALU_DEP_2)
	v_add_co_u32 v28, vcc_lo, s8, v28
	v_add_co_ci_u32_e32 v29, vcc_lo, s9, v29, vcc_lo
	s_delay_alu instid0(VALU_DEP_2) | instskip(NEXT) | instid1(VALU_DEP_2)
	v_add_co_u32 v19, vcc_lo, v28, v19
	v_add_co_ci_u32_e32 v20, vcc_lo, v29, v20, vcc_lo
	global_store_b32 v[19:20], v38, off
.LBB28_11:
	s_or_b32 exec_lo, exec_lo, s2
	s_delay_alu instid0(VALU_DEP_2) | instskip(SKIP_2) | instid1(VALU_DEP_3)
	v_div_scale_f32 v19, null, v38, v38, 1.0
	v_div_scale_f32 v29, vcc_lo, 1.0, v38, 1.0
	v_cvt_f32_f16_e32 v31, v31
	v_rcp_f32_e32 v20, v19
	v_cvt_f32_f16_e32 v6, v6
	v_cvt_f32_f16_e32 v7, v7
	;; [unrolled: 1-line block ×9, first 2 shown]
	v_fma_f32 v28, -v19, v20, 1.0
	v_cvt_f32_f16_e32 v30, v30
	v_cvt_f32_f16_e32 v32, v32
	;; [unrolled: 1-line block ×4, first 2 shown]
	v_dual_fmac_f32 v20, v28, v20 :: v_dual_lshlrev_b32 v17, 7, v17
	v_cvt_f32_f16_e32 v16, v16
	v_cvt_f32_f16_e32 v15, v15
	v_cvt_f32_f16_e32 v3, v3
	s_delay_alu instid0(VALU_DEP_4)
	v_mul_f32_e32 v28, v29, v20
	v_cvt_f32_f16_e32 v2, v2
	v_cvt_f32_f16_e32 v4, v4
	s_load_b32 s6, s[0:1], 0x30
	s_waitcnt lgkmcnt(0)
	s_and_b32 s5, s5, 0xffff
	v_fma_f32 v39, -v19, v28, v29
	s_mov_b32 s7, -1
	s_delay_alu instid0(VALU_DEP_1) | instskip(NEXT) | instid1(VALU_DEP_1)
	v_fmac_f32_e32 v28, v39, v20
	v_fma_f32 v19, -v19, v28, v29
	v_cvt_f32_f16_e32 v29, v33
	v_cvt_f32_f16_e32 v33, v36
	s_delay_alu instid0(VALU_DEP_3) | instskip(SKIP_3) | instid1(VALU_DEP_4)
	v_div_fmas_f32 v19, v19, v20, v28
	v_cvt_f32_f16_e32 v20, v34
	v_cvt_f32_f16_e32 v28, v35
	;; [unrolled: 1-line block ×3, first 2 shown]
	v_div_fixup_f32 v19, v19, v38, 1.0
	s_delay_alu instid0(VALU_DEP_1)
	v_dual_mul_f32 v11, v19, v11 :: v_dual_lshlrev_b32 v0, 5, v0
	v_mul_f32_e32 v6, v19, v6
	v_mul_f32_e32 v8, v19, v8
	;; [unrolled: 1-line block ×4, first 2 shown]
	v_and_or_b32 v17, 0x60, v0, v17
	v_cvt_i32_f32_e32 v6, v6
	v_mul_f32_e32 v7, v19, v7
	v_cvt_i32_f32_e32 v8, v8
	v_mul_f32_e32 v5, v19, v5
	v_cvt_i32_f32_e32 v13, v13
	v_and_b32_e32 v6, 0xff, v6
	v_cvt_i32_f32_e32 v7, v7
	v_and_b32_e32 v8, 0xff, v8
	v_mul_f32_e32 v20, v19, v20
	v_cvt_i32_f32_e32 v5, v5
	s_delay_alu instid0(VALU_DEP_4) | instskip(SKIP_1) | instid1(VALU_DEP_4)
	v_dual_mul_f32 v14, v19, v14 :: v_dual_and_b32 v7, 0xff, v7
	v_dual_mul_f32 v10, v19, v10 :: v_dual_and_b32 v13, 0xff, v13
	v_cvt_i32_f32_e32 v20, v20
	v_cvt_i32_f32_e32 v28, v28
	v_and_b32_e32 v5, 0xff, v5
	v_cvt_i32_f32_e32 v14, v14
	v_mul_f32_e32 v0, v19, v9
	v_lshlrev_b16 v20, 8, v20
	v_mul_f32_e32 v9, v19, v31
	s_delay_alu instid0(VALU_DEP_4)
	v_dual_mul_f32 v31, v19, v32 :: v_dual_and_b32 v14, 0xff, v14
	v_cvt_i32_f32_e32 v11, v11
	v_mul_f32_e32 v30, v19, v30
	v_or_b32_e32 v13, v13, v20
	v_lshlrev_b16 v20, 8, v28
	v_cvt_i32_f32_e32 v10, v10
	v_and_b32_e32 v11, 0xff, v11
	v_cvt_i32_f32_e32 v30, v30
	v_dual_mul_f32 v12, v19, v12 :: v_dual_and_b32 v13, 0xffff, v13
	v_or_b32_e32 v14, v14, v20
	v_dual_mul_f32 v1, v19, v1 :: v_dual_and_b32 v10, 0xff, v10
	s_delay_alu instid0(VALU_DEP_4) | instskip(SKIP_1) | instid1(VALU_DEP_4)
	v_lshlrev_b16 v20, 8, v30
	v_mul_f32_e32 v32, v19, v33
	v_lshlrev_b32_e32 v14, 16, v14
	v_mul_f32_e32 v33, v19, v34
	v_cvt_i32_f32_e32 v31, v31
	v_or_b32_e32 v20, v10, v20
	v_cvt_i32_f32_e32 v32, v32
	v_or_b32_e32 v10, v13, v14
	v_cvt_f32_f16_e32 v13, v18
	v_cvt_f32_f16_e32 v18, v24
	v_cvt_i32_f32_e32 v33, v33
	v_lshlrev_b16 v32, 8, v32
	v_cvt_i32_f32_e32 v12, v12
	v_cvt_i32_f32_e32 v9, v9
	v_mul_f32_e32 v18, v19, v18
	v_lshlrev_b16 v33, 8, v33
	v_lshlrev_b16 v28, 8, v31
	v_and_b32_e32 v12, 0xff, v12
	v_lshlrev_b16 v9, 8, v9
	v_cvt_i32_f32_e32 v18, v18
	v_cvt_f32_f16_e32 v14, v21
	v_or_b32_e32 v11, v11, v28
	v_cvt_f32_f16_e32 v21, v27
	v_cvt_i32_f32_e32 v1, v1
	v_lshlrev_b16 v18, 8, v18
	v_mul_f32_e32 v14, v19, v14
	s_delay_alu instid0(VALU_DEP_4) | instskip(SKIP_1) | instid1(VALU_DEP_4)
	v_dual_mul_f32 v21, v19, v21 :: v_dual_and_b32 v28, 0xffff, v11
	v_mul_f32_e32 v13, v19, v13
	v_or_b32_e32 v5, v5, v18
	v_dual_mul_f32 v16, v19, v16 :: v_dual_and_b32 v1, 0xff, v1
	v_cvt_i32_f32_e32 v14, v14
	s_delay_alu instid0(VALU_DEP_4) | instskip(NEXT) | instid1(VALU_DEP_4)
	v_cvt_i32_f32_e32 v13, v13
	v_and_b32_e32 v5, 0xffff, v5
	s_delay_alu instid0(VALU_DEP_4)
	v_cvt_i32_f32_e32 v16, v16
	v_mul_f32_e32 v29, v19, v29
	v_lshlrev_b16 v14, 8, v14
	v_lshlrev_b16 v13, 8, v13
	v_cvt_i32_f32_e32 v21, v21
	v_and_b32_e32 v16, 0xff, v16
	v_cvt_i32_f32_e32 v29, v29
	v_mul_f32_e32 v3, v19, v3
	v_or_b32_e32 v1, v1, v13
	v_lshlrev_b16 v21, 8, v21
	v_or_b32_e32 v16, v16, v33
	v_mul_f32_e32 v15, v19, v15
	v_lshlrev_b16 v29, 8, v29
	v_cvt_i32_f32_e32 v3, v3
	v_mul_f32_e32 v2, v19, v2
	v_lshlrev_b32_e32 v16, 16, v16
	v_cvt_i32_f32_e32 v15, v15
	v_or_b32_e32 v12, v12, v29
	v_and_b32_e32 v3, 0xff, v3
	v_cvt_i32_f32_e32 v2, v2
	v_or_b32_e32 v7, v7, v21
	v_and_b32_e32 v15, 0xff, v15
	v_lshlrev_b32_e32 v12, 16, v12
	s_delay_alu instid0(VALU_DEP_4) | instskip(NEXT) | instid1(VALU_DEP_4)
	v_and_b32_e32 v2, 0xff, v2
	v_and_b32_e32 v7, 0xffff, v7
	s_delay_alu instid0(VALU_DEP_4) | instskip(NEXT) | instid1(VALU_DEP_3)
	v_or_b32_e32 v15, v15, v32
	v_or_b32_e32 v2, v2, v14
	v_and_b32_e32 v14, 0xffff, v1
	s_delay_alu instid0(VALU_DEP_3) | instskip(SKIP_1) | instid1(VALU_DEP_2)
	v_and_b32_e32 v15, 0xffff, v15
	v_cvt_i32_f32_e32 v0, v0
	v_or_b32_e32 v11, v15, v16
	s_delay_alu instid0(VALU_DEP_2) | instskip(SKIP_3) | instid1(VALU_DEP_4)
	v_and_b32_e32 v0, 0xff, v0
	v_cvt_f32_f16_e32 v15, v22
	v_cvt_f32_f16_e32 v22, v26
	;; [unrolled: 1-line block ×3, first 2 shown]
	v_or_b32_e32 v0, v0, v9
	s_delay_alu instid0(VALU_DEP_4) | instskip(NEXT) | instid1(VALU_DEP_4)
	v_mul_f32_e32 v15, v19, v15
	v_mul_f32_e32 v22, v19, v22
	v_or_b32_e32 v9, v28, v12
	v_lshlrev_b32_e32 v12, 16, v20
	v_and_b32_e32 v0, 0xffff, v0
	v_cvt_i32_f32_e32 v15, v15
	v_cvt_f32_f16_e32 v20, v25
	v_cvt_i32_f32_e32 v22, v22
	v_mul_f32_e32 v16, v19, v16
	s_delay_alu instid0(VALU_DEP_4) | instskip(NEXT) | instid1(VALU_DEP_4)
	v_lshlrev_b16 v15, 8, v15
	v_mul_f32_e32 v20, v19, v20
	s_delay_alu instid0(VALU_DEP_4) | instskip(NEXT) | instid1(VALU_DEP_3)
	v_lshlrev_b16 v22, 8, v22
	v_or_b32_e32 v3, v3, v15
	v_dual_mul_f32 v4, v19, v4 :: v_dual_lshlrev_b32 v15, 16, v2
	v_cvt_i32_f32_e32 v16, v16
	s_delay_alu instid0(VALU_DEP_4) | instskip(NEXT) | instid1(VALU_DEP_4)
	v_or_b32_e32 v8, v8, v22
	v_and_b32_e32 v13, 0xffff, v3
	v_cvt_i32_f32_e32 v18, v20
	v_cvt_i32_f32_e32 v4, v4
	v_lshlrev_b16 v16, 8, v16
	v_lshlrev_b32_e32 v19, 16, v8
	s_delay_alu instid0(VALU_DEP_4) | instskip(NEXT) | instid1(VALU_DEP_4)
	v_lshlrev_b16 v8, 8, v18
	v_and_b32_e32 v4, 0xff, v4
	s_delay_alu instid0(VALU_DEP_3) | instskip(NEXT) | instid1(VALU_DEP_3)
	v_or_b32_e32 v3, v7, v19
	v_or_b32_e32 v6, v6, v8
	s_delay_alu instid0(VALU_DEP_3) | instskip(SKIP_2) | instid1(VALU_DEP_4)
	v_or_b32_e32 v4, v4, v16
	v_or_b32_e32 v8, v0, v12
	;; [unrolled: 1-line block ×3, first 2 shown]
	v_lshlrev_b32_e32 v6, 16, v6
	s_delay_alu instid0(VALU_DEP_4)
	v_lshlrev_b32_e32 v4, 16, v4
	buffer_store_b128 v[8:11], v17, s[4:7], 0 offen
	;;#ASMSTART
	s_nop 0
	;;#ASMEND
	v_or_b32_e32 v2, v5, v6
	v_or_b32_e32 v1, v13, v4
	buffer_store_b128 v[0:3], v17, s[4:7], 16 offen
	;;#ASMSTART
	s_nop 0
	;;#ASMEND
	s_nop 0
	s_sendmsg sendmsg(MSG_DEALLOC_VGPRS)
	s_endpgm
	.section	.rodata,"a",@progbits
	.p2align	6, 0x0
	.amdhsa_kernel _ZN5aiter37dynamic_per_group_scaled_quant_kernelIDF16_aLi32ELi128ELb1ELi64ELb0EEEvPT0_PfPKT_PKfliilPKii
		.amdhsa_group_segment_fixed_size 0
		.amdhsa_private_segment_fixed_size 0
		.amdhsa_kernarg_size 68
		.amdhsa_user_sgpr_count 15
		.amdhsa_user_sgpr_dispatch_ptr 0
		.amdhsa_user_sgpr_queue_ptr 0
		.amdhsa_user_sgpr_kernarg_segment_ptr 1
		.amdhsa_user_sgpr_dispatch_id 0
		.amdhsa_user_sgpr_private_segment_size 0
		.amdhsa_wavefront_size32 1
		.amdhsa_uses_dynamic_stack 0
		.amdhsa_enable_private_segment 0
		.amdhsa_system_sgpr_workgroup_id_x 1
		.amdhsa_system_sgpr_workgroup_id_y 0
		.amdhsa_system_sgpr_workgroup_id_z 0
		.amdhsa_system_sgpr_workgroup_info 0
		.amdhsa_system_vgpr_workitem_id 0
		.amdhsa_next_free_vgpr 44
		.amdhsa_next_free_sgpr 16
		.amdhsa_reserve_vcc 1
		.amdhsa_float_round_mode_32 0
		.amdhsa_float_round_mode_16_64 0
		.amdhsa_float_denorm_mode_32 3
		.amdhsa_float_denorm_mode_16_64 3
		.amdhsa_dx10_clamp 1
		.amdhsa_ieee_mode 1
		.amdhsa_fp16_overflow 0
		.amdhsa_workgroup_processor_mode 1
		.amdhsa_memory_ordered 1
		.amdhsa_forward_progress 0
		.amdhsa_shared_vgpr_count 0
		.amdhsa_exception_fp_ieee_invalid_op 0
		.amdhsa_exception_fp_denorm_src 0
		.amdhsa_exception_fp_ieee_div_zero 0
		.amdhsa_exception_fp_ieee_overflow 0
		.amdhsa_exception_fp_ieee_underflow 0
		.amdhsa_exception_fp_ieee_inexact 0
		.amdhsa_exception_int_div_zero 0
	.end_amdhsa_kernel
	.section	.text._ZN5aiter37dynamic_per_group_scaled_quant_kernelIDF16_aLi32ELi128ELb1ELi64ELb0EEEvPT0_PfPKT_PKfliilPKii,"axG",@progbits,_ZN5aiter37dynamic_per_group_scaled_quant_kernelIDF16_aLi32ELi128ELb1ELi64ELb0EEEvPT0_PfPKT_PKfliilPKii,comdat
.Lfunc_end28:
	.size	_ZN5aiter37dynamic_per_group_scaled_quant_kernelIDF16_aLi32ELi128ELb1ELi64ELb0EEEvPT0_PfPKT_PKfliilPKii, .Lfunc_end28-_ZN5aiter37dynamic_per_group_scaled_quant_kernelIDF16_aLi32ELi128ELb1ELi64ELb0EEEvPT0_PfPKT_PKfliilPKii
                                        ; -- End function
	.section	.AMDGPU.csdata,"",@progbits
; Kernel info:
; codeLenInByte = 3164
; NumSgprs: 18
; NumVgprs: 44
; ScratchSize: 0
; MemoryBound: 0
; FloatMode: 240
; IeeeMode: 1
; LDSByteSize: 0 bytes/workgroup (compile time only)
; SGPRBlocks: 2
; VGPRBlocks: 5
; NumSGPRsForWavesPerEU: 18
; NumVGPRsForWavesPerEU: 44
; Occupancy: 16
; WaveLimiterHint : 0
; COMPUTE_PGM_RSRC2:SCRATCH_EN: 0
; COMPUTE_PGM_RSRC2:USER_SGPR: 15
; COMPUTE_PGM_RSRC2:TRAP_HANDLER: 0
; COMPUTE_PGM_RSRC2:TGID_X_EN: 1
; COMPUTE_PGM_RSRC2:TGID_Y_EN: 0
; COMPUTE_PGM_RSRC2:TGID_Z_EN: 0
; COMPUTE_PGM_RSRC2:TIDIG_COMP_CNT: 0
	.section	.text._ZN5aiter37dynamic_per_group_scaled_quant_kernelItaLi32ELi128ELb1ELi64ELb0EEEvPT0_PfPKT_PKfliilPKii,"axG",@progbits,_ZN5aiter37dynamic_per_group_scaled_quant_kernelItaLi32ELi128ELb1ELi64ELb0EEEvPT0_PfPKT_PKfliilPKii,comdat
	.protected	_ZN5aiter37dynamic_per_group_scaled_quant_kernelItaLi32ELi128ELb1ELi64ELb0EEEvPT0_PfPKT_PKfliilPKii ; -- Begin function _ZN5aiter37dynamic_per_group_scaled_quant_kernelItaLi32ELi128ELb1ELi64ELb0EEEvPT0_PfPKT_PKfliilPKii
	.globl	_ZN5aiter37dynamic_per_group_scaled_quant_kernelItaLi32ELi128ELb1ELi64ELb0EEEvPT0_PfPKT_PKfliilPKii
	.p2align	8
	.type	_ZN5aiter37dynamic_per_group_scaled_quant_kernelItaLi32ELi128ELb1ELi64ELb0EEEvPT0_PfPKT_PKfliilPKii,@function
_ZN5aiter37dynamic_per_group_scaled_quant_kernelItaLi32ELi128ELb1ELi64ELb0EEEvPT0_PfPKT_PKfliilPKii: ; @_ZN5aiter37dynamic_per_group_scaled_quant_kernelItaLi32ELi128ELb1ELi64ELb0EEEvPT0_PfPKT_PKfliilPKii
; %bb.0:
	s_load_b64 s[2:3], s[0:1], 0x38
	s_mov_b32 s4, s15
	s_waitcnt lgkmcnt(0)
	s_cmp_eq_u64 s[2:3], 0
	s_cbranch_scc1 .LBB29_2
; %bb.1:
	s_load_b32 s5, s[0:1], 0x40
	s_load_b32 s2, s[2:3], 0x0
	s_waitcnt lgkmcnt(0)
	s_mul_hi_i32 s7, s2, s5
	s_mul_i32 s6, s2, s5
	s_branch .LBB29_3
.LBB29_2:
	s_load_b64 s[6:7], s[0:1], 0x20
.LBB29_3:
	s_load_b64 s[2:3], s[0:1], 0x28
	s_mov_b32 s5, 0
	v_mov_b32_e32 v3, 0
	s_lshl_b64 s[4:5], s[4:5], 6
	s_delay_alu instid0(SALU_CYCLE_1) | instskip(SKIP_1) | instid1(VALU_DEP_1)
	v_or_b32_e32 v5, s4, v0
	v_mov_b32_e32 v6, s5
	v_lshrrev_b64 v[1:2], 2, v[5:6]
	s_waitcnt lgkmcnt(0)
	s_ashr_i32 s4, s2, 31
	s_delay_alu instid0(SALU_CYCLE_1) | instskip(NEXT) | instid1(SALU_CYCLE_1)
	s_lshr_b32 s4, s4, 25
	s_add_i32 s2, s2, s4
	s_delay_alu instid0(SALU_CYCLE_1) | instskip(NEXT) | instid1(SALU_CYCLE_1)
	s_ashr_i32 s10, s2, 7
	s_ashr_i32 s11, s10, 31
	s_delay_alu instid0(SALU_CYCLE_1) | instskip(NEXT) | instid1(VALU_DEP_1)
	v_or_b32_e32 v4, s11, v2
	v_cmp_ne_u64_e32 vcc_lo, 0, v[3:4]
                                        ; implicit-def: $vgpr3_vgpr4
	s_and_saveexec_b32 s2, vcc_lo
	s_delay_alu instid0(SALU_CYCLE_1)
	s_xor_b32 s12, exec_lo, s2
	s_cbranch_execnz .LBB29_7
; %bb.4:
	s_and_not1_saveexec_b32 s2, s12
	s_cbranch_execnz .LBB29_8
.LBB29_5:
	s_or_b32 exec_lo, exec_lo, s2
	s_delay_alu instid0(SALU_CYCLE_1)
	s_mov_b32 s2, exec_lo
	v_cmpx_gt_i64_e64 s[6:7], v[3:4]
	s_cbranch_execnz .LBB29_9
.LBB29_6:
	s_endpgm
.LBB29_7:
	s_add_u32 s8, s10, s11
	s_mov_b32 s4, s11
	s_mov_b32 s5, s11
	s_addc_u32 s9, s11, s11
	s_delay_alu instid0(SALU_CYCLE_1) | instskip(NEXT) | instid1(SALU_CYCLE_1)
	s_xor_b64 s[8:9], s[8:9], s[4:5]
	v_cvt_f32_u32_e32 v3, s8
	v_cvt_f32_u32_e32 v4, s9
	s_sub_u32 s2, 0, s8
	s_subb_u32 s13, 0, s9
	s_delay_alu instid0(VALU_DEP_1) | instskip(NEXT) | instid1(VALU_DEP_1)
	v_fmamk_f32 v3, v4, 0x4f800000, v3
	v_rcp_f32_e32 v3, v3
	s_waitcnt_depctr 0xfff
	v_mul_f32_e32 v3, 0x5f7ffffc, v3
	s_delay_alu instid0(VALU_DEP_1) | instskip(NEXT) | instid1(VALU_DEP_1)
	v_mul_f32_e32 v4, 0x2f800000, v3
	v_trunc_f32_e32 v4, v4
	s_delay_alu instid0(VALU_DEP_1) | instskip(SKIP_1) | instid1(VALU_DEP_2)
	v_fmamk_f32 v3, v4, 0xcf800000, v3
	v_cvt_u32_f32_e32 v4, v4
	v_cvt_u32_f32_e32 v3, v3
	s_delay_alu instid0(VALU_DEP_2) | instskip(NEXT) | instid1(VALU_DEP_2)
	v_mul_lo_u32 v5, s2, v4
	v_mul_hi_u32 v6, s2, v3
	v_mul_lo_u32 v7, s13, v3
	s_delay_alu instid0(VALU_DEP_2) | instskip(SKIP_1) | instid1(VALU_DEP_2)
	v_add_nc_u32_e32 v5, v6, v5
	v_mul_lo_u32 v6, s2, v3
	v_add_nc_u32_e32 v5, v5, v7
	s_delay_alu instid0(VALU_DEP_2) | instskip(NEXT) | instid1(VALU_DEP_2)
	v_mul_hi_u32 v7, v3, v6
	v_mul_lo_u32 v8, v3, v5
	v_mul_hi_u32 v9, v3, v5
	v_mul_hi_u32 v10, v4, v6
	v_mul_lo_u32 v6, v4, v6
	v_mul_hi_u32 v11, v4, v5
	v_mul_lo_u32 v5, v4, v5
	v_add_co_u32 v7, vcc_lo, v7, v8
	v_add_co_ci_u32_e32 v8, vcc_lo, 0, v9, vcc_lo
	s_delay_alu instid0(VALU_DEP_2) | instskip(NEXT) | instid1(VALU_DEP_2)
	v_add_co_u32 v6, vcc_lo, v7, v6
	v_add_co_ci_u32_e32 v6, vcc_lo, v8, v10, vcc_lo
	v_add_co_ci_u32_e32 v7, vcc_lo, 0, v11, vcc_lo
	s_delay_alu instid0(VALU_DEP_2) | instskip(NEXT) | instid1(VALU_DEP_2)
	v_add_co_u32 v5, vcc_lo, v6, v5
	v_add_co_ci_u32_e32 v6, vcc_lo, 0, v7, vcc_lo
	s_delay_alu instid0(VALU_DEP_2) | instskip(NEXT) | instid1(VALU_DEP_2)
	v_add_co_u32 v3, vcc_lo, v3, v5
	v_add_co_ci_u32_e32 v4, vcc_lo, v4, v6, vcc_lo
	s_delay_alu instid0(VALU_DEP_2) | instskip(SKIP_1) | instid1(VALU_DEP_3)
	v_mul_hi_u32 v5, s2, v3
	v_mul_lo_u32 v7, s13, v3
	v_mul_lo_u32 v6, s2, v4
	s_delay_alu instid0(VALU_DEP_1) | instskip(SKIP_1) | instid1(VALU_DEP_2)
	v_add_nc_u32_e32 v5, v5, v6
	v_mul_lo_u32 v6, s2, v3
	v_add_nc_u32_e32 v5, v5, v7
	s_delay_alu instid0(VALU_DEP_2) | instskip(NEXT) | instid1(VALU_DEP_2)
	v_mul_hi_u32 v7, v3, v6
	v_mul_lo_u32 v8, v3, v5
	v_mul_hi_u32 v9, v3, v5
	v_mul_hi_u32 v10, v4, v6
	v_mul_lo_u32 v6, v4, v6
	v_mul_hi_u32 v11, v4, v5
	v_mul_lo_u32 v5, v4, v5
	v_add_co_u32 v7, vcc_lo, v7, v8
	v_add_co_ci_u32_e32 v8, vcc_lo, 0, v9, vcc_lo
	s_delay_alu instid0(VALU_DEP_2) | instskip(NEXT) | instid1(VALU_DEP_2)
	v_add_co_u32 v6, vcc_lo, v7, v6
	v_add_co_ci_u32_e32 v6, vcc_lo, v8, v10, vcc_lo
	v_add_co_ci_u32_e32 v7, vcc_lo, 0, v11, vcc_lo
	s_delay_alu instid0(VALU_DEP_2) | instskip(NEXT) | instid1(VALU_DEP_2)
	v_add_co_u32 v5, vcc_lo, v6, v5
	v_add_co_ci_u32_e32 v6, vcc_lo, 0, v7, vcc_lo
	s_delay_alu instid0(VALU_DEP_2) | instskip(NEXT) | instid1(VALU_DEP_2)
	v_add_co_u32 v7, vcc_lo, v3, v5
	v_add_co_ci_u32_e32 v9, vcc_lo, v4, v6, vcc_lo
	s_delay_alu instid0(VALU_DEP_2) | instskip(SKIP_1) | instid1(VALU_DEP_3)
	v_mul_hi_u32 v10, v1, v7
	v_mad_u64_u32 v[5:6], null, v2, v7, 0
	v_mad_u64_u32 v[3:4], null, v1, v9, 0
	v_mad_u64_u32 v[7:8], null, v2, v9, 0
	s_delay_alu instid0(VALU_DEP_2) | instskip(NEXT) | instid1(VALU_DEP_3)
	v_add_co_u32 v3, vcc_lo, v10, v3
	v_add_co_ci_u32_e32 v4, vcc_lo, 0, v4, vcc_lo
	s_delay_alu instid0(VALU_DEP_2) | instskip(NEXT) | instid1(VALU_DEP_2)
	v_add_co_u32 v3, vcc_lo, v3, v5
	v_add_co_ci_u32_e32 v3, vcc_lo, v4, v6, vcc_lo
	v_add_co_ci_u32_e32 v4, vcc_lo, 0, v8, vcc_lo
	s_delay_alu instid0(VALU_DEP_2) | instskip(NEXT) | instid1(VALU_DEP_2)
	v_add_co_u32 v5, vcc_lo, v3, v7
	v_add_co_ci_u32_e32 v6, vcc_lo, 0, v4, vcc_lo
	s_delay_alu instid0(VALU_DEP_2) | instskip(SKIP_1) | instid1(VALU_DEP_3)
	v_mul_lo_u32 v7, s9, v5
	v_mad_u64_u32 v[3:4], null, s8, v5, 0
	v_mul_lo_u32 v8, s8, v6
	s_delay_alu instid0(VALU_DEP_2) | instskip(NEXT) | instid1(VALU_DEP_2)
	v_sub_co_u32 v3, vcc_lo, v1, v3
	v_add3_u32 v4, v4, v8, v7
	s_delay_alu instid0(VALU_DEP_1) | instskip(NEXT) | instid1(VALU_DEP_1)
	v_sub_nc_u32_e32 v7, v2, v4
	v_subrev_co_ci_u32_e64 v7, s2, s9, v7, vcc_lo
	v_add_co_u32 v8, s2, v5, 2
	s_delay_alu instid0(VALU_DEP_1) | instskip(SKIP_3) | instid1(VALU_DEP_3)
	v_add_co_ci_u32_e64 v9, s2, 0, v6, s2
	v_sub_co_u32 v10, s2, v3, s8
	v_sub_co_ci_u32_e32 v4, vcc_lo, v2, v4, vcc_lo
	v_subrev_co_ci_u32_e64 v7, s2, 0, v7, s2
	v_cmp_le_u32_e32 vcc_lo, s8, v10
	s_delay_alu instid0(VALU_DEP_3) | instskip(SKIP_1) | instid1(VALU_DEP_4)
	v_cmp_eq_u32_e64 s2, s9, v4
	v_cndmask_b32_e64 v10, 0, -1, vcc_lo
	v_cmp_le_u32_e32 vcc_lo, s9, v7
	v_cndmask_b32_e64 v11, 0, -1, vcc_lo
	v_cmp_le_u32_e32 vcc_lo, s8, v3
	v_cndmask_b32_e64 v3, 0, -1, vcc_lo
	v_cmp_le_u32_e32 vcc_lo, s9, v4
	v_cndmask_b32_e64 v12, 0, -1, vcc_lo
	v_cmp_eq_u32_e32 vcc_lo, s9, v7
	s_delay_alu instid0(VALU_DEP_2) | instskip(SKIP_3) | instid1(VALU_DEP_3)
	v_cndmask_b32_e64 v3, v12, v3, s2
	v_cndmask_b32_e32 v7, v11, v10, vcc_lo
	v_add_co_u32 v10, vcc_lo, v5, 1
	v_add_co_ci_u32_e32 v11, vcc_lo, 0, v6, vcc_lo
	v_cmp_ne_u32_e32 vcc_lo, 0, v7
	s_delay_alu instid0(VALU_DEP_2) | instskip(SKIP_1) | instid1(VALU_DEP_2)
	v_dual_cndmask_b32 v4, v11, v9 :: v_dual_cndmask_b32 v7, v10, v8
	v_cmp_ne_u32_e32 vcc_lo, 0, v3
	v_dual_cndmask_b32 v3, v6, v4 :: v_dual_cndmask_b32 v4, v5, v7
	s_delay_alu instid0(VALU_DEP_1) | instskip(NEXT) | instid1(VALU_DEP_2)
	v_xor_b32_e32 v5, s5, v3
	v_xor_b32_e32 v4, s4, v4
	s_delay_alu instid0(VALU_DEP_1) | instskip(NEXT) | instid1(VALU_DEP_3)
	v_sub_co_u32 v3, vcc_lo, v4, s4
	v_subrev_co_ci_u32_e32 v4, vcc_lo, s5, v5, vcc_lo
                                        ; implicit-def: $vgpr5_vgpr6
	s_and_not1_saveexec_b32 s2, s12
	s_cbranch_execz .LBB29_5
.LBB29_8:
	v_cvt_f32_u32_e32 v3, s10
	s_sub_i32 s4, 0, s10
	v_alignbit_b32 v5, v6, v5, 2
	s_delay_alu instid0(VALU_DEP_2) | instskip(SKIP_2) | instid1(VALU_DEP_1)
	v_rcp_iflag_f32_e32 v3, v3
	s_waitcnt_depctr 0xfff
	v_mul_f32_e32 v3, 0x4f7ffffe, v3
	v_cvt_u32_f32_e32 v3, v3
	s_delay_alu instid0(VALU_DEP_1) | instskip(NEXT) | instid1(VALU_DEP_1)
	v_mul_lo_u32 v4, s4, v3
	v_mul_hi_u32 v4, v3, v4
	s_delay_alu instid0(VALU_DEP_1) | instskip(NEXT) | instid1(VALU_DEP_1)
	v_add_nc_u32_e32 v3, v3, v4
	v_mul_hi_u32 v3, v5, v3
	s_delay_alu instid0(VALU_DEP_1) | instskip(NEXT) | instid1(VALU_DEP_1)
	v_mul_lo_u32 v4, v3, s10
	v_sub_nc_u32_e32 v4, v5, v4
	v_add_nc_u32_e32 v5, 1, v3
	s_delay_alu instid0(VALU_DEP_2) | instskip(SKIP_1) | instid1(VALU_DEP_2)
	v_subrev_nc_u32_e32 v6, s10, v4
	v_cmp_le_u32_e32 vcc_lo, s10, v4
	v_dual_cndmask_b32 v4, v4, v6 :: v_dual_cndmask_b32 v3, v3, v5
	s_delay_alu instid0(VALU_DEP_1) | instskip(NEXT) | instid1(VALU_DEP_2)
	v_cmp_le_u32_e32 vcc_lo, s10, v4
	v_dual_mov_b32 v4, 0 :: v_dual_add_nc_u32 v5, 1, v3
	s_delay_alu instid0(VALU_DEP_1) | instskip(SKIP_1) | instid1(SALU_CYCLE_1)
	v_cndmask_b32_e32 v3, v3, v5, vcc_lo
	s_or_b32 exec_lo, exec_lo, s2
	s_mov_b32 s2, exec_lo
	s_delay_alu instid0(VALU_DEP_1)
	v_cmpx_gt_i64_e64 s[6:7], v[3:4]
	s_cbranch_execz .LBB29_6
.LBB29_9:
	s_ashr_i32 s2, s3, 31
	s_load_b64 s[4:5], s[0:1], 0x10
	v_mul_lo_u32 v9, v4, s10
	v_mul_lo_u32 v10, v3, s11
	v_mad_u64_u32 v[5:6], null, v3, s10, 0
	v_mul_lo_u32 v11, v4, s3
	v_mul_lo_u32 v12, v3, s2
	v_mad_u64_u32 v[7:8], null, v3, s3, 0
	v_and_b32_e32 v42, 3, v0
	s_mov_b32 s2, exec_lo
	v_add3_u32 v6, v6, v10, v9
	v_sub_co_u32 v20, vcc_lo, v1, v5
	s_delay_alu instid0(VALU_DEP_4) | instskip(NEXT) | instid1(VALU_DEP_3)
	v_add3_u32 v8, v8, v12, v11
	v_sub_co_ci_u32_e32 v21, vcc_lo, v2, v6, vcc_lo
	s_delay_alu instid0(VALU_DEP_3) | instskip(NEXT) | instid1(VALU_DEP_3)
	v_dual_mov_b32 v6, 0 :: v_dual_lshlrev_b32 v5, 7, v20
	v_lshlrev_b64 v[7:8], 1, v[7:8]
	s_delay_alu instid0(VALU_DEP_2) | instskip(SKIP_1) | instid1(VALU_DEP_2)
	v_lshlrev_b64 v[5:6], 1, v[5:6]
	s_waitcnt lgkmcnt(0)
	v_add_co_u32 v2, vcc_lo, s4, v7
	s_delay_alu instid0(VALU_DEP_3) | instskip(SKIP_1) | instid1(VALU_DEP_3)
	v_add_co_ci_u32_e32 v7, vcc_lo, s5, v8, vcc_lo
	v_lshlrev_b32_e32 v8, 6, v42
	v_add_co_u32 v2, vcc_lo, v2, v5
	s_delay_alu instid0(VALU_DEP_3) | instskip(SKIP_1) | instid1(VALU_DEP_2)
	v_add_co_ci_u32_e32 v5, vcc_lo, v7, v6, vcc_lo
	s_load_b64 s[4:5], s[0:1], 0x0
	v_add_co_u32 v17, vcc_lo, v2, v8
	s_delay_alu instid0(VALU_DEP_2)
	v_add_co_ci_u32_e32 v18, vcc_lo, 0, v5, vcc_lo
	s_clause 0x3
	global_load_b128 v[5:8], v[17:18], off
	global_load_b128 v[9:12], v[17:18], off offset:16
	global_load_b128 v[13:16], v[17:18], off offset:32
	;; [unrolled: 1-line block ×3, first 2 shown]
	s_waitcnt vmcnt(3)
	v_and_b32_e32 v2, 0xffff, v5
	v_lshrrev_b32_e32 v5, 16, v5
	v_and_b32_e32 v17, 0xffff, v6
	v_lshrrev_b32_e32 v6, 16, v6
	s_waitcnt vmcnt(0)
	v_and_b32_e32 v19, 0xffff, v40
	v_cvt_f32_u32_e32 v22, v2
	v_cvt_f32_u32_e32 v23, v5
	v_and_b32_e32 v2, 0xffff, v7
	v_lshrrev_b32_e32 v5, 16, v7
	v_cvt_f32_u32_e32 v24, v17
	v_cvt_f32_u32_e32 v25, v6
	v_max3_f32 v6, v22, 0x2edbe6ff, v23
	v_and_b32_e32 v7, 0xffff, v8
	v_lshrrev_b32_e32 v8, 16, v8
	v_cvt_f32_u32_e32 v26, v2
	v_cvt_f32_u32_e32 v27, v5
	v_max3_f32 v2, v6, v24, v25
	;; [unrolled: 5-line block ×12, first 2 shown]
	v_lshrrev_b32_e32 v38, 16, v40
	v_cvt_f32_u32_e32 v2, v16
	v_cvt_f32_u32_e32 v5, v17
	v_lshrrev_b32_e32 v39, 16, v41
	v_max3_f32 v16, v18, v14, v15
	v_and_b32_e32 v18, 0xffff, v41
	v_cvt_f32_u32_e32 v17, v19
	v_cvt_f32_u32_e32 v19, v38
	s_delay_alu instid0(VALU_DEP_4) | instskip(NEXT) | instid1(VALU_DEP_4)
	v_max3_f32 v38, v16, v2, v5
	v_cvt_f32_u32_e32 v16, v18
	v_cvt_f32_u32_e32 v18, v39
	s_delay_alu instid0(VALU_DEP_3) | instskip(NEXT) | instid1(VALU_DEP_1)
	v_max3_f32 v38, v38, v17, v19
	v_max3_f32 v38, v38, v16, v18
	s_delay_alu instid0(VALU_DEP_1) | instskip(NEXT) | instid1(VALU_DEP_1)
	v_mov_b32_dpp v39, v38 quad_perm:[1,0,3,2] row_mask:0xf bank_mask:0xf
	v_cmp_gt_f32_e32 vcc_lo, v38, v39
	v_cndmask_b32_e32 v38, v39, v38, vcc_lo
	s_delay_alu instid0(VALU_DEP_1) | instskip(NEXT) | instid1(VALU_DEP_1)
	v_mov_b32_dpp v39, v38 quad_perm:[2,3,0,1] row_mask:0xf bank_mask:0xf
	v_cmp_gt_f32_e32 vcc_lo, v38, v39
	v_cndmask_b32_e32 v38, v39, v38, vcc_lo
	s_delay_alu instid0(VALU_DEP_1)
	v_mul_f32_e32 v38, 0x3c010204, v38
	v_cmpx_eq_u32_e32 0, v42
	s_cbranch_execz .LBB29_11
; %bb.10:
	s_load_b64 s[8:9], s[0:1], 0x8
	v_mul_lo_u32 v21, v21, s6
	v_mul_lo_u32 v41, v20, s7
	v_mad_u64_u32 v[39:40], null, v20, s6, 0
	v_lshlrev_b64 v[3:4], 2, v[3:4]
	s_delay_alu instid0(VALU_DEP_2) | instskip(NEXT) | instid1(VALU_DEP_1)
	v_add3_u32 v40, v40, v41, v21
	v_lshlrev_b64 v[20:21], 2, v[39:40]
	s_waitcnt lgkmcnt(0)
	s_delay_alu instid0(VALU_DEP_1) | instskip(NEXT) | instid1(VALU_DEP_2)
	v_add_co_u32 v20, vcc_lo, s8, v20
	v_add_co_ci_u32_e32 v21, vcc_lo, s9, v21, vcc_lo
	s_delay_alu instid0(VALU_DEP_2) | instskip(NEXT) | instid1(VALU_DEP_2)
	v_add_co_u32 v3, vcc_lo, v20, v3
	v_add_co_ci_u32_e32 v4, vcc_lo, v21, v4, vcc_lo
	global_store_b32 v[3:4], v38, off
.LBB29_11:
	s_or_b32 exec_lo, exec_lo, s2
	s_delay_alu instid0(VALU_DEP_2) | instskip(SKIP_2) | instid1(VALU_DEP_2)
	v_div_scale_f32 v3, null, v38, v38, 1.0
	v_div_scale_f32 v21, vcc_lo, 1.0, v38, 1.0
	s_load_b32 s6, s[0:1], 0x30
	v_rcp_f32_e32 v4, v3
	s_waitcnt lgkmcnt(0)
	s_and_b32 s5, s5, 0xffff
	s_mov_b32 s7, -1
	v_lshlrev_b32_e32 v1, 7, v1
	s_waitcnt_depctr 0xfff
	v_fma_f32 v20, -v3, v4, 1.0
	s_delay_alu instid0(VALU_DEP_1) | instskip(NEXT) | instid1(VALU_DEP_1)
	v_fmac_f32_e32 v4, v20, v4
	v_mul_f32_e32 v20, v21, v4
	s_delay_alu instid0(VALU_DEP_1) | instskip(NEXT) | instid1(VALU_DEP_1)
	v_fma_f32 v39, -v3, v20, v21
	v_fmac_f32_e32 v20, v39, v4
	s_delay_alu instid0(VALU_DEP_1) | instskip(NEXT) | instid1(VALU_DEP_1)
	v_fma_f32 v3, -v3, v20, v21
	v_div_fmas_f32 v3, v3, v4, v20
	s_delay_alu instid0(VALU_DEP_1) | instskip(NEXT) | instid1(VALU_DEP_1)
	v_div_fixup_f32 v3, v3, v38, 1.0
	v_dual_mul_f32 v21, v3, v25 :: v_dual_lshlrev_b32 v0, 5, v0
	v_mul_f32_e32 v14, v3, v14
	v_mul_f32_e32 v18, v3, v18
	;; [unrolled: 1-line block ×4, first 2 shown]
	v_and_or_b32 v4, 0x60, v0, v1
	v_cvt_i32_f32_e32 v14, v14
	v_mul_f32_e32 v15, v3, v15
	v_cvt_i32_f32_e32 v18, v18
	v_cvt_i32_f32_e32 v16, v16
	s_delay_alu instid0(VALU_DEP_4) | instskip(NEXT) | instid1(VALU_DEP_4)
	v_dual_mul_f32 v7, v3, v7 :: v_dual_and_b32 v14, 0xff, v14
	v_cvt_i32_f32_e32 v15, v15
	s_delay_alu instid0(VALU_DEP_4) | instskip(NEXT) | instid1(VALU_DEP_4)
	v_lshlrev_b16 v18, 8, v18
	v_and_b32_e32 v16, 0xff, v16
	v_cvt_i32_f32_e32 v2, v2
	v_mul_f32_e32 v17, v3, v17
	v_mul_f32_e32 v0, v3, v22
	;; [unrolled: 1-line block ×3, first 2 shown]
	v_lshlrev_b16 v15, 8, v15
	v_or_b32_e32 v16, v16, v18
	v_and_b32_e32 v2, 0xff, v2
	v_cvt_i32_f32_e32 v17, v17
	v_mul_f32_e32 v26, v3, v30
	v_mul_f32_e32 v30, v3, v34
	;; [unrolled: 1-line block ×3, first 2 shown]
	v_or_b32_e32 v14, v14, v15
	v_lshlrev_b32_e32 v15, 16, v16
	v_and_b32_e32 v17, 0xff, v17
	v_cvt_i32_f32_e32 v26, v26
	v_cvt_i32_f32_e32 v30, v30
	v_mul_f32_e32 v23, v3, v27
	v_mul_f32_e32 v27, v3, v31
	v_cvt_i32_f32_e32 v22, v22
	v_and_b32_e32 v26, 0xff, v26
	v_and_b32_e32 v30, 0xff, v30
	v_cvt_i32_f32_e32 v23, v23
	v_cvt_i32_f32_e32 v27, v27
	v_dual_mul_f32 v31, v3, v35 :: v_dual_and_b32 v22, 0xff, v22
	v_cvt_i32_f32_e32 v7, v7
	s_delay_alu instid0(VALU_DEP_4) | instskip(NEXT) | instid1(VALU_DEP_4)
	v_lshlrev_b16 v23, 8, v23
	v_lshlrev_b16 v27, 8, v27
	s_delay_alu instid0(VALU_DEP_4)
	v_cvt_i32_f32_e32 v31, v31
	v_cvt_i32_f32_e32 v1, v1
	v_and_b32_e32 v7, 0xff, v7
	v_or_b32_e32 v22, v22, v23
	v_or_b32_e32 v26, v26, v27
	v_mul_f32_e32 v20, v3, v24
	v_mul_f32_e32 v24, v3, v28
	;; [unrolled: 1-line block ×4, first 2 shown]
	v_cvt_i32_f32_e32 v21, v21
	v_lshlrev_b16 v31, 8, v31
	v_cvt_i32_f32_e32 v24, v24
	v_dual_mul_f32 v19, v3, v19 :: v_dual_and_b32 v14, 0xffff, v14
	v_cvt_i32_f32_e32 v32, v32
	v_mul_f32_e32 v25, v3, v29
	v_mul_f32_e32 v29, v3, v33
	v_dual_mul_f32 v33, v3, v37 :: v_dual_and_b32 v24, 0xff, v24
	s_delay_alu instid0(VALU_DEP_4) | instskip(NEXT) | instid1(VALU_DEP_4)
	v_and_b32_e32 v32, 0xff, v32
	v_cvt_i32_f32_e32 v25, v25
	v_lshlrev_b16 v1, 8, v1
	s_delay_alu instid0(VALU_DEP_4)
	v_cvt_i32_f32_e32 v33, v33
	v_lshlrev_b16 v34, 8, v21
	v_or_b32_e32 v21, v30, v31
	v_lshlrev_b16 v25, 8, v25
	v_cvt_i32_f32_e32 v19, v19
	v_lshlrev_b16 v33, 8, v33
	v_mul_f32_e32 v9, v3, v9
	v_mul_f32_e32 v11, v3, v11
	v_or_b32_e32 v23, v24, v25
	v_mul_f32_e32 v12, v3, v12
	v_or_b32_e32 v30, v32, v33
	v_lshlrev_b16 v19, 8, v19
	v_cvt_i32_f32_e32 v9, v9
	v_lshlrev_b32_e32 v23, 16, v23
	v_cvt_i32_f32_e32 v0, v0
	v_lshlrev_b32_e32 v24, 16, v30
	s_delay_alu instid0(VALU_DEP_4) | instskip(SKIP_1) | instid1(VALU_DEP_4)
	v_dual_mul_f32 v10, v3, v10 :: v_dual_and_b32 v9, 0xff, v9
	v_cvt_i32_f32_e32 v11, v11
	v_and_b32_e32 v0, 0xff, v0
	v_mul_f32_e32 v6, v3, v6
	v_mul_f32_e32 v8, v3, v8
	;; [unrolled: 1-line block ×3, first 2 shown]
	v_cvt_i32_f32_e32 v12, v12
	v_or_b32_e32 v0, v0, v1
	v_mul_f32_e32 v5, v3, v5
	v_or_b32_e32 v3, v17, v19
	v_and_b32_e32 v25, 0xffff, v26
	v_and_b32_e32 v12, 0xff, v12
	;; [unrolled: 1-line block ×3, first 2 shown]
	v_cvt_i32_f32_e32 v20, v20
	v_and_b32_e32 v3, 0xffff, v3
	v_cvt_i32_f32_e32 v28, v28
	v_cvt_i32_f32_e32 v10, v10
	;; [unrolled: 1-line block ×5, first 2 shown]
	v_and_b32_e32 v28, 0xff, v28
	v_cvt_i32_f32_e32 v29, v29
	v_and_b32_e32 v11, 0xff, v11
	v_cvt_i32_f32_e32 v6, v6
	v_lshlrev_b16 v5, 8, v5
	v_lshlrev_b16 v8, 8, v8
	v_lshlrev_b16 v29, 8, v29
	v_lshlrev_b16 v13, 8, v13
	v_lshlrev_b16 v10, 8, v10
	v_lshlrev_b16 v6, 8, v6
	v_or_b32_e32 v2, v2, v5
	v_or_b32_e32 v27, v28, v29
	v_and_b32_e32 v28, 0xff, v20
	v_or_b32_e32 v5, v7, v8
	v_or_b32_e32 v7, v12, v13
	;; [unrolled: 1-line block ×5, first 2 shown]
	v_and_b32_e32 v21, 0xffff, v21
	v_lshlrev_b32_e32 v26, 16, v27
	v_and_b32_e32 v27, 0xffff, v22
	v_lshlrev_b32_e32 v2, 16, v2
	v_lshlrev_b32_e32 v1, 16, v1
	v_and_b32_e32 v5, 0xffff, v5
	v_lshlrev_b32_e32 v7, 16, v7
	v_and_b32_e32 v8, 0xffff, v8
	v_lshlrev_b32_e32 v6, 16, v6
	v_or_b32_e32 v22, v21, v24
	v_or_b32_e32 v21, v25, v26
	;; [unrolled: 1-line block ×8, first 2 shown]
	buffer_store_b128 v[19:22], v4, s[4:7], 0 offen
	;;#ASMSTART
	s_nop 0
	;;#ASMEND
	buffer_store_b128 v[0:3], v4, s[4:7], 16 offen
	;;#ASMSTART
	s_nop 0
	;;#ASMEND
	s_nop 0
	s_sendmsg sendmsg(MSG_DEALLOC_VGPRS)
	s_endpgm
	.section	.rodata,"a",@progbits
	.p2align	6, 0x0
	.amdhsa_kernel _ZN5aiter37dynamic_per_group_scaled_quant_kernelItaLi32ELi128ELb1ELi64ELb0EEEvPT0_PfPKT_PKfliilPKii
		.amdhsa_group_segment_fixed_size 0
		.amdhsa_private_segment_fixed_size 0
		.amdhsa_kernarg_size 68
		.amdhsa_user_sgpr_count 15
		.amdhsa_user_sgpr_dispatch_ptr 0
		.amdhsa_user_sgpr_queue_ptr 0
		.amdhsa_user_sgpr_kernarg_segment_ptr 1
		.amdhsa_user_sgpr_dispatch_id 0
		.amdhsa_user_sgpr_private_segment_size 0
		.amdhsa_wavefront_size32 1
		.amdhsa_uses_dynamic_stack 0
		.amdhsa_enable_private_segment 0
		.amdhsa_system_sgpr_workgroup_id_x 1
		.amdhsa_system_sgpr_workgroup_id_y 0
		.amdhsa_system_sgpr_workgroup_id_z 0
		.amdhsa_system_sgpr_workgroup_info 0
		.amdhsa_system_vgpr_workitem_id 0
		.amdhsa_next_free_vgpr 43
		.amdhsa_next_free_sgpr 16
		.amdhsa_reserve_vcc 1
		.amdhsa_float_round_mode_32 0
		.amdhsa_float_round_mode_16_64 0
		.amdhsa_float_denorm_mode_32 3
		.amdhsa_float_denorm_mode_16_64 3
		.amdhsa_dx10_clamp 1
		.amdhsa_ieee_mode 1
		.amdhsa_fp16_overflow 0
		.amdhsa_workgroup_processor_mode 1
		.amdhsa_memory_ordered 1
		.amdhsa_forward_progress 0
		.amdhsa_shared_vgpr_count 0
		.amdhsa_exception_fp_ieee_invalid_op 0
		.amdhsa_exception_fp_denorm_src 0
		.amdhsa_exception_fp_ieee_div_zero 0
		.amdhsa_exception_fp_ieee_overflow 0
		.amdhsa_exception_fp_ieee_underflow 0
		.amdhsa_exception_fp_ieee_inexact 0
		.amdhsa_exception_int_div_zero 0
	.end_amdhsa_kernel
	.section	.text._ZN5aiter37dynamic_per_group_scaled_quant_kernelItaLi32ELi128ELb1ELi64ELb0EEEvPT0_PfPKT_PKfliilPKii,"axG",@progbits,_ZN5aiter37dynamic_per_group_scaled_quant_kernelItaLi32ELi128ELb1ELi64ELb0EEEvPT0_PfPKT_PKfliilPKii,comdat
.Lfunc_end29:
	.size	_ZN5aiter37dynamic_per_group_scaled_quant_kernelItaLi32ELi128ELb1ELi64ELb0EEEvPT0_PfPKT_PKfliilPKii, .Lfunc_end29-_ZN5aiter37dynamic_per_group_scaled_quant_kernelItaLi32ELi128ELb1ELi64ELb0EEEvPT0_PfPKT_PKfliilPKii
                                        ; -- End function
	.section	.AMDGPU.csdata,"",@progbits
; Kernel info:
; codeLenInByte = 2968
; NumSgprs: 18
; NumVgprs: 43
; ScratchSize: 0
; MemoryBound: 0
; FloatMode: 240
; IeeeMode: 1
; LDSByteSize: 0 bytes/workgroup (compile time only)
; SGPRBlocks: 2
; VGPRBlocks: 5
; NumSGPRsForWavesPerEU: 18
; NumVGPRsForWavesPerEU: 43
; Occupancy: 16
; WaveLimiterHint : 0
; COMPUTE_PGM_RSRC2:SCRATCH_EN: 0
; COMPUTE_PGM_RSRC2:USER_SGPR: 15
; COMPUTE_PGM_RSRC2:TRAP_HANDLER: 0
; COMPUTE_PGM_RSRC2:TGID_X_EN: 1
; COMPUTE_PGM_RSRC2:TGID_Y_EN: 0
; COMPUTE_PGM_RSRC2:TGID_Z_EN: 0
; COMPUTE_PGM_RSRC2:TIDIG_COMP_CNT: 0
	.section	.text._ZN5aiter37dynamic_per_group_scaled_quant_kernelIDF16_DB8_Li32ELi128ELb0ELi64ELb0EEEvPT0_PfPKT_PKfliilPKii,"axG",@progbits,_ZN5aiter37dynamic_per_group_scaled_quant_kernelIDF16_DB8_Li32ELi128ELb0ELi64ELb0EEEvPT0_PfPKT_PKfliilPKii,comdat
	.protected	_ZN5aiter37dynamic_per_group_scaled_quant_kernelIDF16_DB8_Li32ELi128ELb0ELi64ELb0EEEvPT0_PfPKT_PKfliilPKii ; -- Begin function _ZN5aiter37dynamic_per_group_scaled_quant_kernelIDF16_DB8_Li32ELi128ELb0ELi64ELb0EEEvPT0_PfPKT_PKfliilPKii
	.globl	_ZN5aiter37dynamic_per_group_scaled_quant_kernelIDF16_DB8_Li32ELi128ELb0ELi64ELb0EEEvPT0_PfPKT_PKfliilPKii
	.p2align	8
	.type	_ZN5aiter37dynamic_per_group_scaled_quant_kernelIDF16_DB8_Li32ELi128ELb0ELi64ELb0EEEvPT0_PfPKT_PKfliilPKii,@function
_ZN5aiter37dynamic_per_group_scaled_quant_kernelIDF16_DB8_Li32ELi128ELb0ELi64ELb0EEEvPT0_PfPKT_PKfliilPKii: ; @_ZN5aiter37dynamic_per_group_scaled_quant_kernelIDF16_DB8_Li32ELi128ELb0ELi64ELb0EEEvPT0_PfPKT_PKfliilPKii
; %bb.0:
	s_load_b64 s[2:3], s[0:1], 0x38
	s_mov_b32 s6, s15
	s_waitcnt lgkmcnt(0)
	s_cmp_eq_u64 s[2:3], 0
	s_cbranch_scc1 .LBB30_2
; %bb.1:
	s_load_b32 s4, s[0:1], 0x40
	s_load_b32 s2, s[2:3], 0x0
	s_waitcnt lgkmcnt(0)
	s_mul_hi_i32 s5, s2, s4
	s_mul_i32 s4, s2, s4
	s_branch .LBB30_3
.LBB30_2:
	s_load_b64 s[4:5], s[0:1], 0x20
.LBB30_3:
	s_load_b64 s[2:3], s[0:1], 0x28
	s_mov_b32 s7, 0
	v_mov_b32_e32 v1, 0
	s_lshl_b64 s[6:7], s[6:7], 6
	s_delay_alu instid0(SALU_CYCLE_1) | instskip(SKIP_1) | instid1(VALU_DEP_1)
	v_or_b32_e32 v3, s6, v0
	v_mov_b32_e32 v4, s7
	v_lshrrev_b64 v[17:18], 2, v[3:4]
	s_waitcnt lgkmcnt(0)
	s_ashr_i32 s6, s2, 31
	s_delay_alu instid0(SALU_CYCLE_1) | instskip(NEXT) | instid1(SALU_CYCLE_1)
	s_lshr_b32 s6, s6, 25
	s_add_i32 s2, s2, s6
	s_delay_alu instid0(SALU_CYCLE_1) | instskip(NEXT) | instid1(SALU_CYCLE_1)
	s_ashr_i32 s10, s2, 7
	s_ashr_i32 s2, s10, 31
	s_delay_alu instid0(SALU_CYCLE_1) | instskip(NEXT) | instid1(VALU_DEP_1)
	v_or_b32_e32 v2, s2, v18
	v_cmp_ne_u64_e32 vcc_lo, 0, v[1:2]
                                        ; implicit-def: $vgpr1_vgpr2
	s_and_saveexec_b32 s6, vcc_lo
	s_delay_alu instid0(SALU_CYCLE_1)
	s_xor_b32 s11, exec_lo, s6
	s_cbranch_execnz .LBB30_7
; %bb.4:
	s_and_not1_saveexec_b32 s2, s11
	s_cbranch_execnz .LBB30_8
.LBB30_5:
	s_or_b32 exec_lo, exec_lo, s2
	s_delay_alu instid0(SALU_CYCLE_1)
	s_mov_b32 s2, exec_lo
	v_cmpx_gt_i64_e64 s[4:5], v[1:2]
	s_cbranch_execnz .LBB30_9
.LBB30_6:
	s_endpgm
.LBB30_7:
	s_add_u32 s8, s10, s2
	s_mov_b32 s6, s2
	s_mov_b32 s7, s2
	s_addc_u32 s9, s2, s2
	s_delay_alu instid0(SALU_CYCLE_1) | instskip(NEXT) | instid1(SALU_CYCLE_1)
	s_xor_b64 s[8:9], s[8:9], s[6:7]
	v_cvt_f32_u32_e32 v1, s8
	v_cvt_f32_u32_e32 v2, s9
	s_sub_u32 s2, 0, s8
	s_subb_u32 s12, 0, s9
	s_delay_alu instid0(VALU_DEP_1) | instskip(NEXT) | instid1(VALU_DEP_1)
	v_fmamk_f32 v1, v2, 0x4f800000, v1
	v_rcp_f32_e32 v1, v1
	s_waitcnt_depctr 0xfff
	v_mul_f32_e32 v1, 0x5f7ffffc, v1
	s_delay_alu instid0(VALU_DEP_1) | instskip(NEXT) | instid1(VALU_DEP_1)
	v_mul_f32_e32 v2, 0x2f800000, v1
	v_trunc_f32_e32 v2, v2
	s_delay_alu instid0(VALU_DEP_1) | instskip(SKIP_1) | instid1(VALU_DEP_2)
	v_fmamk_f32 v1, v2, 0xcf800000, v1
	v_cvt_u32_f32_e32 v2, v2
	v_cvt_u32_f32_e32 v1, v1
	s_delay_alu instid0(VALU_DEP_2) | instskip(NEXT) | instid1(VALU_DEP_2)
	v_mul_lo_u32 v3, s2, v2
	v_mul_hi_u32 v4, s2, v1
	v_mul_lo_u32 v5, s12, v1
	s_delay_alu instid0(VALU_DEP_2) | instskip(SKIP_1) | instid1(VALU_DEP_2)
	v_add_nc_u32_e32 v3, v4, v3
	v_mul_lo_u32 v4, s2, v1
	v_add_nc_u32_e32 v3, v3, v5
	s_delay_alu instid0(VALU_DEP_2) | instskip(NEXT) | instid1(VALU_DEP_2)
	v_mul_hi_u32 v5, v1, v4
	v_mul_lo_u32 v6, v1, v3
	v_mul_hi_u32 v7, v1, v3
	v_mul_hi_u32 v8, v2, v4
	v_mul_lo_u32 v4, v2, v4
	v_mul_hi_u32 v9, v2, v3
	v_mul_lo_u32 v3, v2, v3
	v_add_co_u32 v5, vcc_lo, v5, v6
	v_add_co_ci_u32_e32 v6, vcc_lo, 0, v7, vcc_lo
	s_delay_alu instid0(VALU_DEP_2) | instskip(NEXT) | instid1(VALU_DEP_2)
	v_add_co_u32 v4, vcc_lo, v5, v4
	v_add_co_ci_u32_e32 v4, vcc_lo, v6, v8, vcc_lo
	v_add_co_ci_u32_e32 v5, vcc_lo, 0, v9, vcc_lo
	s_delay_alu instid0(VALU_DEP_2) | instskip(NEXT) | instid1(VALU_DEP_2)
	v_add_co_u32 v3, vcc_lo, v4, v3
	v_add_co_ci_u32_e32 v4, vcc_lo, 0, v5, vcc_lo
	s_delay_alu instid0(VALU_DEP_2) | instskip(NEXT) | instid1(VALU_DEP_2)
	v_add_co_u32 v1, vcc_lo, v1, v3
	v_add_co_ci_u32_e32 v2, vcc_lo, v2, v4, vcc_lo
	s_delay_alu instid0(VALU_DEP_2) | instskip(SKIP_1) | instid1(VALU_DEP_3)
	v_mul_hi_u32 v3, s2, v1
	v_mul_lo_u32 v5, s12, v1
	v_mul_lo_u32 v4, s2, v2
	s_delay_alu instid0(VALU_DEP_1) | instskip(SKIP_1) | instid1(VALU_DEP_2)
	v_add_nc_u32_e32 v3, v3, v4
	v_mul_lo_u32 v4, s2, v1
	v_add_nc_u32_e32 v3, v3, v5
	s_delay_alu instid0(VALU_DEP_2) | instskip(NEXT) | instid1(VALU_DEP_2)
	v_mul_hi_u32 v5, v1, v4
	v_mul_lo_u32 v6, v1, v3
	v_mul_hi_u32 v7, v1, v3
	v_mul_hi_u32 v8, v2, v4
	v_mul_lo_u32 v4, v2, v4
	v_mul_hi_u32 v9, v2, v3
	v_mul_lo_u32 v3, v2, v3
	v_add_co_u32 v5, vcc_lo, v5, v6
	v_add_co_ci_u32_e32 v6, vcc_lo, 0, v7, vcc_lo
	s_delay_alu instid0(VALU_DEP_2) | instskip(NEXT) | instid1(VALU_DEP_2)
	v_add_co_u32 v4, vcc_lo, v5, v4
	v_add_co_ci_u32_e32 v4, vcc_lo, v6, v8, vcc_lo
	v_add_co_ci_u32_e32 v5, vcc_lo, 0, v9, vcc_lo
	s_delay_alu instid0(VALU_DEP_2) | instskip(NEXT) | instid1(VALU_DEP_2)
	v_add_co_u32 v3, vcc_lo, v4, v3
	v_add_co_ci_u32_e32 v4, vcc_lo, 0, v5, vcc_lo
	s_delay_alu instid0(VALU_DEP_2) | instskip(NEXT) | instid1(VALU_DEP_2)
	v_add_co_u32 v5, vcc_lo, v1, v3
	v_add_co_ci_u32_e32 v7, vcc_lo, v2, v4, vcc_lo
	s_delay_alu instid0(VALU_DEP_2) | instskip(SKIP_1) | instid1(VALU_DEP_3)
	v_mul_hi_u32 v8, v17, v5
	v_mad_u64_u32 v[3:4], null, v18, v5, 0
	v_mad_u64_u32 v[1:2], null, v17, v7, 0
	;; [unrolled: 1-line block ×3, first 2 shown]
	s_delay_alu instid0(VALU_DEP_2) | instskip(NEXT) | instid1(VALU_DEP_3)
	v_add_co_u32 v1, vcc_lo, v8, v1
	v_add_co_ci_u32_e32 v2, vcc_lo, 0, v2, vcc_lo
	s_delay_alu instid0(VALU_DEP_2) | instskip(NEXT) | instid1(VALU_DEP_2)
	v_add_co_u32 v1, vcc_lo, v1, v3
	v_add_co_ci_u32_e32 v1, vcc_lo, v2, v4, vcc_lo
	v_add_co_ci_u32_e32 v2, vcc_lo, 0, v6, vcc_lo
	s_delay_alu instid0(VALU_DEP_2) | instskip(NEXT) | instid1(VALU_DEP_2)
	v_add_co_u32 v3, vcc_lo, v1, v5
	v_add_co_ci_u32_e32 v4, vcc_lo, 0, v2, vcc_lo
	s_delay_alu instid0(VALU_DEP_2) | instskip(SKIP_1) | instid1(VALU_DEP_3)
	v_mul_lo_u32 v5, s9, v3
	v_mad_u64_u32 v[1:2], null, s8, v3, 0
	v_mul_lo_u32 v6, s8, v4
	s_delay_alu instid0(VALU_DEP_2) | instskip(NEXT) | instid1(VALU_DEP_2)
	v_sub_co_u32 v1, vcc_lo, v17, v1
	v_add3_u32 v2, v2, v6, v5
	s_delay_alu instid0(VALU_DEP_1) | instskip(NEXT) | instid1(VALU_DEP_1)
	v_sub_nc_u32_e32 v5, v18, v2
	v_subrev_co_ci_u32_e64 v5, s2, s9, v5, vcc_lo
	v_add_co_u32 v6, s2, v3, 2
	s_delay_alu instid0(VALU_DEP_1) | instskip(SKIP_3) | instid1(VALU_DEP_3)
	v_add_co_ci_u32_e64 v7, s2, 0, v4, s2
	v_sub_co_u32 v8, s2, v1, s8
	v_sub_co_ci_u32_e32 v2, vcc_lo, v18, v2, vcc_lo
	v_subrev_co_ci_u32_e64 v5, s2, 0, v5, s2
	v_cmp_le_u32_e32 vcc_lo, s8, v8
	s_delay_alu instid0(VALU_DEP_3) | instskip(SKIP_1) | instid1(VALU_DEP_4)
	v_cmp_eq_u32_e64 s2, s9, v2
	v_cndmask_b32_e64 v8, 0, -1, vcc_lo
	v_cmp_le_u32_e32 vcc_lo, s9, v5
	v_cndmask_b32_e64 v9, 0, -1, vcc_lo
	v_cmp_le_u32_e32 vcc_lo, s8, v1
	;; [unrolled: 2-line block ×3, first 2 shown]
	v_cndmask_b32_e64 v10, 0, -1, vcc_lo
	v_cmp_eq_u32_e32 vcc_lo, s9, v5
	s_delay_alu instid0(VALU_DEP_2) | instskip(SKIP_3) | instid1(VALU_DEP_3)
	v_cndmask_b32_e64 v1, v10, v1, s2
	v_cndmask_b32_e32 v5, v9, v8, vcc_lo
	v_add_co_u32 v8, vcc_lo, v3, 1
	v_add_co_ci_u32_e32 v9, vcc_lo, 0, v4, vcc_lo
	v_cmp_ne_u32_e32 vcc_lo, 0, v5
	s_delay_alu instid0(VALU_DEP_2) | instskip(SKIP_1) | instid1(VALU_DEP_2)
	v_dual_cndmask_b32 v2, v9, v7 :: v_dual_cndmask_b32 v5, v8, v6
	v_cmp_ne_u32_e32 vcc_lo, 0, v1
	v_dual_cndmask_b32 v1, v4, v2 :: v_dual_cndmask_b32 v2, v3, v5
	s_delay_alu instid0(VALU_DEP_1) | instskip(NEXT) | instid1(VALU_DEP_2)
	v_xor_b32_e32 v3, s7, v1
	v_xor_b32_e32 v2, s6, v2
	s_delay_alu instid0(VALU_DEP_1) | instskip(NEXT) | instid1(VALU_DEP_3)
	v_sub_co_u32 v1, vcc_lo, v2, s6
	v_subrev_co_ci_u32_e32 v2, vcc_lo, s7, v3, vcc_lo
                                        ; implicit-def: $vgpr3_vgpr4
	s_and_not1_saveexec_b32 s2, s11
	s_cbranch_execz .LBB30_5
.LBB30_8:
	v_cvt_f32_u32_e32 v1, s10
	s_sub_i32 s6, 0, s10
	v_alignbit_b32 v3, v4, v3, 2
	s_delay_alu instid0(VALU_DEP_2) | instskip(SKIP_2) | instid1(VALU_DEP_1)
	v_rcp_iflag_f32_e32 v1, v1
	s_waitcnt_depctr 0xfff
	v_mul_f32_e32 v1, 0x4f7ffffe, v1
	v_cvt_u32_f32_e32 v1, v1
	s_delay_alu instid0(VALU_DEP_1) | instskip(NEXT) | instid1(VALU_DEP_1)
	v_mul_lo_u32 v2, s6, v1
	v_mul_hi_u32 v2, v1, v2
	s_delay_alu instid0(VALU_DEP_1) | instskip(NEXT) | instid1(VALU_DEP_1)
	v_add_nc_u32_e32 v1, v1, v2
	v_mul_hi_u32 v1, v3, v1
	s_delay_alu instid0(VALU_DEP_1) | instskip(NEXT) | instid1(VALU_DEP_1)
	v_mul_lo_u32 v2, v1, s10
	v_sub_nc_u32_e32 v2, v3, v2
	v_add_nc_u32_e32 v3, 1, v1
	s_delay_alu instid0(VALU_DEP_2) | instskip(SKIP_1) | instid1(VALU_DEP_2)
	v_subrev_nc_u32_e32 v4, s10, v2
	v_cmp_le_u32_e32 vcc_lo, s10, v2
	v_dual_cndmask_b32 v2, v2, v4 :: v_dual_cndmask_b32 v1, v1, v3
	s_delay_alu instid0(VALU_DEP_1) | instskip(NEXT) | instid1(VALU_DEP_2)
	v_cmp_le_u32_e32 vcc_lo, s10, v2
	v_dual_mov_b32 v2, 0 :: v_dual_add_nc_u32 v3, 1, v1
	s_delay_alu instid0(VALU_DEP_1) | instskip(SKIP_1) | instid1(SALU_CYCLE_1)
	v_cndmask_b32_e32 v1, v1, v3, vcc_lo
	s_or_b32 exec_lo, exec_lo, s2
	s_mov_b32 s2, exec_lo
	s_delay_alu instid0(VALU_DEP_1)
	v_cmpx_gt_i64_e64 s[4:5], v[1:2]
	s_cbranch_execz .LBB30_6
.LBB30_9:
	s_ashr_i32 s2, s3, 31
	s_load_b64 s[4:5], s[0:1], 0x10
	v_mul_lo_u32 v4, v1, s10
	v_mul_lo_u32 v5, v2, s3
	v_mad_u64_u32 v[2:3], null, v1, s3, 0
	v_mul_lo_u32 v1, v1, s2
	v_and_b32_e32 v36, 3, v0
	s_mov_b32 s2, exec_lo
	v_sub_nc_u32_e32 v4, v17, v4
	s_delay_alu instid0(VALU_DEP_3) | instskip(NEXT) | instid1(VALU_DEP_2)
	v_add3_u32 v3, v3, v1, v5
	v_dual_mov_b32 v5, 0 :: v_dual_lshlrev_b32 v4, 7, v4
	s_delay_alu instid0(VALU_DEP_2) | instskip(NEXT) | instid1(VALU_DEP_2)
	v_lshlrev_b64 v[1:2], 1, v[2:3]
	v_lshlrev_b64 v[3:4], 1, v[4:5]
	v_lshlrev_b32_e32 v5, 6, v36
	s_waitcnt lgkmcnt(0)
	s_delay_alu instid0(VALU_DEP_3) | instskip(NEXT) | instid1(VALU_DEP_4)
	v_add_co_u32 v1, vcc_lo, s4, v1
	v_add_co_ci_u32_e32 v2, vcc_lo, s5, v2, vcc_lo
	s_load_b64 s[4:5], s[0:1], 0x0
	s_delay_alu instid0(VALU_DEP_2) | instskip(NEXT) | instid1(VALU_DEP_2)
	v_add_co_u32 v1, vcc_lo, v1, v3
	v_add_co_ci_u32_e32 v2, vcc_lo, v2, v4, vcc_lo
	s_delay_alu instid0(VALU_DEP_2) | instskip(NEXT) | instid1(VALU_DEP_2)
	v_add_co_u32 v1, vcc_lo, v1, v5
	v_add_co_ci_u32_e32 v2, vcc_lo, 0, v2, vcc_lo
	s_clause 0x3
	global_load_b128 v[9:12], v[1:2], off
	global_load_b128 v[13:16], v[1:2], off offset:16
	global_load_b128 v[5:8], v[1:2], off offset:32
	;; [unrolled: 1-line block ×3, first 2 shown]
	s_waitcnt vmcnt(3)
	v_lshrrev_b32_e32 v27, 16, v9
	v_cvt_f32_f16_e64 v19, |v9|
	v_lshrrev_b32_e32 v28, 16, v10
	v_cvt_f32_f16_e64 v21, |v10|
	;; [unrolled: 2-line block ×4, first 2 shown]
	s_waitcnt vmcnt(2)
	v_lshrrev_b32_e32 v31, 16, v13
	v_cvt_f32_f16_e64 v23, |v29|
	v_max3_f32 v19, v19, 0x2edbe6ff, v20
	v_cvt_f32_f16_e64 v20, |v11|
	v_lshrrev_b32_e32 v32, 16, v14
	v_lshrrev_b32_e32 v33, 16, v15
	;; [unrolled: 1-line block ×3, first 2 shown]
	v_max3_f32 v19, v19, v21, v22
	v_cvt_f32_f16_e64 v21, |v12|
	v_cvt_f32_f16_e64 v22, |v30|
	v_cvt_f32_f16_e64 v24, |v33|
	v_cvt_f32_f16_e64 v25, |v34|
	v_max3_f32 v19, v19, v20, v23
	v_cvt_f32_f16_e64 v20, |v13|
	v_cvt_f32_f16_e64 v23, |v31|
	s_waitcnt vmcnt(1)
	v_cvt_f32_f16_e64 v35, |v7|
	v_max3_f32 v19, v19, v21, v22
	v_cvt_f32_f16_e64 v21, |v14|
	v_cvt_f32_f16_e64 v22, |v32|
	s_delay_alu instid0(VALU_DEP_3) | instskip(SKIP_2) | instid1(VALU_DEP_3)
	v_max3_f32 v19, v19, v20, v23
	v_cvt_f32_f16_e64 v23, |v15|
	v_lshrrev_b32_e32 v20, 16, v5
	v_max3_f32 v19, v19, v21, v22
	v_cvt_f32_f16_e64 v22, |v16|
	v_lshrrev_b32_e32 v21, 16, v6
	s_delay_alu instid0(VALU_DEP_4) | instskip(NEXT) | instid1(VALU_DEP_4)
	v_cvt_f32_f16_e64 v26, |v20|
	v_max3_f32 v19, v19, v23, v24
	v_cvt_f32_f16_e64 v24, |v5|
	v_lshrrev_b32_e32 v23, 16, v7
	s_delay_alu instid0(VALU_DEP_3) | instskip(SKIP_2) | instid1(VALU_DEP_4)
	v_max3_f32 v19, v19, v22, v25
	v_cvt_f32_f16_e64 v22, |v6|
	v_cvt_f32_f16_e64 v25, |v21|
	v_cvt_f32_f16_e64 v37, |v23|
	s_delay_alu instid0(VALU_DEP_4) | instskip(SKIP_3) | instid1(VALU_DEP_3)
	v_max3_f32 v19, v19, v24, v26
	v_lshrrev_b32_e32 v24, 16, v8
	s_waitcnt vmcnt(0)
	v_lshrrev_b32_e32 v26, 16, v1
	v_max3_f32 v19, v19, v22, v25
	v_cvt_f32_f16_e64 v25, |v8|
	v_cvt_f32_f16_e64 v38, |v24|
	v_lshrrev_b32_e32 v22, 16, v2
	s_delay_alu instid0(VALU_DEP_4) | instskip(SKIP_2) | instid1(VALU_DEP_4)
	v_max3_f32 v19, v19, v35, v37
	v_cvt_f32_f16_e64 v35, |v1|
	v_cvt_f32_f16_e64 v37, |v26|
	;; [unrolled: 1-line block ×3, first 2 shown]
	s_delay_alu instid0(VALU_DEP_4) | instskip(SKIP_2) | instid1(VALU_DEP_3)
	v_max3_f32 v19, v19, v25, v38
	v_cvt_f32_f16_e64 v38, |v2|
	v_lshrrev_b32_e32 v25, 16, v3
	v_max3_f32 v35, v19, v35, v37
	v_cvt_f32_f16_e64 v37, |v3|
	v_lshrrev_b32_e32 v19, 16, v4
	s_delay_alu instid0(VALU_DEP_4) | instskip(NEXT) | instid1(VALU_DEP_4)
	v_cvt_f32_f16_e64 v40, |v25|
	v_max3_f32 v35, v35, v38, v39
	v_cvt_f32_f16_e64 v38, |v4|
	s_delay_alu instid0(VALU_DEP_4) | instskip(NEXT) | instid1(VALU_DEP_3)
	v_cvt_f32_f16_e64 v39, |v19|
	v_max3_f32 v35, v35, v37, v40
	s_delay_alu instid0(VALU_DEP_1) | instskip(NEXT) | instid1(VALU_DEP_1)
	v_max3_f32 v35, v35, v38, v39
	v_mov_b32_dpp v37, v35 quad_perm:[1,0,3,2] row_mask:0xf bank_mask:0xf
	s_delay_alu instid0(VALU_DEP_1) | instskip(SKIP_1) | instid1(VALU_DEP_1)
	v_cmp_gt_f32_e32 vcc_lo, v35, v37
	v_cndmask_b32_e32 v35, v37, v35, vcc_lo
	v_mov_b32_dpp v37, v35 quad_perm:[2,3,0,1] row_mask:0xf bank_mask:0xf
	s_delay_alu instid0(VALU_DEP_1) | instskip(SKIP_1) | instid1(VALU_DEP_1)
	v_cmp_gt_f32_e32 vcc_lo, v35, v37
	v_cndmask_b32_e32 v35, v37, v35, vcc_lo
	v_mul_f32_e32 v35, 0x3b124925, v35
	v_cmpx_eq_u32_e32 0, v36
	s_cbranch_execz .LBB30_11
; %bb.10:
	s_load_b64 s[6:7], s[0:1], 0x8
	v_lshlrev_b64 v[36:37], 2, v[17:18]
	s_waitcnt lgkmcnt(0)
	s_delay_alu instid0(VALU_DEP_1) | instskip(NEXT) | instid1(VALU_DEP_2)
	v_add_co_u32 v36, vcc_lo, s6, v36
	v_add_co_ci_u32_e32 v37, vcc_lo, s7, v37, vcc_lo
	global_store_b32 v[36:37], v35, off
.LBB30_11:
	s_or_b32 exec_lo, exec_lo, s2
	s_delay_alu instid0(VALU_DEP_2) | instskip(SKIP_2) | instid1(VALU_DEP_3)
	v_div_scale_f32 v18, null, v35, v35, 1.0
	v_div_scale_f32 v38, vcc_lo, 1.0, v35, 1.0
	v_cvt_f32_f16_e32 v9, v9
	v_rcp_f32_e32 v36, v18
	v_lshlrev_b32_e32 v0, 5, v0
	s_load_b32 s6, s[0:1], 0x30
	v_cvt_f32_f16_e32 v27, v27
	v_cvt_f32_f16_e32 v10, v10
	;; [unrolled: 1-line block ×7, first 2 shown]
	v_fma_f32 v37, -v18, v36, 1.0
	v_cvt_f32_f16_e32 v33, v33
	v_cvt_f32_f16_e32 v34, v34
	;; [unrolled: 1-line block ×4, first 2 shown]
	v_dual_fmac_f32 v36, v37, v36 :: v_dual_lshlrev_b32 v17, 7, v17
	v_cvt_f32_f16_e32 v13, v13
	v_cvt_f32_f16_e32 v14, v14
	;; [unrolled: 1-line block ×3, first 2 shown]
	s_delay_alu instid0(VALU_DEP_4)
	v_mul_f32_e32 v37, v38, v36
	v_cvt_f32_f16_e32 v16, v16
	s_waitcnt lgkmcnt(0)
	s_and_b32 s5, s5, 0xffff
	s_mov_b32 s7, -1
	v_cvt_f32_f16_e32 v6, v6
	v_fma_f32 v39, -v18, v37, v38
	v_cvt_f32_f16_e32 v7, v7
	v_cvt_f32_f16_e32 v8, v8
	;; [unrolled: 1-line block ×4, first 2 shown]
	v_fmac_f32_e32 v37, v39, v36
	v_cvt_f32_f16_e32 v4, v4
	s_delay_alu instid0(VALU_DEP_2) | instskip(NEXT) | instid1(VALU_DEP_1)
	v_fma_f32 v18, -v18, v37, v38
	v_div_fmas_f32 v18, v18, v36, v37
	v_mov_b32_e32 v36, 0x43e00000
	s_delay_alu instid0(VALU_DEP_2) | instskip(SKIP_2) | instid1(VALU_DEP_3)
	v_div_fixup_f32 v18, v18, v35, 1.0
	v_mov_b32_e32 v35, 0xc3e00000
	v_and_or_b32 v17, 0x60, v0, v17
	v_mul_f32_e32 v0, v18, v9
	v_mul_f32_e32 v9, v18, v27
	;; [unrolled: 1-line block ×10, first 2 shown]
	;;#ASMSTART
	v_med3_f32 v0, v0, v35, v36
v_med3_f32 v9, v9, v35, v36
v_cvt_pk_fp8_f32 v34, v0, v9
	;;#ASMEND
	v_mul_f32_e32 v11, v18, v11
	v_mul_f32_e32 v12, v18, v12
	;;#ASMSTART
	v_med3_f32 v10, v10, v35, v36
v_med3_f32 v27, v27, v35, v36
v_cvt_pk_fp8_f32 v0, v10, v27
	;;#ASMEND
	v_mul_f32_e32 v13, v18, v13
	v_mul_f32_e32 v14, v18, v14
	;;#ASMSTART
	v_med3_f32 v11, v11, v35, v36
v_med3_f32 v28, v28, v35, v36
v_cvt_pk_fp8_f32 v9, v11, v28
	;;#ASMEND
	;;#ASMSTART
	v_med3_f32 v12, v12, v35, v36
v_med3_f32 v29, v29, v35, v36
v_cvt_pk_fp8_f32 v10, v12, v29
	;;#ASMEND
	;; [unrolled: 5-line block ×4, first 2 shown]
	v_perm_b32 v14, v0, v34, 0x5040100
	v_mul_f32_e32 v15, v18, v15
	v_mul_f32_e32 v16, v18, v16
	;;#ASMSTART
	v_med3_f32 v15, v15, v35, v36
v_med3_f32 v32, v32, v35, v36
v_cvt_pk_fp8_f32 v13, v15, v32
	;;#ASMEND
	;;#ASMSTART
	v_med3_f32 v16, v16, v35, v36
v_med3_f32 v33, v33, v35, v36
v_cvt_pk_fp8_f32 v15, v16, v33
	;;#ASMEND
	v_perm_b32 v10, v9, v10, 0x1000504
	v_perm_b32 v11, v11, v12, 0x1000504
	;; [unrolled: 1-line block ×4, first 2 shown]
	v_cvt_f32_f16_e32 v0, v5
	v_cvt_f32_f16_e32 v5, v20
	;; [unrolled: 1-line block ×4, first 2 shown]
	buffer_store_b128 v[9:12], v17, s[4:7], 0 offen
	v_cvt_f32_f16_e32 v9, v21
	v_cvt_f32_f16_e32 v10, v23
	;; [unrolled: 1-line block ×3, first 2 shown]
	v_mul_f32_e32 v0, v18, v0
	v_mul_f32_e32 v1, v18, v5
	;;#ASMSTART
	s_nop 0
	;;#ASMEND
	v_mul_f32_e32 v5, v18, v6
	v_mul_f32_e32 v6, v18, v9
	;;#ASMSTART
	v_med3_f32 v0, v0, v35, v36
v_med3_f32 v1, v1, v35, v36
v_cvt_pk_fp8_f32 v15, v0, v1
	;;#ASMEND
	v_cvt_f32_f16_e32 v11, v24
	;;#ASMSTART
	v_med3_f32 v5, v5, v35, v36
v_med3_f32 v6, v6, v35, v36
v_cvt_pk_fp8_f32 v0, v5, v6
	;;#ASMEND
	v_perm_b32 v1, v0, v15, 0x5040100
	v_cvt_f32_f16_e32 v9, v22
	v_mul_f32_e32 v6, v18, v10
	v_cvt_f32_f16_e32 v10, v19
	v_mul_f32_e32 v5, v18, v7
	v_mul_f32_e32 v7, v18, v8
	;; [unrolled: 1-line block ×3, first 2 shown]
	v_perm_b32 v0, v1, v0, 0x1060504
	;;#ASMSTART
	v_med3_f32 v5, v5, v35, v36
v_med3_f32 v6, v6, v35, v36
v_cvt_pk_fp8_f32 v1, v5, v6
	;;#ASMEND
	;;#ASMSTART
	v_med3_f32 v7, v7, v35, v36
v_med3_f32 v8, v8, v35, v36
v_cvt_pk_fp8_f32 v5, v7, v8
	;;#ASMEND
	v_perm_b32 v1, v1, v5, 0x1000504
	v_mul_f32_e32 v5, v18, v12
	v_mul_f32_e32 v6, v18, v13
	;; [unrolled: 1-line block ×5, first 2 shown]
	;;#ASMSTART
	v_med3_f32 v5, v5, v35, v36
v_med3_f32 v6, v6, v35, v36
v_cvt_pk_fp8_f32 v10, v5, v6
	;;#ASMEND
	v_mul_f32_e32 v3, v18, v3
	v_mul_f32_e32 v8, v18, v14
	;;#ASMSTART
	v_med3_f32 v2, v2, v35, v36
v_med3_f32 v7, v7, v35, v36
v_cvt_pk_fp8_f32 v5, v2, v7
	;;#ASMEND
	v_mul_f32_e32 v4, v18, v4
	v_perm_b32 v2, v10, v5, 0x1000504
	;;#ASMSTART
	v_med3_f32 v3, v3, v35, v36
v_med3_f32 v8, v8, v35, v36
v_cvt_pk_fp8_f32 v5, v3, v8
	;;#ASMEND
	;;#ASMSTART
	v_med3_f32 v4, v4, v35, v36
v_med3_f32 v9, v9, v35, v36
v_cvt_pk_fp8_f32 v3, v4, v9
	;;#ASMEND
	v_perm_b32 v3, v5, v3, 0x1000504
	buffer_store_b128 v[0:3], v17, s[4:7], 16 offen
	;;#ASMSTART
	s_nop 0
	;;#ASMEND
	s_nop 0
	s_sendmsg sendmsg(MSG_DEALLOC_VGPRS)
	s_endpgm
	.section	.rodata,"a",@progbits
	.p2align	6, 0x0
	.amdhsa_kernel _ZN5aiter37dynamic_per_group_scaled_quant_kernelIDF16_DB8_Li32ELi128ELb0ELi64ELb0EEEvPT0_PfPKT_PKfliilPKii
		.amdhsa_group_segment_fixed_size 0
		.amdhsa_private_segment_fixed_size 0
		.amdhsa_kernarg_size 68
		.amdhsa_user_sgpr_count 15
		.amdhsa_user_sgpr_dispatch_ptr 0
		.amdhsa_user_sgpr_queue_ptr 0
		.amdhsa_user_sgpr_kernarg_segment_ptr 1
		.amdhsa_user_sgpr_dispatch_id 0
		.amdhsa_user_sgpr_private_segment_size 0
		.amdhsa_wavefront_size32 1
		.amdhsa_uses_dynamic_stack 0
		.amdhsa_enable_private_segment 0
		.amdhsa_system_sgpr_workgroup_id_x 1
		.amdhsa_system_sgpr_workgroup_id_y 0
		.amdhsa_system_sgpr_workgroup_id_z 0
		.amdhsa_system_sgpr_workgroup_info 0
		.amdhsa_system_vgpr_workitem_id 0
		.amdhsa_next_free_vgpr 41
		.amdhsa_next_free_sgpr 16
		.amdhsa_reserve_vcc 1
		.amdhsa_float_round_mode_32 0
		.amdhsa_float_round_mode_16_64 0
		.amdhsa_float_denorm_mode_32 3
		.amdhsa_float_denorm_mode_16_64 3
		.amdhsa_dx10_clamp 1
		.amdhsa_ieee_mode 1
		.amdhsa_fp16_overflow 0
		.amdhsa_workgroup_processor_mode 1
		.amdhsa_memory_ordered 1
		.amdhsa_forward_progress 0
		.amdhsa_shared_vgpr_count 0
		.amdhsa_exception_fp_ieee_invalid_op 0
		.amdhsa_exception_fp_denorm_src 0
		.amdhsa_exception_fp_ieee_div_zero 0
		.amdhsa_exception_fp_ieee_overflow 0
		.amdhsa_exception_fp_ieee_underflow 0
		.amdhsa_exception_fp_ieee_inexact 0
		.amdhsa_exception_int_div_zero 0
	.end_amdhsa_kernel
	.section	.text._ZN5aiter37dynamic_per_group_scaled_quant_kernelIDF16_DB8_Li32ELi128ELb0ELi64ELb0EEEvPT0_PfPKT_PKfliilPKii,"axG",@progbits,_ZN5aiter37dynamic_per_group_scaled_quant_kernelIDF16_DB8_Li32ELi128ELb0ELi64ELb0EEEvPT0_PfPKT_PKfliilPKii,comdat
.Lfunc_end30:
	.size	_ZN5aiter37dynamic_per_group_scaled_quant_kernelIDF16_DB8_Li32ELi128ELb0ELi64ELb0EEEvPT0_PfPKT_PKfliilPKii, .Lfunc_end30-_ZN5aiter37dynamic_per_group_scaled_quant_kernelIDF16_DB8_Li32ELi128ELb0ELi64ELb0EEEvPT0_PfPKT_PKfliilPKii
                                        ; -- End function
	.section	.AMDGPU.csdata,"",@progbits
; Kernel info:
; codeLenInByte = 3516
; NumSgprs: 18
; NumVgprs: 41
; ScratchSize: 0
; MemoryBound: 0
; FloatMode: 240
; IeeeMode: 1
; LDSByteSize: 0 bytes/workgroup (compile time only)
; SGPRBlocks: 2
; VGPRBlocks: 5
; NumSGPRsForWavesPerEU: 18
; NumVGPRsForWavesPerEU: 41
; Occupancy: 16
; WaveLimiterHint : 0
; COMPUTE_PGM_RSRC2:SCRATCH_EN: 0
; COMPUTE_PGM_RSRC2:USER_SGPR: 15
; COMPUTE_PGM_RSRC2:TRAP_HANDLER: 0
; COMPUTE_PGM_RSRC2:TGID_X_EN: 1
; COMPUTE_PGM_RSRC2:TGID_Y_EN: 0
; COMPUTE_PGM_RSRC2:TGID_Z_EN: 0
; COMPUTE_PGM_RSRC2:TIDIG_COMP_CNT: 0
	.section	.text._ZN5aiter37dynamic_per_group_scaled_quant_kernelItDB8_Li32ELi128ELb0ELi64ELb0EEEvPT0_PfPKT_PKfliilPKii,"axG",@progbits,_ZN5aiter37dynamic_per_group_scaled_quant_kernelItDB8_Li32ELi128ELb0ELi64ELb0EEEvPT0_PfPKT_PKfliilPKii,comdat
	.protected	_ZN5aiter37dynamic_per_group_scaled_quant_kernelItDB8_Li32ELi128ELb0ELi64ELb0EEEvPT0_PfPKT_PKfliilPKii ; -- Begin function _ZN5aiter37dynamic_per_group_scaled_quant_kernelItDB8_Li32ELi128ELb0ELi64ELb0EEEvPT0_PfPKT_PKfliilPKii
	.globl	_ZN5aiter37dynamic_per_group_scaled_quant_kernelItDB8_Li32ELi128ELb0ELi64ELb0EEEvPT0_PfPKT_PKfliilPKii
	.p2align	8
	.type	_ZN5aiter37dynamic_per_group_scaled_quant_kernelItDB8_Li32ELi128ELb0ELi64ELb0EEEvPT0_PfPKT_PKfliilPKii,@function
_ZN5aiter37dynamic_per_group_scaled_quant_kernelItDB8_Li32ELi128ELb0ELi64ELb0EEEvPT0_PfPKT_PKfliilPKii: ; @_ZN5aiter37dynamic_per_group_scaled_quant_kernelItDB8_Li32ELi128ELb0ELi64ELb0EEEvPT0_PfPKT_PKfliilPKii
; %bb.0:
	s_load_b64 s[2:3], s[0:1], 0x38
	s_mov_b32 s6, s15
	s_waitcnt lgkmcnt(0)
	s_cmp_eq_u64 s[2:3], 0
	s_cbranch_scc1 .LBB31_2
; %bb.1:
	s_load_b32 s4, s[0:1], 0x40
	s_load_b32 s2, s[2:3], 0x0
	s_waitcnt lgkmcnt(0)
	s_mul_hi_i32 s5, s2, s4
	s_mul_i32 s4, s2, s4
	s_branch .LBB31_3
.LBB31_2:
	s_load_b64 s[4:5], s[0:1], 0x20
.LBB31_3:
	s_load_b64 s[2:3], s[0:1], 0x28
	s_mov_b32 s7, 0
	v_mov_b32_e32 v3, 0
	s_lshl_b64 s[6:7], s[6:7], 6
	s_delay_alu instid0(SALU_CYCLE_1) | instskip(SKIP_1) | instid1(VALU_DEP_1)
	v_or_b32_e32 v5, s6, v0
	v_mov_b32_e32 v6, s7
	v_lshrrev_b64 v[1:2], 2, v[5:6]
	s_waitcnt lgkmcnt(0)
	s_ashr_i32 s6, s2, 31
	s_delay_alu instid0(SALU_CYCLE_1) | instskip(NEXT) | instid1(SALU_CYCLE_1)
	s_lshr_b32 s6, s6, 25
	s_add_i32 s2, s2, s6
	s_delay_alu instid0(SALU_CYCLE_1) | instskip(NEXT) | instid1(SALU_CYCLE_1)
	s_ashr_i32 s10, s2, 7
	s_ashr_i32 s2, s10, 31
	s_delay_alu instid0(SALU_CYCLE_1) | instskip(NEXT) | instid1(VALU_DEP_1)
	v_or_b32_e32 v4, s2, v2
	v_cmp_ne_u64_e32 vcc_lo, 0, v[3:4]
                                        ; implicit-def: $vgpr3_vgpr4
	s_and_saveexec_b32 s6, vcc_lo
	s_delay_alu instid0(SALU_CYCLE_1)
	s_xor_b32 s11, exec_lo, s6
	s_cbranch_execnz .LBB31_7
; %bb.4:
	s_and_not1_saveexec_b32 s2, s11
	s_cbranch_execnz .LBB31_8
.LBB31_5:
	s_or_b32 exec_lo, exec_lo, s2
	s_delay_alu instid0(SALU_CYCLE_1)
	s_mov_b32 s2, exec_lo
	v_cmpx_gt_i64_e64 s[4:5], v[3:4]
	s_cbranch_execnz .LBB31_9
.LBB31_6:
	s_endpgm
.LBB31_7:
	s_add_u32 s8, s10, s2
	s_mov_b32 s6, s2
	s_mov_b32 s7, s2
	s_addc_u32 s9, s2, s2
	s_delay_alu instid0(SALU_CYCLE_1) | instskip(NEXT) | instid1(SALU_CYCLE_1)
	s_xor_b64 s[8:9], s[8:9], s[6:7]
	v_cvt_f32_u32_e32 v3, s8
	v_cvt_f32_u32_e32 v4, s9
	s_sub_u32 s2, 0, s8
	s_subb_u32 s12, 0, s9
	s_delay_alu instid0(VALU_DEP_1) | instskip(NEXT) | instid1(VALU_DEP_1)
	v_fmamk_f32 v3, v4, 0x4f800000, v3
	v_rcp_f32_e32 v3, v3
	s_waitcnt_depctr 0xfff
	v_mul_f32_e32 v3, 0x5f7ffffc, v3
	s_delay_alu instid0(VALU_DEP_1) | instskip(NEXT) | instid1(VALU_DEP_1)
	v_mul_f32_e32 v4, 0x2f800000, v3
	v_trunc_f32_e32 v4, v4
	s_delay_alu instid0(VALU_DEP_1) | instskip(SKIP_1) | instid1(VALU_DEP_2)
	v_fmamk_f32 v3, v4, 0xcf800000, v3
	v_cvt_u32_f32_e32 v4, v4
	v_cvt_u32_f32_e32 v3, v3
	s_delay_alu instid0(VALU_DEP_2) | instskip(NEXT) | instid1(VALU_DEP_2)
	v_mul_lo_u32 v5, s2, v4
	v_mul_hi_u32 v6, s2, v3
	v_mul_lo_u32 v7, s12, v3
	s_delay_alu instid0(VALU_DEP_2) | instskip(SKIP_1) | instid1(VALU_DEP_2)
	v_add_nc_u32_e32 v5, v6, v5
	v_mul_lo_u32 v6, s2, v3
	v_add_nc_u32_e32 v5, v5, v7
	s_delay_alu instid0(VALU_DEP_2) | instskip(NEXT) | instid1(VALU_DEP_2)
	v_mul_hi_u32 v7, v3, v6
	v_mul_lo_u32 v8, v3, v5
	v_mul_hi_u32 v9, v3, v5
	v_mul_hi_u32 v10, v4, v6
	v_mul_lo_u32 v6, v4, v6
	v_mul_hi_u32 v11, v4, v5
	v_mul_lo_u32 v5, v4, v5
	v_add_co_u32 v7, vcc_lo, v7, v8
	v_add_co_ci_u32_e32 v8, vcc_lo, 0, v9, vcc_lo
	s_delay_alu instid0(VALU_DEP_2) | instskip(NEXT) | instid1(VALU_DEP_2)
	v_add_co_u32 v6, vcc_lo, v7, v6
	v_add_co_ci_u32_e32 v6, vcc_lo, v8, v10, vcc_lo
	v_add_co_ci_u32_e32 v7, vcc_lo, 0, v11, vcc_lo
	s_delay_alu instid0(VALU_DEP_2) | instskip(NEXT) | instid1(VALU_DEP_2)
	v_add_co_u32 v5, vcc_lo, v6, v5
	v_add_co_ci_u32_e32 v6, vcc_lo, 0, v7, vcc_lo
	s_delay_alu instid0(VALU_DEP_2) | instskip(NEXT) | instid1(VALU_DEP_2)
	v_add_co_u32 v3, vcc_lo, v3, v5
	v_add_co_ci_u32_e32 v4, vcc_lo, v4, v6, vcc_lo
	s_delay_alu instid0(VALU_DEP_2) | instskip(SKIP_1) | instid1(VALU_DEP_3)
	v_mul_hi_u32 v5, s2, v3
	v_mul_lo_u32 v7, s12, v3
	v_mul_lo_u32 v6, s2, v4
	s_delay_alu instid0(VALU_DEP_1) | instskip(SKIP_1) | instid1(VALU_DEP_2)
	v_add_nc_u32_e32 v5, v5, v6
	v_mul_lo_u32 v6, s2, v3
	v_add_nc_u32_e32 v5, v5, v7
	s_delay_alu instid0(VALU_DEP_2) | instskip(NEXT) | instid1(VALU_DEP_2)
	v_mul_hi_u32 v7, v3, v6
	v_mul_lo_u32 v8, v3, v5
	v_mul_hi_u32 v9, v3, v5
	v_mul_hi_u32 v10, v4, v6
	v_mul_lo_u32 v6, v4, v6
	v_mul_hi_u32 v11, v4, v5
	v_mul_lo_u32 v5, v4, v5
	v_add_co_u32 v7, vcc_lo, v7, v8
	v_add_co_ci_u32_e32 v8, vcc_lo, 0, v9, vcc_lo
	s_delay_alu instid0(VALU_DEP_2) | instskip(NEXT) | instid1(VALU_DEP_2)
	v_add_co_u32 v6, vcc_lo, v7, v6
	v_add_co_ci_u32_e32 v6, vcc_lo, v8, v10, vcc_lo
	v_add_co_ci_u32_e32 v7, vcc_lo, 0, v11, vcc_lo
	s_delay_alu instid0(VALU_DEP_2) | instskip(NEXT) | instid1(VALU_DEP_2)
	v_add_co_u32 v5, vcc_lo, v6, v5
	v_add_co_ci_u32_e32 v6, vcc_lo, 0, v7, vcc_lo
	s_delay_alu instid0(VALU_DEP_2) | instskip(NEXT) | instid1(VALU_DEP_2)
	v_add_co_u32 v7, vcc_lo, v3, v5
	v_add_co_ci_u32_e32 v9, vcc_lo, v4, v6, vcc_lo
	s_delay_alu instid0(VALU_DEP_2) | instskip(SKIP_1) | instid1(VALU_DEP_3)
	v_mul_hi_u32 v10, v1, v7
	v_mad_u64_u32 v[5:6], null, v2, v7, 0
	v_mad_u64_u32 v[3:4], null, v1, v9, 0
	;; [unrolled: 1-line block ×3, first 2 shown]
	s_delay_alu instid0(VALU_DEP_2) | instskip(NEXT) | instid1(VALU_DEP_3)
	v_add_co_u32 v3, vcc_lo, v10, v3
	v_add_co_ci_u32_e32 v4, vcc_lo, 0, v4, vcc_lo
	s_delay_alu instid0(VALU_DEP_2) | instskip(NEXT) | instid1(VALU_DEP_2)
	v_add_co_u32 v3, vcc_lo, v3, v5
	v_add_co_ci_u32_e32 v3, vcc_lo, v4, v6, vcc_lo
	v_add_co_ci_u32_e32 v4, vcc_lo, 0, v8, vcc_lo
	s_delay_alu instid0(VALU_DEP_2) | instskip(NEXT) | instid1(VALU_DEP_2)
	v_add_co_u32 v5, vcc_lo, v3, v7
	v_add_co_ci_u32_e32 v6, vcc_lo, 0, v4, vcc_lo
	s_delay_alu instid0(VALU_DEP_2) | instskip(SKIP_1) | instid1(VALU_DEP_3)
	v_mul_lo_u32 v7, s9, v5
	v_mad_u64_u32 v[3:4], null, s8, v5, 0
	v_mul_lo_u32 v8, s8, v6
	s_delay_alu instid0(VALU_DEP_2) | instskip(NEXT) | instid1(VALU_DEP_2)
	v_sub_co_u32 v3, vcc_lo, v1, v3
	v_add3_u32 v4, v4, v8, v7
	s_delay_alu instid0(VALU_DEP_1) | instskip(NEXT) | instid1(VALU_DEP_1)
	v_sub_nc_u32_e32 v7, v2, v4
	v_subrev_co_ci_u32_e64 v7, s2, s9, v7, vcc_lo
	v_add_co_u32 v8, s2, v5, 2
	s_delay_alu instid0(VALU_DEP_1) | instskip(SKIP_3) | instid1(VALU_DEP_3)
	v_add_co_ci_u32_e64 v9, s2, 0, v6, s2
	v_sub_co_u32 v10, s2, v3, s8
	v_sub_co_ci_u32_e32 v4, vcc_lo, v2, v4, vcc_lo
	v_subrev_co_ci_u32_e64 v7, s2, 0, v7, s2
	v_cmp_le_u32_e32 vcc_lo, s8, v10
	s_delay_alu instid0(VALU_DEP_3) | instskip(SKIP_1) | instid1(VALU_DEP_4)
	v_cmp_eq_u32_e64 s2, s9, v4
	v_cndmask_b32_e64 v10, 0, -1, vcc_lo
	v_cmp_le_u32_e32 vcc_lo, s9, v7
	v_cndmask_b32_e64 v11, 0, -1, vcc_lo
	v_cmp_le_u32_e32 vcc_lo, s8, v3
	;; [unrolled: 2-line block ×3, first 2 shown]
	v_cndmask_b32_e64 v12, 0, -1, vcc_lo
	v_cmp_eq_u32_e32 vcc_lo, s9, v7
	s_delay_alu instid0(VALU_DEP_2) | instskip(SKIP_3) | instid1(VALU_DEP_3)
	v_cndmask_b32_e64 v3, v12, v3, s2
	v_cndmask_b32_e32 v7, v11, v10, vcc_lo
	v_add_co_u32 v10, vcc_lo, v5, 1
	v_add_co_ci_u32_e32 v11, vcc_lo, 0, v6, vcc_lo
	v_cmp_ne_u32_e32 vcc_lo, 0, v7
	s_delay_alu instid0(VALU_DEP_2) | instskip(SKIP_1) | instid1(VALU_DEP_2)
	v_dual_cndmask_b32 v4, v11, v9 :: v_dual_cndmask_b32 v7, v10, v8
	v_cmp_ne_u32_e32 vcc_lo, 0, v3
	v_dual_cndmask_b32 v3, v6, v4 :: v_dual_cndmask_b32 v4, v5, v7
	s_delay_alu instid0(VALU_DEP_1) | instskip(NEXT) | instid1(VALU_DEP_2)
	v_xor_b32_e32 v5, s7, v3
	v_xor_b32_e32 v4, s6, v4
	s_delay_alu instid0(VALU_DEP_1) | instskip(NEXT) | instid1(VALU_DEP_3)
	v_sub_co_u32 v3, vcc_lo, v4, s6
	v_subrev_co_ci_u32_e32 v4, vcc_lo, s7, v5, vcc_lo
                                        ; implicit-def: $vgpr5_vgpr6
	s_and_not1_saveexec_b32 s2, s11
	s_cbranch_execz .LBB31_5
.LBB31_8:
	v_cvt_f32_u32_e32 v3, s10
	s_sub_i32 s6, 0, s10
	v_alignbit_b32 v5, v6, v5, 2
	s_delay_alu instid0(VALU_DEP_2) | instskip(SKIP_2) | instid1(VALU_DEP_1)
	v_rcp_iflag_f32_e32 v3, v3
	s_waitcnt_depctr 0xfff
	v_mul_f32_e32 v3, 0x4f7ffffe, v3
	v_cvt_u32_f32_e32 v3, v3
	s_delay_alu instid0(VALU_DEP_1) | instskip(NEXT) | instid1(VALU_DEP_1)
	v_mul_lo_u32 v4, s6, v3
	v_mul_hi_u32 v4, v3, v4
	s_delay_alu instid0(VALU_DEP_1) | instskip(NEXT) | instid1(VALU_DEP_1)
	v_add_nc_u32_e32 v3, v3, v4
	v_mul_hi_u32 v3, v5, v3
	s_delay_alu instid0(VALU_DEP_1) | instskip(NEXT) | instid1(VALU_DEP_1)
	v_mul_lo_u32 v4, v3, s10
	v_sub_nc_u32_e32 v4, v5, v4
	v_add_nc_u32_e32 v5, 1, v3
	s_delay_alu instid0(VALU_DEP_2) | instskip(SKIP_1) | instid1(VALU_DEP_2)
	v_subrev_nc_u32_e32 v6, s10, v4
	v_cmp_le_u32_e32 vcc_lo, s10, v4
	v_dual_cndmask_b32 v4, v4, v6 :: v_dual_cndmask_b32 v3, v3, v5
	s_delay_alu instid0(VALU_DEP_1) | instskip(NEXT) | instid1(VALU_DEP_2)
	v_cmp_le_u32_e32 vcc_lo, s10, v4
	v_dual_mov_b32 v4, 0 :: v_dual_add_nc_u32 v5, 1, v3
	s_delay_alu instid0(VALU_DEP_1) | instskip(SKIP_1) | instid1(SALU_CYCLE_1)
	v_cndmask_b32_e32 v3, v3, v5, vcc_lo
	s_or_b32 exec_lo, exec_lo, s2
	s_mov_b32 s2, exec_lo
	s_delay_alu instid0(VALU_DEP_1)
	v_cmpx_gt_i64_e64 s[4:5], v[3:4]
	s_cbranch_execz .LBB31_6
.LBB31_9:
	s_ashr_i32 s2, s3, 31
	s_load_b64 s[4:5], s[0:1], 0x10
	v_mul_lo_u32 v6, v3, s10
	v_mul_lo_u32 v7, v4, s3
	v_mad_u64_u32 v[4:5], null, v3, s3, 0
	v_mul_lo_u32 v3, v3, s2
	v_and_b32_e32 v39, 3, v0
	s_mov_b32 s2, exec_lo
	v_sub_nc_u32_e32 v6, v1, v6
	s_delay_alu instid0(VALU_DEP_3) | instskip(NEXT) | instid1(VALU_DEP_2)
	v_add3_u32 v5, v5, v3, v7
	v_dual_mov_b32 v7, 0 :: v_dual_lshlrev_b32 v6, 7, v6
	s_delay_alu instid0(VALU_DEP_2) | instskip(NEXT) | instid1(VALU_DEP_2)
	v_lshlrev_b64 v[3:4], 1, v[4:5]
	v_lshlrev_b64 v[5:6], 1, v[6:7]
	v_lshlrev_b32_e32 v7, 6, v39
	s_waitcnt lgkmcnt(0)
	s_delay_alu instid0(VALU_DEP_3) | instskip(NEXT) | instid1(VALU_DEP_4)
	v_add_co_u32 v3, vcc_lo, s4, v3
	v_add_co_ci_u32_e32 v4, vcc_lo, s5, v4, vcc_lo
	s_load_b64 s[4:5], s[0:1], 0x0
	s_delay_alu instid0(VALU_DEP_2) | instskip(NEXT) | instid1(VALU_DEP_2)
	v_add_co_u32 v3, vcc_lo, v3, v5
	v_add_co_ci_u32_e32 v4, vcc_lo, v4, v6, vcc_lo
	s_delay_alu instid0(VALU_DEP_2) | instskip(NEXT) | instid1(VALU_DEP_2)
	v_add_co_u32 v11, vcc_lo, v3, v7
	v_add_co_ci_u32_e32 v12, vcc_lo, 0, v4, vcc_lo
	s_clause 0x3
	global_load_b128 v[3:6], v[11:12], off
	global_load_b128 v[7:10], v[11:12], off offset:16
	global_load_b128 v[14:17], v[11:12], off offset:32
	;; [unrolled: 1-line block ×3, first 2 shown]
	s_waitcnt vmcnt(3)
	v_and_b32_e32 v11, 0xffff, v3
	v_lshrrev_b32_e32 v3, 16, v3
	v_and_b32_e32 v12, 0xffff, v4
	v_lshrrev_b32_e32 v4, 16, v4
	s_delay_alu instid0(VALU_DEP_4) | instskip(NEXT) | instid1(VALU_DEP_4)
	v_cvt_f32_u32_e32 v33, v11
	v_cvt_f32_u32_e32 v34, v3
	v_and_b32_e32 v3, 0xffff, v5
	v_lshrrev_b32_e32 v5, 16, v5
	v_cvt_f32_u32_e32 v31, v12
	v_cvt_f32_u32_e32 v32, v4
	v_max3_f32 v4, v33, 0x2edbe6ff, v34
	v_and_b32_e32 v11, 0xffff, v6
	v_lshrrev_b32_e32 v6, 16, v6
	v_cvt_f32_u32_e32 v27, v3
	v_cvt_f32_u32_e32 v28, v5
	v_max3_f32 v3, v4, v31, v32
	s_waitcnt vmcnt(2)
	v_and_b32_e32 v4, 0xffff, v7
	v_lshrrev_b32_e32 v5, 16, v7
	v_cvt_f32_u32_e32 v29, v11
	v_cvt_f32_u32_e32 v30, v6
	v_max3_f32 v3, v3, v27, v28
	v_and_b32_e32 v6, 0xffff, v8
	v_lshrrev_b32_e32 v7, 16, v8
	v_cvt_f32_u32_e32 v23, v4
	v_cvt_f32_u32_e32 v24, v5
	v_max3_f32 v3, v3, v29, v30
	v_and_b32_e32 v4, 0xffff, v9
	v_lshrrev_b32_e32 v5, 16, v9
	v_cvt_f32_u32_e32 v25, v6
	v_cvt_f32_u32_e32 v26, v7
	v_max3_f32 v3, v3, v23, v24
	v_and_b32_e32 v6, 0xffff, v10
	v_lshrrev_b32_e32 v7, 16, v10
	v_cvt_f32_u32_e32 v19, v4
	v_cvt_f32_u32_e32 v20, v5
	v_max3_f32 v3, v3, v25, v26
	s_waitcnt vmcnt(1)
	v_and_b32_e32 v4, 0xffff, v14
	v_lshrrev_b32_e32 v5, 16, v14
	v_cvt_f32_u32_e32 v21, v6
	v_cvt_f32_u32_e32 v22, v7
	v_max3_f32 v3, v3, v19, v20
	v_and_b32_e32 v6, 0xffff, v15
	v_lshrrev_b32_e32 v7, 16, v15
	v_cvt_f32_u32_e32 v13, v4
	v_cvt_f32_u32_e32 v14, v5
	v_max3_f32 v3, v3, v21, v22
	;; [unrolled: 21-line block ×3, first 2 shown]
	v_and_b32_e32 v4, 0xffff, v37
	v_lshrrev_b32_e32 v8, 16, v37
	v_cvt_f32_u32_e32 v5, v6
	v_cvt_f32_u32_e32 v6, v7
	v_max3_f32 v3, v3, v17, v18
	v_and_b32_e32 v35, 0xffff, v38
	v_lshrrev_b32_e32 v36, 16, v38
	v_cvt_f32_u32_e32 v7, v4
	v_cvt_f32_u32_e32 v8, v8
	v_max3_f32 v37, v3, v5, v6
	v_cvt_f32_u32_e32 v3, v35
	v_cvt_f32_u32_e32 v4, v36
	s_delay_alu instid0(VALU_DEP_3) | instskip(NEXT) | instid1(VALU_DEP_1)
	v_max3_f32 v35, v37, v7, v8
	v_max3_f32 v35, v35, v3, v4
	s_delay_alu instid0(VALU_DEP_1) | instskip(NEXT) | instid1(VALU_DEP_1)
	v_mov_b32_dpp v36, v35 quad_perm:[1,0,3,2] row_mask:0xf bank_mask:0xf
	v_cmp_gt_f32_e32 vcc_lo, v35, v36
	v_cndmask_b32_e32 v35, v36, v35, vcc_lo
	s_delay_alu instid0(VALU_DEP_1) | instskip(NEXT) | instid1(VALU_DEP_1)
	v_mov_b32_dpp v36, v35 quad_perm:[2,3,0,1] row_mask:0xf bank_mask:0xf
	v_cmp_gt_f32_e32 vcc_lo, v35, v36
	v_cndmask_b32_e32 v35, v36, v35, vcc_lo
	s_delay_alu instid0(VALU_DEP_1)
	v_mul_f32_e32 v35, 0x3b124925, v35
	v_cmpx_eq_u32_e32 0, v39
	s_cbranch_execz .LBB31_11
; %bb.10:
	s_load_b64 s[6:7], s[0:1], 0x8
	v_lshlrev_b64 v[36:37], 2, v[1:2]
	s_waitcnt lgkmcnt(0)
	s_delay_alu instid0(VALU_DEP_1) | instskip(NEXT) | instid1(VALU_DEP_2)
	v_add_co_u32 v36, vcc_lo, s6, v36
	v_add_co_ci_u32_e32 v37, vcc_lo, s7, v37, vcc_lo
	global_store_b32 v[36:37], v35, off
.LBB31_11:
	s_or_b32 exec_lo, exec_lo, s2
	s_delay_alu instid0(VALU_DEP_2) | instskip(SKIP_2) | instid1(VALU_DEP_2)
	v_div_scale_f32 v2, null, v35, v35, 1.0
	v_div_scale_f32 v38, vcc_lo, 1.0, v35, 1.0
	s_load_b32 s6, s[0:1], 0x30
	v_rcp_f32_e32 v36, v2
	v_lshlrev_b32_e32 v0, 5, v0
	s_waitcnt lgkmcnt(0)
	s_and_b32 s5, s5, 0xffff
	s_mov_b32 s7, -1
	v_lshlrev_b32_e32 v1, 7, v1
	s_waitcnt_depctr 0xfff
	v_fma_f32 v37, -v2, v36, 1.0
	s_delay_alu instid0(VALU_DEP_1) | instskip(NEXT) | instid1(VALU_DEP_1)
	v_fmac_f32_e32 v36, v37, v36
	v_mul_f32_e32 v37, v38, v36
	s_delay_alu instid0(VALU_DEP_1) | instskip(NEXT) | instid1(VALU_DEP_1)
	v_fma_f32 v39, -v2, v37, v38
	v_fmac_f32_e32 v37, v39, v36
	s_delay_alu instid0(VALU_DEP_1) | instskip(NEXT) | instid1(VALU_DEP_1)
	v_fma_f32 v2, -v2, v37, v38
	v_div_fmas_f32 v2, v2, v36, v37
	v_mov_b32_e32 v36, 0x43e00000
	s_delay_alu instid0(VALU_DEP_2) | instskip(SKIP_2) | instid1(VALU_DEP_3)
	v_div_fixup_f32 v2, v2, v35, 1.0
	v_mov_b32_e32 v35, 0xc3e00000
	v_and_or_b32 v37, 0x60, v0, v1
	v_mul_f32_e32 v0, v2, v33
	v_mul_f32_e32 v1, v2, v34
	;; [unrolled: 1-line block ×5, first 2 shown]
	;;#ASMSTART
	v_med3_f32 v0, v0, v35, v36
v_med3_f32 v1, v1, v35, v36
v_cvt_pk_fp8_f32 v9, v0, v1
	;;#ASMEND
	;;#ASMSTART
	v_med3_f32 v31, v31, v35, v36
v_med3_f32 v32, v32, v35, v36
v_cvt_pk_fp8_f32 v0, v31, v32
	;;#ASMEND
	v_perm_b32 v9, v0, v9, 0x5040100
	v_mul_f32_e32 v27, v2, v27
	v_mul_f32_e32 v28, v2, v28
	;; [unrolled: 1-line block ×12, first 2 shown]
	;;#ASMSTART
	v_med3_f32 v27, v27, v35, v36
v_med3_f32 v28, v28, v35, v36
v_cvt_pk_fp8_f32 v1, v27, v28
	;;#ASMEND
	;;#ASMSTART
	v_med3_f32 v29, v29, v35, v36
v_med3_f32 v30, v30, v35, v36
v_cvt_pk_fp8_f32 v10, v29, v30
	;;#ASMEND
	;; [unrolled: 5-line block ×3, first 2 shown]
	v_mul_f32_e32 v21, v2, v21
	v_mul_f32_e32 v22, v2, v22
	;; [unrolled: 1-line block ×3, first 2 shown]
	;;#ASMSTART
	v_med3_f32 v25, v25, v35, v36
v_med3_f32 v26, v26, v35, v36
v_cvt_pk_fp8_f32 v12, v25, v26
	;;#ASMEND
	;;#ASMSTART
	v_med3_f32 v19, v19, v35, v36
v_med3_f32 v20, v20, v35, v36
v_cvt_pk_fp8_f32 v23, v19, v20
	;;#ASMEND
	;; [unrolled: 5-line block ×3, first 2 shown]
	v_perm_b32 v10, v1, v10, 0x1000504
	v_perm_b32 v11, v11, v12, 0x1000504
	;; [unrolled: 1-line block ×4, first 2 shown]
	v_mul_f32_e32 v13, v2, v13
	v_mul_f32_e32 v14, v2, v14
	;; [unrolled: 1-line block ×8, first 2 shown]
	buffer_store_b128 v[9:12], v37, s[4:7], 0 offen
	;;#ASMSTART
	s_nop 0
	;;#ASMEND
	;;#ASMSTART
	v_med3_f32 v13, v13, v35, v36
v_med3_f32 v14, v14, v35, v36
v_cvt_pk_fp8_f32 v1, v13, v14
	;;#ASMEND
	;;#ASMSTART
	v_med3_f32 v15, v15, v35, v36
v_med3_f32 v16, v16, v35, v36
v_cvt_pk_fp8_f32 v8, v15, v16
	;;#ASMEND
	v_perm_b32 v11, v8, v1, 0x5040100
	v_mul_f32_e32 v17, v2, v17
	v_mul_f32_e32 v18, v2, v18
	;;#ASMSTART
	v_med3_f32 v33, v33, v35, v36
v_med3_f32 v34, v34, v35, v36
v_cvt_pk_fp8_f32 v9, v33, v34
	;;#ASMEND
	;;#ASMSTART
	v_med3_f32 v38, v38, v35, v36
v_med3_f32 v39, v39, v35, v36
v_cvt_pk_fp8_f32 v10, v38, v39
	;;#ASMEND
	v_perm_b32 v1, v9, v10, 0x1000504
	v_mul_f32_e32 v3, v2, v3
	v_mul_f32_e32 v4, v2, v4
	;;#ASMSTART
	v_med3_f32 v17, v17, v35, v36
v_med3_f32 v18, v18, v35, v36
v_cvt_pk_fp8_f32 v2, v17, v18
	;;#ASMEND
	;;#ASMSTART
	v_med3_f32 v0, v0, v35, v36
v_med3_f32 v5, v5, v35, v36
v_cvt_pk_fp8_f32 v9, v0, v5
	;;#ASMEND
	;; [unrolled: 5-line block ×4, first 2 shown]
	v_perm_b32 v2, v2, v9, 0x1000504
	v_perm_b32 v3, v0, v5, 0x1000504
	;; [unrolled: 1-line block ×3, first 2 shown]
	buffer_store_b128 v[0:3], v37, s[4:7], 16 offen
	;;#ASMSTART
	s_nop 0
	;;#ASMEND
	s_nop 0
	s_sendmsg sendmsg(MSG_DEALLOC_VGPRS)
	s_endpgm
	.section	.rodata,"a",@progbits
	.p2align	6, 0x0
	.amdhsa_kernel _ZN5aiter37dynamic_per_group_scaled_quant_kernelItDB8_Li32ELi128ELb0ELi64ELb0EEEvPT0_PfPKT_PKfliilPKii
		.amdhsa_group_segment_fixed_size 0
		.amdhsa_private_segment_fixed_size 0
		.amdhsa_kernarg_size 68
		.amdhsa_user_sgpr_count 15
		.amdhsa_user_sgpr_dispatch_ptr 0
		.amdhsa_user_sgpr_queue_ptr 0
		.amdhsa_user_sgpr_kernarg_segment_ptr 1
		.amdhsa_user_sgpr_dispatch_id 0
		.amdhsa_user_sgpr_private_segment_size 0
		.amdhsa_wavefront_size32 1
		.amdhsa_uses_dynamic_stack 0
		.amdhsa_enable_private_segment 0
		.amdhsa_system_sgpr_workgroup_id_x 1
		.amdhsa_system_sgpr_workgroup_id_y 0
		.amdhsa_system_sgpr_workgroup_id_z 0
		.amdhsa_system_sgpr_workgroup_info 0
		.amdhsa_system_vgpr_workitem_id 0
		.amdhsa_next_free_vgpr 40
		.amdhsa_next_free_sgpr 16
		.amdhsa_reserve_vcc 1
		.amdhsa_float_round_mode_32 0
		.amdhsa_float_round_mode_16_64 0
		.amdhsa_float_denorm_mode_32 3
		.amdhsa_float_denorm_mode_16_64 3
		.amdhsa_dx10_clamp 1
		.amdhsa_ieee_mode 1
		.amdhsa_fp16_overflow 0
		.amdhsa_workgroup_processor_mode 1
		.amdhsa_memory_ordered 1
		.amdhsa_forward_progress 0
		.amdhsa_shared_vgpr_count 0
		.amdhsa_exception_fp_ieee_invalid_op 0
		.amdhsa_exception_fp_denorm_src 0
		.amdhsa_exception_fp_ieee_div_zero 0
		.amdhsa_exception_fp_ieee_overflow 0
		.amdhsa_exception_fp_ieee_underflow 0
		.amdhsa_exception_fp_ieee_inexact 0
		.amdhsa_exception_int_div_zero 0
	.end_amdhsa_kernel
	.section	.text._ZN5aiter37dynamic_per_group_scaled_quant_kernelItDB8_Li32ELi128ELb0ELi64ELb0EEEvPT0_PfPKT_PKfliilPKii,"axG",@progbits,_ZN5aiter37dynamic_per_group_scaled_quant_kernelItDB8_Li32ELi128ELb0ELi64ELb0EEEvPT0_PfPKT_PKfliilPKii,comdat
.Lfunc_end31:
	.size	_ZN5aiter37dynamic_per_group_scaled_quant_kernelItDB8_Li32ELi128ELb0ELi64ELb0EEEvPT0_PfPKT_PKfliilPKii, .Lfunc_end31-_ZN5aiter37dynamic_per_group_scaled_quant_kernelItDB8_Li32ELi128ELb0ELi64ELb0EEEvPT0_PfPKT_PKfliilPKii
                                        ; -- End function
	.section	.AMDGPU.csdata,"",@progbits
; Kernel info:
; codeLenInByte = 3372
; NumSgprs: 18
; NumVgprs: 40
; ScratchSize: 0
; MemoryBound: 0
; FloatMode: 240
; IeeeMode: 1
; LDSByteSize: 0 bytes/workgroup (compile time only)
; SGPRBlocks: 2
; VGPRBlocks: 4
; NumSGPRsForWavesPerEU: 18
; NumVGPRsForWavesPerEU: 40
; Occupancy: 16
; WaveLimiterHint : 0
; COMPUTE_PGM_RSRC2:SCRATCH_EN: 0
; COMPUTE_PGM_RSRC2:USER_SGPR: 15
; COMPUTE_PGM_RSRC2:TRAP_HANDLER: 0
; COMPUTE_PGM_RSRC2:TGID_X_EN: 1
; COMPUTE_PGM_RSRC2:TGID_Y_EN: 0
; COMPUTE_PGM_RSRC2:TGID_Z_EN: 0
; COMPUTE_PGM_RSRC2:TIDIG_COMP_CNT: 0
	.section	.text._ZN5aiter37dynamic_per_group_scaled_quant_kernelIDF16_aLi32ELi128ELb0ELi64ELb0EEEvPT0_PfPKT_PKfliilPKii,"axG",@progbits,_ZN5aiter37dynamic_per_group_scaled_quant_kernelIDF16_aLi32ELi128ELb0ELi64ELb0EEEvPT0_PfPKT_PKfliilPKii,comdat
	.protected	_ZN5aiter37dynamic_per_group_scaled_quant_kernelIDF16_aLi32ELi128ELb0ELi64ELb0EEEvPT0_PfPKT_PKfliilPKii ; -- Begin function _ZN5aiter37dynamic_per_group_scaled_quant_kernelIDF16_aLi32ELi128ELb0ELi64ELb0EEEvPT0_PfPKT_PKfliilPKii
	.globl	_ZN5aiter37dynamic_per_group_scaled_quant_kernelIDF16_aLi32ELi128ELb0ELi64ELb0EEEvPT0_PfPKT_PKfliilPKii
	.p2align	8
	.type	_ZN5aiter37dynamic_per_group_scaled_quant_kernelIDF16_aLi32ELi128ELb0ELi64ELb0EEEvPT0_PfPKT_PKfliilPKii,@function
_ZN5aiter37dynamic_per_group_scaled_quant_kernelIDF16_aLi32ELi128ELb0ELi64ELb0EEEvPT0_PfPKT_PKfliilPKii: ; @_ZN5aiter37dynamic_per_group_scaled_quant_kernelIDF16_aLi32ELi128ELb0ELi64ELb0EEEvPT0_PfPKT_PKfliilPKii
; %bb.0:
	s_load_b64 s[2:3], s[0:1], 0x38
	s_mov_b32 s6, s15
	s_waitcnt lgkmcnt(0)
	s_cmp_eq_u64 s[2:3], 0
	s_cbranch_scc1 .LBB32_2
; %bb.1:
	s_load_b32 s4, s[0:1], 0x40
	s_load_b32 s2, s[2:3], 0x0
	s_waitcnt lgkmcnt(0)
	s_mul_hi_i32 s5, s2, s4
	s_mul_i32 s4, s2, s4
	s_branch .LBB32_3
.LBB32_2:
	s_load_b64 s[4:5], s[0:1], 0x20
.LBB32_3:
	s_load_b64 s[2:3], s[0:1], 0x28
	s_mov_b32 s7, 0
	v_mov_b32_e32 v1, 0
	s_lshl_b64 s[6:7], s[6:7], 6
	s_delay_alu instid0(SALU_CYCLE_1) | instskip(SKIP_1) | instid1(VALU_DEP_1)
	v_or_b32_e32 v3, s6, v0
	v_mov_b32_e32 v4, s7
	v_lshrrev_b64 v[17:18], 2, v[3:4]
	s_waitcnt lgkmcnt(0)
	s_ashr_i32 s6, s2, 31
	s_delay_alu instid0(SALU_CYCLE_1) | instskip(NEXT) | instid1(SALU_CYCLE_1)
	s_lshr_b32 s6, s6, 25
	s_add_i32 s2, s2, s6
	s_delay_alu instid0(SALU_CYCLE_1) | instskip(NEXT) | instid1(SALU_CYCLE_1)
	s_ashr_i32 s10, s2, 7
	s_ashr_i32 s2, s10, 31
	s_delay_alu instid0(SALU_CYCLE_1) | instskip(NEXT) | instid1(VALU_DEP_1)
	v_or_b32_e32 v2, s2, v18
	v_cmp_ne_u64_e32 vcc_lo, 0, v[1:2]
                                        ; implicit-def: $vgpr1_vgpr2
	s_and_saveexec_b32 s6, vcc_lo
	s_delay_alu instid0(SALU_CYCLE_1)
	s_xor_b32 s11, exec_lo, s6
	s_cbranch_execnz .LBB32_7
; %bb.4:
	s_and_not1_saveexec_b32 s2, s11
	s_cbranch_execnz .LBB32_8
.LBB32_5:
	s_or_b32 exec_lo, exec_lo, s2
	s_delay_alu instid0(SALU_CYCLE_1)
	s_mov_b32 s2, exec_lo
	v_cmpx_gt_i64_e64 s[4:5], v[1:2]
	s_cbranch_execnz .LBB32_9
.LBB32_6:
	s_endpgm
.LBB32_7:
	s_add_u32 s8, s10, s2
	s_mov_b32 s6, s2
	s_mov_b32 s7, s2
	s_addc_u32 s9, s2, s2
	s_delay_alu instid0(SALU_CYCLE_1) | instskip(NEXT) | instid1(SALU_CYCLE_1)
	s_xor_b64 s[8:9], s[8:9], s[6:7]
	v_cvt_f32_u32_e32 v1, s8
	v_cvt_f32_u32_e32 v2, s9
	s_sub_u32 s2, 0, s8
	s_subb_u32 s12, 0, s9
	s_delay_alu instid0(VALU_DEP_1) | instskip(NEXT) | instid1(VALU_DEP_1)
	v_fmamk_f32 v1, v2, 0x4f800000, v1
	v_rcp_f32_e32 v1, v1
	s_waitcnt_depctr 0xfff
	v_mul_f32_e32 v1, 0x5f7ffffc, v1
	s_delay_alu instid0(VALU_DEP_1) | instskip(NEXT) | instid1(VALU_DEP_1)
	v_mul_f32_e32 v2, 0x2f800000, v1
	v_trunc_f32_e32 v2, v2
	s_delay_alu instid0(VALU_DEP_1) | instskip(SKIP_1) | instid1(VALU_DEP_2)
	v_fmamk_f32 v1, v2, 0xcf800000, v1
	v_cvt_u32_f32_e32 v2, v2
	v_cvt_u32_f32_e32 v1, v1
	s_delay_alu instid0(VALU_DEP_2) | instskip(NEXT) | instid1(VALU_DEP_2)
	v_mul_lo_u32 v3, s2, v2
	v_mul_hi_u32 v4, s2, v1
	v_mul_lo_u32 v5, s12, v1
	s_delay_alu instid0(VALU_DEP_2) | instskip(SKIP_1) | instid1(VALU_DEP_2)
	v_add_nc_u32_e32 v3, v4, v3
	v_mul_lo_u32 v4, s2, v1
	v_add_nc_u32_e32 v3, v3, v5
	s_delay_alu instid0(VALU_DEP_2) | instskip(NEXT) | instid1(VALU_DEP_2)
	v_mul_hi_u32 v5, v1, v4
	v_mul_lo_u32 v6, v1, v3
	v_mul_hi_u32 v7, v1, v3
	v_mul_hi_u32 v8, v2, v4
	v_mul_lo_u32 v4, v2, v4
	v_mul_hi_u32 v9, v2, v3
	v_mul_lo_u32 v3, v2, v3
	v_add_co_u32 v5, vcc_lo, v5, v6
	v_add_co_ci_u32_e32 v6, vcc_lo, 0, v7, vcc_lo
	s_delay_alu instid0(VALU_DEP_2) | instskip(NEXT) | instid1(VALU_DEP_2)
	v_add_co_u32 v4, vcc_lo, v5, v4
	v_add_co_ci_u32_e32 v4, vcc_lo, v6, v8, vcc_lo
	v_add_co_ci_u32_e32 v5, vcc_lo, 0, v9, vcc_lo
	s_delay_alu instid0(VALU_DEP_2) | instskip(NEXT) | instid1(VALU_DEP_2)
	v_add_co_u32 v3, vcc_lo, v4, v3
	v_add_co_ci_u32_e32 v4, vcc_lo, 0, v5, vcc_lo
	s_delay_alu instid0(VALU_DEP_2) | instskip(NEXT) | instid1(VALU_DEP_2)
	v_add_co_u32 v1, vcc_lo, v1, v3
	v_add_co_ci_u32_e32 v2, vcc_lo, v2, v4, vcc_lo
	s_delay_alu instid0(VALU_DEP_2) | instskip(SKIP_1) | instid1(VALU_DEP_3)
	v_mul_hi_u32 v3, s2, v1
	v_mul_lo_u32 v5, s12, v1
	v_mul_lo_u32 v4, s2, v2
	s_delay_alu instid0(VALU_DEP_1) | instskip(SKIP_1) | instid1(VALU_DEP_2)
	v_add_nc_u32_e32 v3, v3, v4
	v_mul_lo_u32 v4, s2, v1
	v_add_nc_u32_e32 v3, v3, v5
	s_delay_alu instid0(VALU_DEP_2) | instskip(NEXT) | instid1(VALU_DEP_2)
	v_mul_hi_u32 v5, v1, v4
	v_mul_lo_u32 v6, v1, v3
	v_mul_hi_u32 v7, v1, v3
	v_mul_hi_u32 v8, v2, v4
	v_mul_lo_u32 v4, v2, v4
	v_mul_hi_u32 v9, v2, v3
	v_mul_lo_u32 v3, v2, v3
	v_add_co_u32 v5, vcc_lo, v5, v6
	v_add_co_ci_u32_e32 v6, vcc_lo, 0, v7, vcc_lo
	s_delay_alu instid0(VALU_DEP_2) | instskip(NEXT) | instid1(VALU_DEP_2)
	v_add_co_u32 v4, vcc_lo, v5, v4
	v_add_co_ci_u32_e32 v4, vcc_lo, v6, v8, vcc_lo
	v_add_co_ci_u32_e32 v5, vcc_lo, 0, v9, vcc_lo
	s_delay_alu instid0(VALU_DEP_2) | instskip(NEXT) | instid1(VALU_DEP_2)
	v_add_co_u32 v3, vcc_lo, v4, v3
	v_add_co_ci_u32_e32 v4, vcc_lo, 0, v5, vcc_lo
	s_delay_alu instid0(VALU_DEP_2) | instskip(NEXT) | instid1(VALU_DEP_2)
	v_add_co_u32 v5, vcc_lo, v1, v3
	v_add_co_ci_u32_e32 v7, vcc_lo, v2, v4, vcc_lo
	s_delay_alu instid0(VALU_DEP_2) | instskip(SKIP_1) | instid1(VALU_DEP_3)
	v_mul_hi_u32 v8, v17, v5
	v_mad_u64_u32 v[3:4], null, v18, v5, 0
	v_mad_u64_u32 v[1:2], null, v17, v7, 0
	;; [unrolled: 1-line block ×3, first 2 shown]
	s_delay_alu instid0(VALU_DEP_2) | instskip(NEXT) | instid1(VALU_DEP_3)
	v_add_co_u32 v1, vcc_lo, v8, v1
	v_add_co_ci_u32_e32 v2, vcc_lo, 0, v2, vcc_lo
	s_delay_alu instid0(VALU_DEP_2) | instskip(NEXT) | instid1(VALU_DEP_2)
	v_add_co_u32 v1, vcc_lo, v1, v3
	v_add_co_ci_u32_e32 v1, vcc_lo, v2, v4, vcc_lo
	v_add_co_ci_u32_e32 v2, vcc_lo, 0, v6, vcc_lo
	s_delay_alu instid0(VALU_DEP_2) | instskip(NEXT) | instid1(VALU_DEP_2)
	v_add_co_u32 v3, vcc_lo, v1, v5
	v_add_co_ci_u32_e32 v4, vcc_lo, 0, v2, vcc_lo
	s_delay_alu instid0(VALU_DEP_2) | instskip(SKIP_1) | instid1(VALU_DEP_3)
	v_mul_lo_u32 v5, s9, v3
	v_mad_u64_u32 v[1:2], null, s8, v3, 0
	v_mul_lo_u32 v6, s8, v4
	s_delay_alu instid0(VALU_DEP_2) | instskip(NEXT) | instid1(VALU_DEP_2)
	v_sub_co_u32 v1, vcc_lo, v17, v1
	v_add3_u32 v2, v2, v6, v5
	s_delay_alu instid0(VALU_DEP_1) | instskip(NEXT) | instid1(VALU_DEP_1)
	v_sub_nc_u32_e32 v5, v18, v2
	v_subrev_co_ci_u32_e64 v5, s2, s9, v5, vcc_lo
	v_add_co_u32 v6, s2, v3, 2
	s_delay_alu instid0(VALU_DEP_1) | instskip(SKIP_3) | instid1(VALU_DEP_3)
	v_add_co_ci_u32_e64 v7, s2, 0, v4, s2
	v_sub_co_u32 v8, s2, v1, s8
	v_sub_co_ci_u32_e32 v2, vcc_lo, v18, v2, vcc_lo
	v_subrev_co_ci_u32_e64 v5, s2, 0, v5, s2
	v_cmp_le_u32_e32 vcc_lo, s8, v8
	s_delay_alu instid0(VALU_DEP_3) | instskip(SKIP_1) | instid1(VALU_DEP_4)
	v_cmp_eq_u32_e64 s2, s9, v2
	v_cndmask_b32_e64 v8, 0, -1, vcc_lo
	v_cmp_le_u32_e32 vcc_lo, s9, v5
	v_cndmask_b32_e64 v9, 0, -1, vcc_lo
	v_cmp_le_u32_e32 vcc_lo, s8, v1
	;; [unrolled: 2-line block ×3, first 2 shown]
	v_cndmask_b32_e64 v10, 0, -1, vcc_lo
	v_cmp_eq_u32_e32 vcc_lo, s9, v5
	s_delay_alu instid0(VALU_DEP_2) | instskip(SKIP_3) | instid1(VALU_DEP_3)
	v_cndmask_b32_e64 v1, v10, v1, s2
	v_cndmask_b32_e32 v5, v9, v8, vcc_lo
	v_add_co_u32 v8, vcc_lo, v3, 1
	v_add_co_ci_u32_e32 v9, vcc_lo, 0, v4, vcc_lo
	v_cmp_ne_u32_e32 vcc_lo, 0, v5
	s_delay_alu instid0(VALU_DEP_2) | instskip(SKIP_1) | instid1(VALU_DEP_2)
	v_dual_cndmask_b32 v2, v9, v7 :: v_dual_cndmask_b32 v5, v8, v6
	v_cmp_ne_u32_e32 vcc_lo, 0, v1
	v_dual_cndmask_b32 v1, v4, v2 :: v_dual_cndmask_b32 v2, v3, v5
	s_delay_alu instid0(VALU_DEP_1) | instskip(NEXT) | instid1(VALU_DEP_2)
	v_xor_b32_e32 v3, s7, v1
	v_xor_b32_e32 v2, s6, v2
	s_delay_alu instid0(VALU_DEP_1) | instskip(NEXT) | instid1(VALU_DEP_3)
	v_sub_co_u32 v1, vcc_lo, v2, s6
	v_subrev_co_ci_u32_e32 v2, vcc_lo, s7, v3, vcc_lo
                                        ; implicit-def: $vgpr3_vgpr4
	s_and_not1_saveexec_b32 s2, s11
	s_cbranch_execz .LBB32_5
.LBB32_8:
	v_cvt_f32_u32_e32 v1, s10
	s_sub_i32 s6, 0, s10
	v_alignbit_b32 v3, v4, v3, 2
	s_delay_alu instid0(VALU_DEP_2) | instskip(SKIP_2) | instid1(VALU_DEP_1)
	v_rcp_iflag_f32_e32 v1, v1
	s_waitcnt_depctr 0xfff
	v_mul_f32_e32 v1, 0x4f7ffffe, v1
	v_cvt_u32_f32_e32 v1, v1
	s_delay_alu instid0(VALU_DEP_1) | instskip(NEXT) | instid1(VALU_DEP_1)
	v_mul_lo_u32 v2, s6, v1
	v_mul_hi_u32 v2, v1, v2
	s_delay_alu instid0(VALU_DEP_1) | instskip(NEXT) | instid1(VALU_DEP_1)
	v_add_nc_u32_e32 v1, v1, v2
	v_mul_hi_u32 v1, v3, v1
	s_delay_alu instid0(VALU_DEP_1) | instskip(NEXT) | instid1(VALU_DEP_1)
	v_mul_lo_u32 v2, v1, s10
	v_sub_nc_u32_e32 v2, v3, v2
	v_add_nc_u32_e32 v3, 1, v1
	s_delay_alu instid0(VALU_DEP_2) | instskip(SKIP_1) | instid1(VALU_DEP_2)
	v_subrev_nc_u32_e32 v4, s10, v2
	v_cmp_le_u32_e32 vcc_lo, s10, v2
	v_dual_cndmask_b32 v2, v2, v4 :: v_dual_cndmask_b32 v1, v1, v3
	s_delay_alu instid0(VALU_DEP_1) | instskip(NEXT) | instid1(VALU_DEP_2)
	v_cmp_le_u32_e32 vcc_lo, s10, v2
	v_dual_mov_b32 v2, 0 :: v_dual_add_nc_u32 v3, 1, v1
	s_delay_alu instid0(VALU_DEP_1) | instskip(SKIP_1) | instid1(SALU_CYCLE_1)
	v_cndmask_b32_e32 v1, v1, v3, vcc_lo
	s_or_b32 exec_lo, exec_lo, s2
	s_mov_b32 s2, exec_lo
	s_delay_alu instid0(VALU_DEP_1)
	v_cmpx_gt_i64_e64 s[4:5], v[1:2]
	s_cbranch_execz .LBB32_6
.LBB32_9:
	s_ashr_i32 s2, s3, 31
	s_load_b64 s[4:5], s[0:1], 0x10
	v_mul_lo_u32 v4, v1, s10
	v_mul_lo_u32 v5, v2, s3
	v_mad_u64_u32 v[2:3], null, v1, s3, 0
	v_mul_lo_u32 v1, v1, s2
	v_and_b32_e32 v36, 3, v0
	s_mov_b32 s2, exec_lo
	v_sub_nc_u32_e32 v4, v17, v4
	s_delay_alu instid0(VALU_DEP_3) | instskip(NEXT) | instid1(VALU_DEP_2)
	v_add3_u32 v3, v3, v1, v5
	v_dual_mov_b32 v5, 0 :: v_dual_lshlrev_b32 v4, 7, v4
	s_delay_alu instid0(VALU_DEP_2) | instskip(NEXT) | instid1(VALU_DEP_2)
	v_lshlrev_b64 v[1:2], 1, v[2:3]
	v_lshlrev_b64 v[3:4], 1, v[4:5]
	v_lshlrev_b32_e32 v5, 6, v36
	s_waitcnt lgkmcnt(0)
	s_delay_alu instid0(VALU_DEP_3) | instskip(NEXT) | instid1(VALU_DEP_4)
	v_add_co_u32 v1, vcc_lo, s4, v1
	v_add_co_ci_u32_e32 v2, vcc_lo, s5, v2, vcc_lo
	s_load_b64 s[4:5], s[0:1], 0x0
	s_delay_alu instid0(VALU_DEP_2) | instskip(NEXT) | instid1(VALU_DEP_2)
	v_add_co_u32 v1, vcc_lo, v1, v3
	v_add_co_ci_u32_e32 v2, vcc_lo, v2, v4, vcc_lo
	s_delay_alu instid0(VALU_DEP_2) | instskip(NEXT) | instid1(VALU_DEP_2)
	v_add_co_u32 v5, vcc_lo, v1, v5
	v_add_co_ci_u32_e32 v6, vcc_lo, 0, v2, vcc_lo
	s_clause 0x3
	global_load_b128 v[9:12], v[5:6], off
	global_load_b128 v[13:16], v[5:6], off offset:16
	global_load_b128 v[1:4], v[5:6], off offset:32
	;; [unrolled: 1-line block ×3, first 2 shown]
	s_waitcnt vmcnt(3)
	v_lshrrev_b32_e32 v28, 16, v9
	v_cvt_f32_f16_e64 v19, |v9|
	v_lshrrev_b32_e32 v27, 16, v10
	v_cvt_f32_f16_e64 v21, |v10|
	;; [unrolled: 2-line block ×4, first 2 shown]
	s_waitcnt vmcnt(2)
	v_lshrrev_b32_e32 v31, 16, v13
	v_cvt_f32_f16_e64 v23, |v29|
	v_max3_f32 v19, v19, 0x2edbe6ff, v20
	v_cvt_f32_f16_e64 v20, |v11|
	v_lshrrev_b32_e32 v32, 16, v14
	v_lshrrev_b32_e32 v33, 16, v15
	;; [unrolled: 1-line block ×3, first 2 shown]
	v_max3_f32 v19, v19, v21, v22
	v_cvt_f32_f16_e64 v21, |v12|
	v_cvt_f32_f16_e64 v22, |v30|
	s_delay_alu instid0(VALU_DEP_4) | instskip(NEXT) | instid1(VALU_DEP_4)
	v_cvt_f32_f16_e64 v24, |v34|
	v_max3_f32 v19, v19, v20, v23
	v_cvt_f32_f16_e64 v20, |v13|
	v_cvt_f32_f16_e64 v23, |v31|
	s_delay_alu instid0(VALU_DEP_3) | instskip(SKIP_2) | instid1(VALU_DEP_3)
	v_max3_f32 v19, v19, v21, v22
	v_cvt_f32_f16_e64 v21, |v14|
	v_cvt_f32_f16_e64 v22, |v32|
	v_max3_f32 v19, v19, v20, v23
	v_cvt_f32_f16_e64 v20, |v15|
	v_cvt_f32_f16_e64 v23, |v33|
	s_delay_alu instid0(VALU_DEP_3) | instskip(SKIP_3) | instid1(VALU_DEP_3)
	v_max3_f32 v21, v19, v21, v22
	v_cvt_f32_f16_e64 v22, |v16|
	s_waitcnt vmcnt(1)
	v_lshrrev_b32_e32 v19, 16, v1
	v_max3_f32 v21, v21, v20, v23
	v_cvt_f32_f16_e64 v23, |v1|
	v_lshrrev_b32_e32 v20, 16, v2
	s_delay_alu instid0(VALU_DEP_4) | instskip(NEXT) | instid1(VALU_DEP_4)
	v_cvt_f32_f16_e64 v25, |v19|
	v_max3_f32 v22, v21, v22, v24
	v_cvt_f32_f16_e64 v24, |v2|
	v_lshrrev_b32_e32 v21, 16, v3
	v_cvt_f32_f16_e64 v26, |v20|
	s_delay_alu instid0(VALU_DEP_4) | instskip(SKIP_3) | instid1(VALU_DEP_4)
	v_max3_f32 v23, v22, v23, v25
	v_cvt_f32_f16_e64 v25, |v3|
	v_lshrrev_b32_e32 v22, 16, v4
	v_cvt_f32_f16_e64 v35, |v21|
	v_max3_f32 v24, v23, v24, v26
	v_cvt_f32_f16_e64 v26, |v4|
	s_waitcnt vmcnt(0)
	v_lshrrev_b32_e32 v23, 16, v5
	v_cvt_f32_f16_e64 v37, |v22|
	v_max3_f32 v25, v24, v25, v35
	v_cvt_f32_f16_e64 v35, |v5|
	v_lshrrev_b32_e32 v24, 16, v6
	v_cvt_f32_f16_e64 v38, |v23|
	s_delay_alu instid0(VALU_DEP_4) | instskip(SKIP_3) | instid1(VALU_DEP_4)
	v_max3_f32 v25, v25, v26, v37
	v_cvt_f32_f16_e64 v37, |v6|
	v_lshrrev_b32_e32 v26, 16, v7
	v_cvt_f32_f16_e64 v39, |v24|
	v_max3_f32 v35, v25, v35, v38
	v_cvt_f32_f16_e64 v38, |v7|
	v_lshrrev_b32_e32 v25, 16, v8
	v_cvt_f32_f16_e64 v40, |v26|
	s_delay_alu instid0(VALU_DEP_4) | instskip(SKIP_1) | instid1(VALU_DEP_4)
	v_max3_f32 v35, v35, v37, v39
	v_cvt_f32_f16_e64 v37, |v8|
	v_cvt_f32_f16_e64 v39, |v25|
	s_delay_alu instid0(VALU_DEP_3) | instskip(NEXT) | instid1(VALU_DEP_1)
	v_max3_f32 v35, v35, v38, v40
	v_max3_f32 v35, v35, v37, v39
	s_delay_alu instid0(VALU_DEP_1) | instskip(NEXT) | instid1(VALU_DEP_1)
	v_mov_b32_dpp v37, v35 quad_perm:[1,0,3,2] row_mask:0xf bank_mask:0xf
	v_cmp_gt_f32_e32 vcc_lo, v35, v37
	v_cndmask_b32_e32 v35, v37, v35, vcc_lo
	s_delay_alu instid0(VALU_DEP_1) | instskip(NEXT) | instid1(VALU_DEP_1)
	v_mov_b32_dpp v37, v35 quad_perm:[2,3,0,1] row_mask:0xf bank_mask:0xf
	v_cmp_gt_f32_e32 vcc_lo, v35, v37
	v_cndmask_b32_e32 v35, v37, v35, vcc_lo
	s_delay_alu instid0(VALU_DEP_1)
	v_mul_f32_e32 v35, 0x3c010204, v35
	v_cmpx_eq_u32_e32 0, v36
	s_cbranch_execz .LBB32_11
; %bb.10:
	s_load_b64 s[6:7], s[0:1], 0x8
	v_lshlrev_b64 v[36:37], 2, v[17:18]
	s_waitcnt lgkmcnt(0)
	s_delay_alu instid0(VALU_DEP_1) | instskip(NEXT) | instid1(VALU_DEP_2)
	v_add_co_u32 v36, vcc_lo, s6, v36
	v_add_co_ci_u32_e32 v37, vcc_lo, s7, v37, vcc_lo
	global_store_b32 v[36:37], v35, off
.LBB32_11:
	s_or_b32 exec_lo, exec_lo, s2
	s_delay_alu instid0(VALU_DEP_2) | instskip(SKIP_2) | instid1(VALU_DEP_3)
	v_div_scale_f32 v18, null, v35, v35, 1.0
	v_div_scale_f32 v38, vcc_lo, 1.0, v35, 1.0
	v_cvt_f32_f16_e32 v9, v9
	v_rcp_f32_e32 v36, v18
	v_cvt_f32_f16_e32 v27, v27
	v_cvt_f32_f16_e32 v13, v13
	v_cvt_f32_f16_e32 v15, v15
	v_cvt_f32_f16_e32 v10, v10
	v_cvt_f32_f16_e32 v12, v12
	v_cvt_f32_f16_e32 v7, v7
	v_cvt_f32_f16_e32 v28, v28
	v_cvt_f32_f16_e32 v29, v29
	v_cvt_f32_f16_e32 v30, v30
	v_fma_f32 v37, -v18, v36, 1.0
	v_cvt_f32_f16_e32 v31, v31
	v_cvt_f32_f16_e32 v32, v32
	;; [unrolled: 1-line block ×4, first 2 shown]
	v_dual_fmac_f32 v36, v37, v36 :: v_dual_lshlrev_b32 v17, 7, v17
	v_cvt_f32_f16_e32 v16, v16
	v_cvt_f32_f16_e32 v11, v11
	;; [unrolled: 1-line block ×3, first 2 shown]
	s_delay_alu instid0(VALU_DEP_4)
	v_mul_f32_e32 v37, v38, v36
	v_cvt_f32_f16_e32 v34, v34
	v_cvt_f32_f16_e32 v1, v1
	;; [unrolled: 1-line block ×4, first 2 shown]
	v_fma_f32 v39, -v18, v37, v38
	v_cvt_f32_f16_e32 v3, v3
	v_cvt_f32_f16_e32 v6, v6
	;; [unrolled: 1-line block ×3, first 2 shown]
	s_load_b32 s6, s[0:1], 0x30
	v_fmac_f32_e32 v37, v39, v36
	s_waitcnt lgkmcnt(0)
	s_and_b32 s5, s5, 0xffff
	s_mov_b32 s7, -1
	s_delay_alu instid0(VALU_DEP_1) | instskip(NEXT) | instid1(VALU_DEP_1)
	v_fma_f32 v18, -v18, v37, v38
	v_div_fmas_f32 v18, v18, v36, v37
	s_delay_alu instid0(VALU_DEP_1) | instskip(NEXT) | instid1(VALU_DEP_1)
	v_div_fixup_f32 v18, v18, v35, 1.0
	v_dual_mul_f32 v27, v18, v27 :: v_dual_lshlrev_b32 v0, 5, v0
	s_delay_alu instid0(VALU_DEP_1)
	v_and_or_b32 v17, 0x60, v0, v17
	v_mul_f32_e32 v0, v18, v9
	v_mul_f32_e32 v13, v18, v13
	;; [unrolled: 1-line block ×4, first 2 shown]
	v_cvt_i32_f32_e32 v27, v27
	v_cvt_i32_f32_e32 v0, v0
	v_mul_f32_e32 v15, v18, v15
	v_cvt_i32_f32_e32 v13, v13
	v_mul_f32_e32 v12, v18, v12
	v_cvt_i32_f32_e32 v7, v7
	v_and_b32_e32 v0, 0xff, v0
	v_cvt_i32_f32_e32 v15, v15
	v_dual_mul_f32 v10, v18, v10 :: v_dual_and_b32 v13, 0xff, v13
	v_cvt_i32_f32_e32 v12, v12
	v_and_b32_e32 v7, 0xff, v7
	s_delay_alu instid0(VALU_DEP_4)
	v_and_b32_e32 v15, 0xff, v15
	v_cvt_i32_f32_e32 v5, v5
	v_cvt_i32_f32_e32 v10, v10
	v_mul_f32_e32 v9, v18, v28
	v_mul_f32_e32 v28, v18, v29
	v_dual_mul_f32 v29, v18, v30 :: v_dual_and_b32 v12, 0xff, v12
	v_mul_f32_e32 v30, v18, v31
	v_mul_f32_e32 v31, v18, v32
	;; [unrolled: 1-line block ×3, first 2 shown]
	v_dual_mul_f32 v16, v18, v16 :: v_dual_and_b32 v5, 0xff, v5
	v_cvt_i32_f32_e32 v29, v29
	v_cvt_i32_f32_e32 v30, v30
	s_delay_alu instid0(VALU_DEP_4) | instskip(NEXT) | instid1(VALU_DEP_4)
	v_cvt_i32_f32_e32 v32, v32
	v_cvt_i32_f32_e32 v16, v16
	v_mul_f32_e32 v11, v18, v11
	v_lshlrev_b16 v29, 8, v29
	v_lshlrev_b16 v27, 8, v27
	v_lshlrev_b16 v32, 8, v32
	v_and_b32_e32 v16, 0xff, v16
	v_cvt_i32_f32_e32 v11, v11
	v_mul_f32_e32 v14, v18, v14
	v_or_b32_e32 v12, v12, v29
	v_or_b32_e32 v15, v15, v32
	v_and_b32_e32 v10, 0xff, v10
	v_and_b32_e32 v11, 0xff, v11
	v_cvt_i32_f32_e32 v9, v9
	v_lshlrev_b16 v30, 8, v30
	v_and_b32_e32 v15, 0xffff, v15
	v_cvt_i32_f32_e32 v28, v28
	v_cvt_i32_f32_e32 v31, v31
	;; [unrolled: 1-line block ×3, first 2 shown]
	v_lshlrev_b16 v9, 8, v9
	v_dual_mul_f32 v1, v18, v1 :: v_dual_lshlrev_b32 v12, 16, v12
	v_lshlrev_b16 v28, 8, v28
	v_or_b32_e32 v27, v10, v27
	v_or_b32_e32 v13, v13, v30
	v_lshlrev_b16 v30, 8, v31
	v_and_b32_e32 v14, 0xff, v14
	v_or_b32_e32 v11, v11, v28
	v_mul_f32_e32 v33, v18, v34
	v_or_b32_e32 v0, v0, v9
	v_and_b32_e32 v13, 0xffff, v13
	v_or_b32_e32 v14, v14, v30
	v_and_b32_e32 v28, 0xffff, v11
	v_cvt_i32_f32_e32 v33, v33
	v_cvt_i32_f32_e32 v1, v1
	v_mul_f32_e32 v8, v18, v8
	v_lshlrev_b32_e32 v14, 16, v14
	v_or_b32_e32 v9, v28, v12
	v_lshlrev_b16 v33, 8, v33
	v_mul_f32_e32 v6, v18, v6
	v_cvt_i32_f32_e32 v8, v8
	v_or_b32_e32 v10, v13, v14
	v_cvt_f32_f16_e32 v13, v19
	v_or_b32_e32 v16, v16, v33
	v_cvt_f32_f16_e32 v19, v23
	v_and_b32_e32 v1, 0xff, v1
	v_cvt_f32_f16_e32 v14, v20
	v_dual_mul_f32 v3, v18, v3 :: v_dual_and_b32 v8, 0xff, v8
	v_lshlrev_b32_e32 v16, 16, v16
	v_cvt_i32_f32_e32 v6, v6
	v_cvt_f32_f16_e32 v20, v24
	s_delay_alu instid0(VALU_DEP_4)
	v_cvt_i32_f32_e32 v3, v3
	v_dual_mul_f32 v13, v18, v13 :: v_dual_and_b32 v0, 0xffff, v0
	v_or_b32_e32 v11, v15, v16
	v_cvt_f32_f16_e32 v15, v21
	v_cvt_f32_f16_e32 v21, v26
	v_lshlrev_b32_e32 v12, 16, v27
	v_cvt_f32_f16_e32 v16, v22
	v_cvt_f32_f16_e32 v22, v25
	v_dual_mul_f32 v15, v18, v15 :: v_dual_and_b32 v6, 0xff, v6
	v_mul_f32_e32 v21, v18, v21
	s_delay_alu instid0(VALU_DEP_4) | instskip(NEXT) | instid1(VALU_DEP_4)
	v_dual_mul_f32 v16, v18, v16 :: v_dual_and_b32 v3, 0xff, v3
	v_mul_f32_e32 v22, v18, v22
	s_delay_alu instid0(VALU_DEP_4) | instskip(NEXT) | instid1(VALU_DEP_4)
	v_cvt_i32_f32_e32 v15, v15
	v_cvt_i32_f32_e32 v21, v21
	;; [unrolled: 1-line block ×5, first 2 shown]
	v_lshlrev_b16 v15, 8, v15
	v_lshlrev_b16 v21, 8, v21
	;; [unrolled: 1-line block ×5, first 2 shown]
	v_or_b32_e32 v3, v3, v15
	v_or_b32_e32 v7, v7, v21
	v_mul_f32_e32 v2, v18, v2
	v_or_b32_e32 v1, v1, v13
	v_or_b32_e32 v8, v8, v22
	s_delay_alu instid0(VALU_DEP_4) | instskip(NEXT) | instid1(VALU_DEP_4)
	v_dual_mul_f32 v14, v18, v14 :: v_dual_and_b32 v7, 0xffff, v7
	v_cvt_i32_f32_e32 v2, v2
	v_mul_f32_e32 v19, v18, v19
	v_and_b32_e32 v13, 0xffff, v3
	s_delay_alu instid0(VALU_DEP_3) | instskip(NEXT) | instid1(VALU_DEP_3)
	v_and_b32_e32 v2, 0xff, v2
	v_cvt_i32_f32_e32 v19, v19
	s_delay_alu instid0(VALU_DEP_1) | instskip(NEXT) | instid1(VALU_DEP_1)
	v_lshlrev_b16 v19, 8, v19
	v_or_b32_e32 v5, v5, v19
	v_lshlrev_b32_e32 v19, 16, v8
	v_cvt_i32_f32_e32 v14, v14
	s_delay_alu instid0(VALU_DEP_3) | instskip(NEXT) | instid1(VALU_DEP_3)
	v_dual_mul_f32 v4, v18, v4 :: v_dual_and_b32 v5, 0xffff, v5
	v_or_b32_e32 v3, v7, v19
	s_delay_alu instid0(VALU_DEP_3) | instskip(NEXT) | instid1(VALU_DEP_3)
	v_lshlrev_b16 v14, 8, v14
	v_cvt_i32_f32_e32 v4, v4
	s_delay_alu instid0(VALU_DEP_2) | instskip(SKIP_1) | instid1(VALU_DEP_3)
	v_or_b32_e32 v2, v2, v14
	v_mul_f32_e32 v20, v18, v20
	v_and_b32_e32 v4, 0xff, v4
	v_and_b32_e32 v14, 0xffff, v1
	s_delay_alu instid0(VALU_DEP_4) | instskip(NEXT) | instid1(VALU_DEP_4)
	v_lshlrev_b32_e32 v15, 16, v2
	v_cvt_i32_f32_e32 v18, v20
	s_delay_alu instid0(VALU_DEP_4) | instskip(NEXT) | instid1(VALU_DEP_2)
	v_or_b32_e32 v4, v4, v16
	v_lshlrev_b16 v8, 8, v18
	s_delay_alu instid0(VALU_DEP_2) | instskip(NEXT) | instid1(VALU_DEP_2)
	v_lshlrev_b32_e32 v4, 16, v4
	v_or_b32_e32 v6, v6, v8
	v_or_b32_e32 v8, v0, v12
	s_delay_alu instid0(VALU_DEP_3) | instskip(SKIP_1) | instid1(VALU_DEP_4)
	v_or_b32_e32 v1, v13, v4
	v_or_b32_e32 v0, v14, v15
	v_lshlrev_b32_e32 v6, 16, v6
	buffer_store_b128 v[8:11], v17, s[4:7], 0 offen
	;;#ASMSTART
	s_nop 0
	;;#ASMEND
	v_or_b32_e32 v2, v5, v6
	buffer_store_b128 v[0:3], v17, s[4:7], 16 offen
	;;#ASMSTART
	s_nop 0
	;;#ASMEND
	s_nop 0
	s_sendmsg sendmsg(MSG_DEALLOC_VGPRS)
	s_endpgm
	.section	.rodata,"a",@progbits
	.p2align	6, 0x0
	.amdhsa_kernel _ZN5aiter37dynamic_per_group_scaled_quant_kernelIDF16_aLi32ELi128ELb0ELi64ELb0EEEvPT0_PfPKT_PKfliilPKii
		.amdhsa_group_segment_fixed_size 0
		.amdhsa_private_segment_fixed_size 0
		.amdhsa_kernarg_size 68
		.amdhsa_user_sgpr_count 15
		.amdhsa_user_sgpr_dispatch_ptr 0
		.amdhsa_user_sgpr_queue_ptr 0
		.amdhsa_user_sgpr_kernarg_segment_ptr 1
		.amdhsa_user_sgpr_dispatch_id 0
		.amdhsa_user_sgpr_private_segment_size 0
		.amdhsa_wavefront_size32 1
		.amdhsa_uses_dynamic_stack 0
		.amdhsa_enable_private_segment 0
		.amdhsa_system_sgpr_workgroup_id_x 1
		.amdhsa_system_sgpr_workgroup_id_y 0
		.amdhsa_system_sgpr_workgroup_id_z 0
		.amdhsa_system_sgpr_workgroup_info 0
		.amdhsa_system_vgpr_workitem_id 0
		.amdhsa_next_free_vgpr 41
		.amdhsa_next_free_sgpr 16
		.amdhsa_reserve_vcc 1
		.amdhsa_float_round_mode_32 0
		.amdhsa_float_round_mode_16_64 0
		.amdhsa_float_denorm_mode_32 3
		.amdhsa_float_denorm_mode_16_64 3
		.amdhsa_dx10_clamp 1
		.amdhsa_ieee_mode 1
		.amdhsa_fp16_overflow 0
		.amdhsa_workgroup_processor_mode 1
		.amdhsa_memory_ordered 1
		.amdhsa_forward_progress 0
		.amdhsa_shared_vgpr_count 0
		.amdhsa_exception_fp_ieee_invalid_op 0
		.amdhsa_exception_fp_denorm_src 0
		.amdhsa_exception_fp_ieee_div_zero 0
		.amdhsa_exception_fp_ieee_overflow 0
		.amdhsa_exception_fp_ieee_underflow 0
		.amdhsa_exception_fp_ieee_inexact 0
		.amdhsa_exception_int_div_zero 0
	.end_amdhsa_kernel
	.section	.text._ZN5aiter37dynamic_per_group_scaled_quant_kernelIDF16_aLi32ELi128ELb0ELi64ELb0EEEvPT0_PfPKT_PKfliilPKii,"axG",@progbits,_ZN5aiter37dynamic_per_group_scaled_quant_kernelIDF16_aLi32ELi128ELb0ELi64ELb0EEEvPT0_PfPKT_PKfliilPKii,comdat
.Lfunc_end32:
	.size	_ZN5aiter37dynamic_per_group_scaled_quant_kernelIDF16_aLi32ELi128ELb0ELi64ELb0EEEvPT0_PfPKT_PKfliilPKii, .Lfunc_end32-_ZN5aiter37dynamic_per_group_scaled_quant_kernelIDF16_aLi32ELi128ELb0ELi64ELb0EEEvPT0_PfPKT_PKfliilPKii
                                        ; -- End function
	.section	.AMDGPU.csdata,"",@progbits
; Kernel info:
; codeLenInByte = 3060
; NumSgprs: 18
; NumVgprs: 41
; ScratchSize: 0
; MemoryBound: 0
; FloatMode: 240
; IeeeMode: 1
; LDSByteSize: 0 bytes/workgroup (compile time only)
; SGPRBlocks: 2
; VGPRBlocks: 5
; NumSGPRsForWavesPerEU: 18
; NumVGPRsForWavesPerEU: 41
; Occupancy: 16
; WaveLimiterHint : 0
; COMPUTE_PGM_RSRC2:SCRATCH_EN: 0
; COMPUTE_PGM_RSRC2:USER_SGPR: 15
; COMPUTE_PGM_RSRC2:TRAP_HANDLER: 0
; COMPUTE_PGM_RSRC2:TGID_X_EN: 1
; COMPUTE_PGM_RSRC2:TGID_Y_EN: 0
; COMPUTE_PGM_RSRC2:TGID_Z_EN: 0
; COMPUTE_PGM_RSRC2:TIDIG_COMP_CNT: 0
	.section	.text._ZN5aiter37dynamic_per_group_scaled_quant_kernelItaLi32ELi128ELb0ELi64ELb0EEEvPT0_PfPKT_PKfliilPKii,"axG",@progbits,_ZN5aiter37dynamic_per_group_scaled_quant_kernelItaLi32ELi128ELb0ELi64ELb0EEEvPT0_PfPKT_PKfliilPKii,comdat
	.protected	_ZN5aiter37dynamic_per_group_scaled_quant_kernelItaLi32ELi128ELb0ELi64ELb0EEEvPT0_PfPKT_PKfliilPKii ; -- Begin function _ZN5aiter37dynamic_per_group_scaled_quant_kernelItaLi32ELi128ELb0ELi64ELb0EEEvPT0_PfPKT_PKfliilPKii
	.globl	_ZN5aiter37dynamic_per_group_scaled_quant_kernelItaLi32ELi128ELb0ELi64ELb0EEEvPT0_PfPKT_PKfliilPKii
	.p2align	8
	.type	_ZN5aiter37dynamic_per_group_scaled_quant_kernelItaLi32ELi128ELb0ELi64ELb0EEEvPT0_PfPKT_PKfliilPKii,@function
_ZN5aiter37dynamic_per_group_scaled_quant_kernelItaLi32ELi128ELb0ELi64ELb0EEEvPT0_PfPKT_PKfliilPKii: ; @_ZN5aiter37dynamic_per_group_scaled_quant_kernelItaLi32ELi128ELb0ELi64ELb0EEEvPT0_PfPKT_PKfliilPKii
; %bb.0:
	s_load_b64 s[2:3], s[0:1], 0x38
	s_mov_b32 s6, s15
	s_waitcnt lgkmcnt(0)
	s_cmp_eq_u64 s[2:3], 0
	s_cbranch_scc1 .LBB33_2
; %bb.1:
	s_load_b32 s4, s[0:1], 0x40
	s_load_b32 s2, s[2:3], 0x0
	s_waitcnt lgkmcnt(0)
	s_mul_hi_i32 s5, s2, s4
	s_mul_i32 s4, s2, s4
	s_branch .LBB33_3
.LBB33_2:
	s_load_b64 s[4:5], s[0:1], 0x20
.LBB33_3:
	s_load_b64 s[2:3], s[0:1], 0x28
	s_mov_b32 s7, 0
	v_mov_b32_e32 v3, 0
	s_lshl_b64 s[6:7], s[6:7], 6
	s_delay_alu instid0(SALU_CYCLE_1) | instskip(SKIP_1) | instid1(VALU_DEP_1)
	v_or_b32_e32 v5, s6, v0
	v_mov_b32_e32 v6, s7
	v_lshrrev_b64 v[1:2], 2, v[5:6]
	s_waitcnt lgkmcnt(0)
	s_ashr_i32 s6, s2, 31
	s_delay_alu instid0(SALU_CYCLE_1) | instskip(NEXT) | instid1(SALU_CYCLE_1)
	s_lshr_b32 s6, s6, 25
	s_add_i32 s2, s2, s6
	s_delay_alu instid0(SALU_CYCLE_1) | instskip(NEXT) | instid1(SALU_CYCLE_1)
	s_ashr_i32 s10, s2, 7
	s_ashr_i32 s2, s10, 31
	s_delay_alu instid0(SALU_CYCLE_1) | instskip(NEXT) | instid1(VALU_DEP_1)
	v_or_b32_e32 v4, s2, v2
	v_cmp_ne_u64_e32 vcc_lo, 0, v[3:4]
                                        ; implicit-def: $vgpr3_vgpr4
	s_and_saveexec_b32 s6, vcc_lo
	s_delay_alu instid0(SALU_CYCLE_1)
	s_xor_b32 s11, exec_lo, s6
	s_cbranch_execnz .LBB33_7
; %bb.4:
	s_and_not1_saveexec_b32 s2, s11
	s_cbranch_execnz .LBB33_8
.LBB33_5:
	s_or_b32 exec_lo, exec_lo, s2
	s_delay_alu instid0(SALU_CYCLE_1)
	s_mov_b32 s2, exec_lo
	v_cmpx_gt_i64_e64 s[4:5], v[3:4]
	s_cbranch_execnz .LBB33_9
.LBB33_6:
	s_endpgm
.LBB33_7:
	s_add_u32 s8, s10, s2
	s_mov_b32 s6, s2
	s_mov_b32 s7, s2
	s_addc_u32 s9, s2, s2
	s_delay_alu instid0(SALU_CYCLE_1) | instskip(NEXT) | instid1(SALU_CYCLE_1)
	s_xor_b64 s[8:9], s[8:9], s[6:7]
	v_cvt_f32_u32_e32 v3, s8
	v_cvt_f32_u32_e32 v4, s9
	s_sub_u32 s2, 0, s8
	s_subb_u32 s12, 0, s9
	s_delay_alu instid0(VALU_DEP_1) | instskip(NEXT) | instid1(VALU_DEP_1)
	v_fmamk_f32 v3, v4, 0x4f800000, v3
	v_rcp_f32_e32 v3, v3
	s_waitcnt_depctr 0xfff
	v_mul_f32_e32 v3, 0x5f7ffffc, v3
	s_delay_alu instid0(VALU_DEP_1) | instskip(NEXT) | instid1(VALU_DEP_1)
	v_mul_f32_e32 v4, 0x2f800000, v3
	v_trunc_f32_e32 v4, v4
	s_delay_alu instid0(VALU_DEP_1) | instskip(SKIP_1) | instid1(VALU_DEP_2)
	v_fmamk_f32 v3, v4, 0xcf800000, v3
	v_cvt_u32_f32_e32 v4, v4
	v_cvt_u32_f32_e32 v3, v3
	s_delay_alu instid0(VALU_DEP_2) | instskip(NEXT) | instid1(VALU_DEP_2)
	v_mul_lo_u32 v5, s2, v4
	v_mul_hi_u32 v6, s2, v3
	v_mul_lo_u32 v7, s12, v3
	s_delay_alu instid0(VALU_DEP_2) | instskip(SKIP_1) | instid1(VALU_DEP_2)
	v_add_nc_u32_e32 v5, v6, v5
	v_mul_lo_u32 v6, s2, v3
	v_add_nc_u32_e32 v5, v5, v7
	s_delay_alu instid0(VALU_DEP_2) | instskip(NEXT) | instid1(VALU_DEP_2)
	v_mul_hi_u32 v7, v3, v6
	v_mul_lo_u32 v8, v3, v5
	v_mul_hi_u32 v9, v3, v5
	v_mul_hi_u32 v10, v4, v6
	v_mul_lo_u32 v6, v4, v6
	v_mul_hi_u32 v11, v4, v5
	v_mul_lo_u32 v5, v4, v5
	v_add_co_u32 v7, vcc_lo, v7, v8
	v_add_co_ci_u32_e32 v8, vcc_lo, 0, v9, vcc_lo
	s_delay_alu instid0(VALU_DEP_2) | instskip(NEXT) | instid1(VALU_DEP_2)
	v_add_co_u32 v6, vcc_lo, v7, v6
	v_add_co_ci_u32_e32 v6, vcc_lo, v8, v10, vcc_lo
	v_add_co_ci_u32_e32 v7, vcc_lo, 0, v11, vcc_lo
	s_delay_alu instid0(VALU_DEP_2) | instskip(NEXT) | instid1(VALU_DEP_2)
	v_add_co_u32 v5, vcc_lo, v6, v5
	v_add_co_ci_u32_e32 v6, vcc_lo, 0, v7, vcc_lo
	s_delay_alu instid0(VALU_DEP_2) | instskip(NEXT) | instid1(VALU_DEP_2)
	v_add_co_u32 v3, vcc_lo, v3, v5
	v_add_co_ci_u32_e32 v4, vcc_lo, v4, v6, vcc_lo
	s_delay_alu instid0(VALU_DEP_2) | instskip(SKIP_1) | instid1(VALU_DEP_3)
	v_mul_hi_u32 v5, s2, v3
	v_mul_lo_u32 v7, s12, v3
	v_mul_lo_u32 v6, s2, v4
	s_delay_alu instid0(VALU_DEP_1) | instskip(SKIP_1) | instid1(VALU_DEP_2)
	v_add_nc_u32_e32 v5, v5, v6
	v_mul_lo_u32 v6, s2, v3
	v_add_nc_u32_e32 v5, v5, v7
	s_delay_alu instid0(VALU_DEP_2) | instskip(NEXT) | instid1(VALU_DEP_2)
	v_mul_hi_u32 v7, v3, v6
	v_mul_lo_u32 v8, v3, v5
	v_mul_hi_u32 v9, v3, v5
	v_mul_hi_u32 v10, v4, v6
	v_mul_lo_u32 v6, v4, v6
	v_mul_hi_u32 v11, v4, v5
	v_mul_lo_u32 v5, v4, v5
	v_add_co_u32 v7, vcc_lo, v7, v8
	v_add_co_ci_u32_e32 v8, vcc_lo, 0, v9, vcc_lo
	s_delay_alu instid0(VALU_DEP_2) | instskip(NEXT) | instid1(VALU_DEP_2)
	v_add_co_u32 v6, vcc_lo, v7, v6
	v_add_co_ci_u32_e32 v6, vcc_lo, v8, v10, vcc_lo
	v_add_co_ci_u32_e32 v7, vcc_lo, 0, v11, vcc_lo
	s_delay_alu instid0(VALU_DEP_2) | instskip(NEXT) | instid1(VALU_DEP_2)
	v_add_co_u32 v5, vcc_lo, v6, v5
	v_add_co_ci_u32_e32 v6, vcc_lo, 0, v7, vcc_lo
	s_delay_alu instid0(VALU_DEP_2) | instskip(NEXT) | instid1(VALU_DEP_2)
	v_add_co_u32 v7, vcc_lo, v3, v5
	v_add_co_ci_u32_e32 v9, vcc_lo, v4, v6, vcc_lo
	s_delay_alu instid0(VALU_DEP_2) | instskip(SKIP_1) | instid1(VALU_DEP_3)
	v_mul_hi_u32 v10, v1, v7
	v_mad_u64_u32 v[5:6], null, v2, v7, 0
	v_mad_u64_u32 v[3:4], null, v1, v9, 0
	v_mad_u64_u32 v[7:8], null, v2, v9, 0
	s_delay_alu instid0(VALU_DEP_2) | instskip(NEXT) | instid1(VALU_DEP_3)
	v_add_co_u32 v3, vcc_lo, v10, v3
	v_add_co_ci_u32_e32 v4, vcc_lo, 0, v4, vcc_lo
	s_delay_alu instid0(VALU_DEP_2) | instskip(NEXT) | instid1(VALU_DEP_2)
	v_add_co_u32 v3, vcc_lo, v3, v5
	v_add_co_ci_u32_e32 v3, vcc_lo, v4, v6, vcc_lo
	v_add_co_ci_u32_e32 v4, vcc_lo, 0, v8, vcc_lo
	s_delay_alu instid0(VALU_DEP_2) | instskip(NEXT) | instid1(VALU_DEP_2)
	v_add_co_u32 v5, vcc_lo, v3, v7
	v_add_co_ci_u32_e32 v6, vcc_lo, 0, v4, vcc_lo
	s_delay_alu instid0(VALU_DEP_2) | instskip(SKIP_1) | instid1(VALU_DEP_3)
	v_mul_lo_u32 v7, s9, v5
	v_mad_u64_u32 v[3:4], null, s8, v5, 0
	v_mul_lo_u32 v8, s8, v6
	s_delay_alu instid0(VALU_DEP_2) | instskip(NEXT) | instid1(VALU_DEP_2)
	v_sub_co_u32 v3, vcc_lo, v1, v3
	v_add3_u32 v4, v4, v8, v7
	s_delay_alu instid0(VALU_DEP_1) | instskip(NEXT) | instid1(VALU_DEP_1)
	v_sub_nc_u32_e32 v7, v2, v4
	v_subrev_co_ci_u32_e64 v7, s2, s9, v7, vcc_lo
	v_add_co_u32 v8, s2, v5, 2
	s_delay_alu instid0(VALU_DEP_1) | instskip(SKIP_3) | instid1(VALU_DEP_3)
	v_add_co_ci_u32_e64 v9, s2, 0, v6, s2
	v_sub_co_u32 v10, s2, v3, s8
	v_sub_co_ci_u32_e32 v4, vcc_lo, v2, v4, vcc_lo
	v_subrev_co_ci_u32_e64 v7, s2, 0, v7, s2
	v_cmp_le_u32_e32 vcc_lo, s8, v10
	s_delay_alu instid0(VALU_DEP_3) | instskip(SKIP_1) | instid1(VALU_DEP_4)
	v_cmp_eq_u32_e64 s2, s9, v4
	v_cndmask_b32_e64 v10, 0, -1, vcc_lo
	v_cmp_le_u32_e32 vcc_lo, s9, v7
	v_cndmask_b32_e64 v11, 0, -1, vcc_lo
	v_cmp_le_u32_e32 vcc_lo, s8, v3
	v_cndmask_b32_e64 v3, 0, -1, vcc_lo
	v_cmp_le_u32_e32 vcc_lo, s9, v4
	v_cndmask_b32_e64 v12, 0, -1, vcc_lo
	v_cmp_eq_u32_e32 vcc_lo, s9, v7
	s_delay_alu instid0(VALU_DEP_2) | instskip(SKIP_3) | instid1(VALU_DEP_3)
	v_cndmask_b32_e64 v3, v12, v3, s2
	v_cndmask_b32_e32 v7, v11, v10, vcc_lo
	v_add_co_u32 v10, vcc_lo, v5, 1
	v_add_co_ci_u32_e32 v11, vcc_lo, 0, v6, vcc_lo
	v_cmp_ne_u32_e32 vcc_lo, 0, v7
	s_delay_alu instid0(VALU_DEP_2) | instskip(SKIP_1) | instid1(VALU_DEP_2)
	v_dual_cndmask_b32 v4, v11, v9 :: v_dual_cndmask_b32 v7, v10, v8
	v_cmp_ne_u32_e32 vcc_lo, 0, v3
	v_dual_cndmask_b32 v3, v6, v4 :: v_dual_cndmask_b32 v4, v5, v7
	s_delay_alu instid0(VALU_DEP_1) | instskip(NEXT) | instid1(VALU_DEP_2)
	v_xor_b32_e32 v5, s7, v3
	v_xor_b32_e32 v4, s6, v4
	s_delay_alu instid0(VALU_DEP_1) | instskip(NEXT) | instid1(VALU_DEP_3)
	v_sub_co_u32 v3, vcc_lo, v4, s6
	v_subrev_co_ci_u32_e32 v4, vcc_lo, s7, v5, vcc_lo
                                        ; implicit-def: $vgpr5_vgpr6
	s_and_not1_saveexec_b32 s2, s11
	s_cbranch_execz .LBB33_5
.LBB33_8:
	v_cvt_f32_u32_e32 v3, s10
	s_sub_i32 s6, 0, s10
	v_alignbit_b32 v5, v6, v5, 2
	s_delay_alu instid0(VALU_DEP_2) | instskip(SKIP_2) | instid1(VALU_DEP_1)
	v_rcp_iflag_f32_e32 v3, v3
	s_waitcnt_depctr 0xfff
	v_mul_f32_e32 v3, 0x4f7ffffe, v3
	v_cvt_u32_f32_e32 v3, v3
	s_delay_alu instid0(VALU_DEP_1) | instskip(NEXT) | instid1(VALU_DEP_1)
	v_mul_lo_u32 v4, s6, v3
	v_mul_hi_u32 v4, v3, v4
	s_delay_alu instid0(VALU_DEP_1) | instskip(NEXT) | instid1(VALU_DEP_1)
	v_add_nc_u32_e32 v3, v3, v4
	v_mul_hi_u32 v3, v5, v3
	s_delay_alu instid0(VALU_DEP_1) | instskip(NEXT) | instid1(VALU_DEP_1)
	v_mul_lo_u32 v4, v3, s10
	v_sub_nc_u32_e32 v4, v5, v4
	v_add_nc_u32_e32 v5, 1, v3
	s_delay_alu instid0(VALU_DEP_2) | instskip(SKIP_1) | instid1(VALU_DEP_2)
	v_subrev_nc_u32_e32 v6, s10, v4
	v_cmp_le_u32_e32 vcc_lo, s10, v4
	v_dual_cndmask_b32 v4, v4, v6 :: v_dual_cndmask_b32 v3, v3, v5
	s_delay_alu instid0(VALU_DEP_1) | instskip(NEXT) | instid1(VALU_DEP_2)
	v_cmp_le_u32_e32 vcc_lo, s10, v4
	v_dual_mov_b32 v4, 0 :: v_dual_add_nc_u32 v5, 1, v3
	s_delay_alu instid0(VALU_DEP_1) | instskip(SKIP_1) | instid1(SALU_CYCLE_1)
	v_cndmask_b32_e32 v3, v3, v5, vcc_lo
	s_or_b32 exec_lo, exec_lo, s2
	s_mov_b32 s2, exec_lo
	s_delay_alu instid0(VALU_DEP_1)
	v_cmpx_gt_i64_e64 s[4:5], v[3:4]
	s_cbranch_execz .LBB33_6
.LBB33_9:
	s_ashr_i32 s2, s3, 31
	s_load_b64 s[4:5], s[0:1], 0x10
	v_mul_lo_u32 v6, v3, s10
	v_mul_lo_u32 v7, v4, s3
	v_mad_u64_u32 v[4:5], null, v3, s3, 0
	v_mul_lo_u32 v3, v3, s2
	v_and_b32_e32 v36, 3, v0
	s_mov_b32 s2, exec_lo
	v_sub_nc_u32_e32 v6, v1, v6
	s_delay_alu instid0(VALU_DEP_3) | instskip(NEXT) | instid1(VALU_DEP_2)
	v_add3_u32 v5, v5, v3, v7
	v_dual_mov_b32 v7, 0 :: v_dual_lshlrev_b32 v6, 7, v6
	s_delay_alu instid0(VALU_DEP_2) | instskip(NEXT) | instid1(VALU_DEP_2)
	v_lshlrev_b64 v[3:4], 1, v[4:5]
	v_lshlrev_b64 v[5:6], 1, v[6:7]
	v_lshlrev_b32_e32 v7, 6, v36
	s_waitcnt lgkmcnt(0)
	s_delay_alu instid0(VALU_DEP_3) | instskip(NEXT) | instid1(VALU_DEP_4)
	v_add_co_u32 v3, vcc_lo, s4, v3
	v_add_co_ci_u32_e32 v4, vcc_lo, s5, v4, vcc_lo
	s_load_b64 s[4:5], s[0:1], 0x0
	s_delay_alu instid0(VALU_DEP_2) | instskip(NEXT) | instid1(VALU_DEP_2)
	v_add_co_u32 v3, vcc_lo, v3, v5
	v_add_co_ci_u32_e32 v4, vcc_lo, v4, v6, vcc_lo
	s_delay_alu instid0(VALU_DEP_2) | instskip(NEXT) | instid1(VALU_DEP_2)
	v_add_co_u32 v15, vcc_lo, v3, v7
	v_add_co_ci_u32_e32 v16, vcc_lo, 0, v4, vcc_lo
	s_clause 0x3
	global_load_b128 v[3:6], v[15:16], off
	global_load_b128 v[7:10], v[15:16], off offset:16
	global_load_b128 v[11:14], v[15:16], off offset:32
	;; [unrolled: 1-line block ×3, first 2 shown]
	s_waitcnt vmcnt(3)
	v_and_b32_e32 v19, 0xffff, v3
	v_lshrrev_b32_e32 v3, 16, v3
	v_and_b32_e32 v21, 0xffff, v4
	v_lshrrev_b32_e32 v4, 16, v4
	v_and_b32_e32 v25, 0xffff, v6
	v_cvt_f32_u32_e32 v19, v19
	v_cvt_f32_u32_e32 v20, v3
	v_and_b32_e32 v3, 0xffff, v5
	v_lshrrev_b32_e32 v5, 16, v5
	v_cvt_f32_u32_e32 v21, v21
	v_cvt_f32_u32_e32 v22, v4
	v_max3_f32 v4, v19, 0x2edbe6ff, v20
	v_lshrrev_b32_e32 v6, 16, v6
	v_cvt_f32_u32_e32 v23, v3
	v_cvt_f32_u32_e32 v24, v5
	s_waitcnt vmcnt(2)
	v_lshrrev_b32_e32 v5, 16, v7
	v_max3_f32 v3, v4, v21, v22
	v_and_b32_e32 v4, 0xffff, v7
	v_cvt_f32_u32_e32 v25, v25
	v_cvt_f32_u32_e32 v26, v6
	v_and_b32_e32 v6, 0xffff, v8
	v_max3_f32 v3, v3, v23, v24
	v_lshrrev_b32_e32 v7, 16, v8
	v_cvt_f32_u32_e32 v27, v4
	v_cvt_f32_u32_e32 v28, v5
	v_and_b32_e32 v4, 0xffff, v9
	v_max3_f32 v3, v3, v25, v26
	v_lshrrev_b32_e32 v5, 16, v9
	;; [unrolled: 5-line block ×3, first 2 shown]
	v_cvt_f32_u32_e32 v31, v4
	v_cvt_f32_u32_e32 v32, v5
	s_waitcnt vmcnt(1)
	v_and_b32_e32 v4, 0xffff, v11
	v_max3_f32 v3, v3, v29, v30
	v_lshrrev_b32_e32 v5, 16, v11
	v_cvt_f32_u32_e32 v33, v6
	v_cvt_f32_u32_e32 v34, v7
	v_and_b32_e32 v6, 0xffff, v12
	v_max3_f32 v3, v3, v31, v32
	v_lshrrev_b32_e32 v7, 16, v12
	v_cvt_f32_u32_e32 v8, v4
	v_cvt_f32_u32_e32 v9, v5
	;; [unrolled: 5-line block ×4, first 2 shown]
	s_waitcnt vmcnt(0)
	v_and_b32_e32 v4, 0xffff, v15
	v_max3_f32 v3, v3, v10, v5
	v_lshrrev_b32_e32 v14, 16, v15
	v_cvt_f32_u32_e32 v11, v12
	v_cvt_f32_u32_e32 v12, v13
	v_and_b32_e32 v15, 0xffff, v16
	v_max3_f32 v3, v3, v6, v7
	v_lshrrev_b32_e32 v16, 16, v16
	v_cvt_f32_u32_e32 v13, v4
	v_cvt_f32_u32_e32 v14, v14
	;; [unrolled: 5-line block ×3, first 2 shown]
	v_lshrrev_b32_e32 v38, 16, v18
	v_max3_f32 v15, v35, v13, v14
	v_and_b32_e32 v35, 0xffff, v18
	v_cvt_f32_u32_e32 v16, v37
	v_cvt_f32_u32_e32 v18, v17
	;; [unrolled: 1-line block ×3, first 2 shown]
	v_max3_f32 v37, v15, v3, v4
	v_cvt_f32_u32_e32 v15, v35
	s_delay_alu instid0(VALU_DEP_2) | instskip(NEXT) | instid1(VALU_DEP_1)
	v_max3_f32 v35, v37, v16, v18
	v_max3_f32 v35, v35, v15, v17
	s_delay_alu instid0(VALU_DEP_1) | instskip(NEXT) | instid1(VALU_DEP_1)
	v_mov_b32_dpp v37, v35 quad_perm:[1,0,3,2] row_mask:0xf bank_mask:0xf
	v_cmp_gt_f32_e32 vcc_lo, v35, v37
	v_cndmask_b32_e32 v35, v37, v35, vcc_lo
	s_delay_alu instid0(VALU_DEP_1) | instskip(NEXT) | instid1(VALU_DEP_1)
	v_mov_b32_dpp v37, v35 quad_perm:[2,3,0,1] row_mask:0xf bank_mask:0xf
	v_cmp_gt_f32_e32 vcc_lo, v35, v37
	v_cndmask_b32_e32 v35, v37, v35, vcc_lo
	s_delay_alu instid0(VALU_DEP_1)
	v_mul_f32_e32 v35, 0x3c010204, v35
	v_cmpx_eq_u32_e32 0, v36
	s_cbranch_execz .LBB33_11
; %bb.10:
	s_load_b64 s[6:7], s[0:1], 0x8
	v_lshlrev_b64 v[36:37], 2, v[1:2]
	s_waitcnt lgkmcnt(0)
	s_delay_alu instid0(VALU_DEP_1) | instskip(NEXT) | instid1(VALU_DEP_2)
	v_add_co_u32 v36, vcc_lo, s6, v36
	v_add_co_ci_u32_e32 v37, vcc_lo, s7, v37, vcc_lo
	global_store_b32 v[36:37], v35, off
.LBB33_11:
	s_or_b32 exec_lo, exec_lo, s2
	s_delay_alu instid0(VALU_DEP_2) | instskip(SKIP_2) | instid1(VALU_DEP_2)
	v_div_scale_f32 v2, null, v35, v35, 1.0
	v_div_scale_f32 v38, vcc_lo, 1.0, v35, 1.0
	s_load_b32 s6, s[0:1], 0x30
	v_rcp_f32_e32 v36, v2
	s_waitcnt lgkmcnt(0)
	s_and_b32 s5, s5, 0xffff
	s_mov_b32 s7, -1
	v_lshlrev_b32_e32 v1, 7, v1
	s_waitcnt_depctr 0xfff
	v_fma_f32 v37, -v2, v36, 1.0
	s_delay_alu instid0(VALU_DEP_1) | instskip(NEXT) | instid1(VALU_DEP_1)
	v_fmac_f32_e32 v36, v37, v36
	v_mul_f32_e32 v37, v38, v36
	s_delay_alu instid0(VALU_DEP_1) | instskip(NEXT) | instid1(VALU_DEP_1)
	v_fma_f32 v39, -v2, v37, v38
	v_fmac_f32_e32 v37, v39, v36
	s_delay_alu instid0(VALU_DEP_1) | instskip(NEXT) | instid1(VALU_DEP_1)
	v_fma_f32 v2, -v2, v37, v38
	v_div_fmas_f32 v2, v2, v36, v37
	s_delay_alu instid0(VALU_DEP_1) | instskip(NEXT) | instid1(VALU_DEP_1)
	v_div_fixup_f32 v2, v2, v35, 1.0
	v_dual_mul_f32 v13, v2, v13 :: v_dual_lshlrev_b32 v0, 5, v0
	v_mul_f32_e32 v17, v2, v17
	v_mul_f32_e32 v15, v2, v15
	s_delay_alu instid0(VALU_DEP_3)
	v_and_or_b32 v35, 0x60, v0, v1
	v_mul_f32_e32 v0, v2, v19
	v_cvt_i32_f32_e32 v13, v13
	v_mul_f32_e32 v14, v2, v14
	v_cvt_i32_f32_e32 v17, v17
	v_cvt_i32_f32_e32 v15, v15
	s_delay_alu instid0(VALU_DEP_4) | instskip(NEXT) | instid1(VALU_DEP_4)
	v_dual_mul_f32 v12, v2, v12 :: v_dual_and_b32 v13, 0xff, v13
	v_cvt_i32_f32_e32 v14, v14
	s_delay_alu instid0(VALU_DEP_4) | instskip(NEXT) | instid1(VALU_DEP_4)
	v_lshlrev_b16 v17, 8, v17
	v_and_b32_e32 v15, 0xff, v15
	v_mul_f32_e32 v19, v2, v21
	v_cvt_i32_f32_e32 v0, v0
	v_lshlrev_b16 v14, 8, v14
	v_mul_f32_e32 v21, v2, v23
	v_mul_f32_e32 v23, v2, v25
	;; [unrolled: 1-line block ×4, first 2 shown]
	v_or_b32_e32 v13, v13, v14
	v_mul_f32_e32 v16, v2, v16
	v_or_b32_e32 v15, v15, v17
	v_mul_f32_e32 v1, v2, v20
	v_cvt_i32_f32_e32 v25, v25
	v_and_b32_e32 v13, 0xffff, v13
	v_cvt_i32_f32_e32 v16, v16
	v_mul_f32_e32 v29, v2, v31
	v_dual_mul_f32 v31, v2, v33 :: v_dual_lshlrev_b32 v14, 16, v15
	v_cvt_i32_f32_e32 v27, v27
	v_and_b32_e32 v0, 0xff, v0
	v_cvt_i32_f32_e32 v21, v21
	s_delay_alu instid0(VALU_DEP_4) | instskip(SKIP_3) | instid1(VALU_DEP_4)
	v_cvt_i32_f32_e32 v31, v31
	v_and_b32_e32 v16, 0xff, v16
	v_cvt_i32_f32_e32 v29, v29
	v_mul_f32_e32 v20, v2, v22
	v_dual_mul_f32 v22, v2, v24 :: v_dual_and_b32 v31, 0xff, v31
	v_dual_mul_f32 v24, v2, v26 :: v_dual_and_b32 v25, 0xff, v25
	;; [unrolled: 1-line block ×5, first 2 shown]
	v_cvt_i32_f32_e32 v20, v20
	v_cvt_i32_f32_e32 v22, v22
	v_cvt_i32_f32_e32 v26, v26
	s_delay_alu instid0(VALU_DEP_4)
	v_cvt_i32_f32_e32 v30, v30
	v_cvt_i32_f32_e32 v28, v28
	v_lshlrev_b16 v33, 8, v20
	v_cvt_i32_f32_e32 v24, v24
	v_lshlrev_b16 v26, 8, v26
	v_lshlrev_b16 v30, 8, v30
	;; [unrolled: 1-line block ×5, first 2 shown]
	v_or_b32_e32 v25, v25, v26
	v_or_b32_e32 v20, v29, v30
	;; [unrolled: 1-line block ×4, first 2 shown]
	v_cvt_i32_f32_e32 v19, v19
	v_mul_f32_e32 v10, v2, v10
	v_and_b32_e32 v20, 0xffff, v20
	v_cvt_i32_f32_e32 v23, v23
	s_delay_alu instid0(VALU_DEP_4) | instskip(NEXT) | instid1(VALU_DEP_4)
	v_dual_mul_f32 v8, v2, v8 :: v_dual_and_b32 v27, 0xff, v19
	v_cvt_i32_f32_e32 v10, v10
	v_mul_f32_e32 v11, v2, v11
	s_delay_alu instid0(VALU_DEP_4) | instskip(SKIP_3) | instid1(VALU_DEP_4)
	v_dual_mul_f32 v32, v2, v34 :: v_dual_and_b32 v23, 0xff, v23
	v_mul_f32_e32 v9, v2, v9
	v_mul_f32_e32 v6, v2, v6
	v_and_b32_e32 v10, 0xff, v10
	v_or_b32_e32 v22, v23, v24
	v_and_b32_e32 v24, 0xffff, v25
	v_lshlrev_b32_e32 v25, 16, v26
	v_and_b32_e32 v26, 0xffff, v21
	v_cvt_i32_f32_e32 v1, v1
	v_cvt_i32_f32_e32 v6, v6
	v_mul_f32_e32 v5, v2, v5
	v_cvt_i32_f32_e32 v8, v8
	v_mul_f32_e32 v7, v2, v7
	v_lshlrev_b16 v1, 8, v1
	v_and_b32_e32 v6, 0xff, v6
	v_cvt_i32_f32_e32 v5, v5
	v_and_b32_e32 v8, 0xff, v8
	v_cvt_i32_f32_e32 v11, v11
	v_or_b32_e32 v0, v0, v1
	v_or_b32_e32 v1, v27, v33
	v_lshlrev_b16 v5, 8, v5
	v_mul_f32_e32 v18, v2, v18
	v_dual_mul_f32 v4, v2, v4 :: v_dual_and_b32 v11, 0xff, v11
	s_delay_alu instid0(VALU_DEP_4) | instskip(NEXT) | instid1(VALU_DEP_4)
	v_lshlrev_b32_e32 v1, 16, v1
	v_or_b32_e32 v5, v10, v5
	v_mul_f32_e32 v2, v2, v3
	v_cvt_i32_f32_e32 v32, v32
	v_cvt_i32_f32_e32 v7, v7
	;; [unrolled: 1-line block ×3, first 2 shown]
	v_lshlrev_b32_e32 v5, 16, v5
	v_cvt_i32_f32_e32 v2, v2
	v_cvt_i32_f32_e32 v18, v18
	;; [unrolled: 1-line block ×3, first 2 shown]
	v_lshlrev_b16 v32, 8, v32
	v_lshlrev_b16 v7, 8, v7
	v_and_b32_e32 v2, 0xff, v2
	v_cvt_i32_f32_e32 v9, v9
	v_lshlrev_b16 v18, 8, v18
	v_lshlrev_b16 v4, 8, v4
	;; [unrolled: 1-line block ×3, first 2 shown]
	v_or_b32_e32 v29, v31, v32
	v_lshlrev_b16 v9, 8, v9
	v_or_b32_e32 v3, v16, v18
	v_or_b32_e32 v2, v2, v4
	;; [unrolled: 1-line block ×5, first 2 shown]
	v_lshlrev_b32_e32 v23, 16, v29
	v_lshlrev_b32_e32 v22, 16, v22
	v_and_b32_e32 v0, 0xffff, v0
	v_and_b32_e32 v3, 0xffff, v3
	v_lshlrev_b32_e32 v2, 16, v2
	v_and_b32_e32 v4, 0xffff, v4
	v_lshlrev_b32_e32 v6, 16, v6
	v_and_b32_e32 v7, 0xffff, v7
	v_or_b32_e32 v21, v20, v23
	v_or_b32_e32 v20, v24, v25
	v_or_b32_e32 v19, v26, v22
	v_or_b32_e32 v18, v0, v1
	v_or_b32_e32 v3, v3, v14
	v_or_b32_e32 v2, v13, v2
	v_or_b32_e32 v1, v4, v6
	v_or_b32_e32 v0, v7, v5
	buffer_store_b128 v[18:21], v35, s[4:7], 0 offen
	;;#ASMSTART
	s_nop 0
	;;#ASMEND
	buffer_store_b128 v[0:3], v35, s[4:7], 16 offen
	;;#ASMSTART
	s_nop 0
	;;#ASMEND
	s_nop 0
	s_sendmsg sendmsg(MSG_DEALLOC_VGPRS)
	s_endpgm
	.section	.rodata,"a",@progbits
	.p2align	6, 0x0
	.amdhsa_kernel _ZN5aiter37dynamic_per_group_scaled_quant_kernelItaLi32ELi128ELb0ELi64ELb0EEEvPT0_PfPKT_PKfliilPKii
		.amdhsa_group_segment_fixed_size 0
		.amdhsa_private_segment_fixed_size 0
		.amdhsa_kernarg_size 68
		.amdhsa_user_sgpr_count 15
		.amdhsa_user_sgpr_dispatch_ptr 0
		.amdhsa_user_sgpr_queue_ptr 0
		.amdhsa_user_sgpr_kernarg_segment_ptr 1
		.amdhsa_user_sgpr_dispatch_id 0
		.amdhsa_user_sgpr_private_segment_size 0
		.amdhsa_wavefront_size32 1
		.amdhsa_uses_dynamic_stack 0
		.amdhsa_enable_private_segment 0
		.amdhsa_system_sgpr_workgroup_id_x 1
		.amdhsa_system_sgpr_workgroup_id_y 0
		.amdhsa_system_sgpr_workgroup_id_z 0
		.amdhsa_system_sgpr_workgroup_info 0
		.amdhsa_system_vgpr_workitem_id 0
		.amdhsa_next_free_vgpr 40
		.amdhsa_next_free_sgpr 16
		.amdhsa_reserve_vcc 1
		.amdhsa_float_round_mode_32 0
		.amdhsa_float_round_mode_16_64 0
		.amdhsa_float_denorm_mode_32 3
		.amdhsa_float_denorm_mode_16_64 3
		.amdhsa_dx10_clamp 1
		.amdhsa_ieee_mode 1
		.amdhsa_fp16_overflow 0
		.amdhsa_workgroup_processor_mode 1
		.amdhsa_memory_ordered 1
		.amdhsa_forward_progress 0
		.amdhsa_shared_vgpr_count 0
		.amdhsa_exception_fp_ieee_invalid_op 0
		.amdhsa_exception_fp_denorm_src 0
		.amdhsa_exception_fp_ieee_div_zero 0
		.amdhsa_exception_fp_ieee_overflow 0
		.amdhsa_exception_fp_ieee_underflow 0
		.amdhsa_exception_fp_ieee_inexact 0
		.amdhsa_exception_int_div_zero 0
	.end_amdhsa_kernel
	.section	.text._ZN5aiter37dynamic_per_group_scaled_quant_kernelItaLi32ELi128ELb0ELi64ELb0EEEvPT0_PfPKT_PKfliilPKii,"axG",@progbits,_ZN5aiter37dynamic_per_group_scaled_quant_kernelItaLi32ELi128ELb0ELi64ELb0EEEvPT0_PfPKT_PKfliilPKii,comdat
.Lfunc_end33:
	.size	_ZN5aiter37dynamic_per_group_scaled_quant_kernelItaLi32ELi128ELb0ELi64ELb0EEEvPT0_PfPKT_PKfliilPKii, .Lfunc_end33-_ZN5aiter37dynamic_per_group_scaled_quant_kernelItaLi32ELi128ELb0ELi64ELb0EEEvPT0_PfPKT_PKfliilPKii
                                        ; -- End function
	.section	.AMDGPU.csdata,"",@progbits
; Kernel info:
; codeLenInByte = 2880
; NumSgprs: 18
; NumVgprs: 40
; ScratchSize: 0
; MemoryBound: 0
; FloatMode: 240
; IeeeMode: 1
; LDSByteSize: 0 bytes/workgroup (compile time only)
; SGPRBlocks: 2
; VGPRBlocks: 4
; NumSGPRsForWavesPerEU: 18
; NumVGPRsForWavesPerEU: 40
; Occupancy: 16
; WaveLimiterHint : 0
; COMPUTE_PGM_RSRC2:SCRATCH_EN: 0
; COMPUTE_PGM_RSRC2:USER_SGPR: 15
; COMPUTE_PGM_RSRC2:TRAP_HANDLER: 0
; COMPUTE_PGM_RSRC2:TGID_X_EN: 1
; COMPUTE_PGM_RSRC2:TGID_Y_EN: 0
; COMPUTE_PGM_RSRC2:TGID_Z_EN: 0
; COMPUTE_PGM_RSRC2:TIDIG_COMP_CNT: 0
	.section	.text._ZN5aiter37dynamic_per_token_scaled_quant_kernelIDF16_DB8_Li8EEEvPT0_PfPT_PKfiPKii,"axG",@progbits,_ZN5aiter37dynamic_per_token_scaled_quant_kernelIDF16_DB8_Li8EEEvPT0_PfPT_PKfiPKii,comdat
	.protected	_ZN5aiter37dynamic_per_token_scaled_quant_kernelIDF16_DB8_Li8EEEvPT0_PfPT_PKfiPKii ; -- Begin function _ZN5aiter37dynamic_per_token_scaled_quant_kernelIDF16_DB8_Li8EEEvPT0_PfPT_PKfiPKii
	.globl	_ZN5aiter37dynamic_per_token_scaled_quant_kernelIDF16_DB8_Li8EEEvPT0_PfPT_PKfiPKii
	.p2align	8
	.type	_ZN5aiter37dynamic_per_token_scaled_quant_kernelIDF16_DB8_Li8EEEvPT0_PfPT_PKfiPKii,@function
_ZN5aiter37dynamic_per_token_scaled_quant_kernelIDF16_DB8_Li8EEEvPT0_PfPT_PKfiPKii: ; @_ZN5aiter37dynamic_per_token_scaled_quant_kernelIDF16_DB8_Li8EEEvPT0_PfPT_PKfiPKii
; %bb.0:
	s_load_b64 s[2:3], s[0:1], 0x28
	s_mov_b32 s6, s15
	s_waitcnt lgkmcnt(0)
	s_cmp_eq_u64 s[2:3], 0
	s_cselect_b32 s4, -1, 0
	s_delay_alu instid0(SALU_CYCLE_1)
	s_and_b32 vcc_lo, exec_lo, s4
	s_cbranch_vccnz .LBB34_2
; %bb.1:
	s_load_b32 s4, s[0:1], 0x30
	s_load_b32 s2, s[2:3], 0x0
	s_waitcnt lgkmcnt(0)
	s_mul_i32 s2, s2, s4
	s_delay_alu instid0(SALU_CYCLE_1)
	s_cmp_lt_i32 s6, s2
	s_cselect_b32 s4, -1, 0
.LBB34_2:
	s_delay_alu instid0(SALU_CYCLE_1)
	s_and_not1_b32 vcc_lo, exec_lo, s4
	s_cbranch_vccnz .LBB34_11
; %bb.3:
	s_load_b32 s8, s[0:1], 0x20
	v_mov_b32_e32 v5, 0
                                        ; implicit-def: $vgpr1
	s_waitcnt lgkmcnt(0)
	s_add_i32 s2, s8, 7
	s_mul_i32 s4, s6, s8
	s_ashr_i32 s3, s2, 31
	s_delay_alu instid0(SALU_CYCLE_1) | instskip(NEXT) | instid1(SALU_CYCLE_1)
	s_lshr_b32 s3, s3, 29
	s_add_i32 s2, s2, s3
	s_delay_alu instid0(SALU_CYCLE_1) | instskip(NEXT) | instid1(SALU_CYCLE_1)
	s_ashr_i32 s2, s2, 3
	v_cmp_gt_u32_e32 vcc_lo, s2, v0
	s_and_saveexec_b32 s2, vcc_lo
	s_cbranch_execz .LBB34_5
; %bb.4:
	s_load_b64 s[10:11], s[0:1], 0x10
	s_mov_b32 s5, 0
	v_lshlrev_b32_e32 v1, 4, v0
	s_lshl_b64 s[12:13], s[4:5], 1
	s_mov_b32 s15, -1
	s_waitcnt lgkmcnt(0)
	s_add_u32 s12, s10, s12
	s_addc_u32 s3, s11, s13
	s_add_i32 s5, s8, 1
	s_and_b32 s13, s3, 0xffff
	s_lshr_b32 s7, s5, 31
	s_delay_alu instid0(SALU_CYCLE_1) | instskip(NEXT) | instid1(SALU_CYCLE_1)
	s_add_i32 s5, s5, s7
	s_lshl_b32 s5, s5, 1
	s_delay_alu instid0(SALU_CYCLE_1)
	s_and_b32 s14, s5, -4
	buffer_load_b128 v[1:4], v1, s[12:15], 0 offen
	s_waitcnt vmcnt(0)
	v_lshrrev_b32_e32 v5, 16, v1
	v_cvt_f32_f16_e64 v6, |v1|
	v_lshrrev_b32_e32 v7, 16, v2
	v_cvt_f32_f16_e64 v8, |v2|
	;; [unrolled: 2-line block ×3, first 2 shown]
	s_delay_alu instid0(VALU_DEP_4) | instskip(NEXT) | instid1(VALU_DEP_3)
	v_cvt_f32_f16_e64 v7, |v7|
	v_cvt_f32_f16_e64 v9, |v9|
	s_delay_alu instid0(VALU_DEP_3) | instskip(SKIP_1) | instid1(VALU_DEP_2)
	v_max3_f32 v5, v6, 0, v5
	v_cvt_f32_f16_e64 v6, |v3|
	v_max3_f32 v5, v5, v8, v7
	v_lshrrev_b32_e32 v7, 16, v4
	v_cvt_f32_f16_e64 v8, |v4|
	s_delay_alu instid0(VALU_DEP_3) | instskip(NEXT) | instid1(VALU_DEP_3)
	v_max3_f32 v5, v5, v6, v9
	v_cvt_f32_f16_e64 v6, |v7|
	s_delay_alu instid0(VALU_DEP_1)
	v_max3_f32 v5, v5, v8, v6
.LBB34_5:
	s_or_b32 exec_lo, exec_lo, s2
	s_delay_alu instid0(VALU_DEP_1) | instskip(SKIP_2) | instid1(VALU_DEP_2)
	v_mov_b32_dpp v6, v5 quad_perm:[1,0,3,2] row_mask:0xf bank_mask:0xf
	v_and_b32_e32 v7, 31, v0
	s_mov_b32 s5, exec_lo
	v_cmp_gt_f32_e64 s2, v5, v6
	s_delay_alu instid0(VALU_DEP_1) | instskip(NEXT) | instid1(VALU_DEP_1)
	v_cndmask_b32_e64 v5, v6, v5, s2
	v_mov_b32_dpp v6, v5 quad_perm:[2,3,0,1] row_mask:0xf bank_mask:0xf
	s_delay_alu instid0(VALU_DEP_1) | instskip(NEXT) | instid1(VALU_DEP_1)
	v_cmp_gt_f32_e64 s2, v5, v6
	v_cndmask_b32_e64 v5, v6, v5, s2
	s_delay_alu instid0(VALU_DEP_1) | instskip(NEXT) | instid1(VALU_DEP_1)
	v_mov_b32_dpp v6, v5 row_xmask:7 row_mask:0xf bank_mask:0xf
	v_cmp_gt_f32_e64 s2, v5, v6
	s_delay_alu instid0(VALU_DEP_1) | instskip(NEXT) | instid1(VALU_DEP_1)
	v_cndmask_b32_e64 v5, v6, v5, s2
	v_mov_b32_dpp v6, v5 row_xmask:15 row_mask:0xf bank_mask:0xf
	s_delay_alu instid0(VALU_DEP_1)
	v_cmp_gt_f32_e64 s2, v5, v6
	v_cmpx_eq_u32_e32 31, v7
	s_cbranch_execz .LBB34_7
; %bb.6:
	s_delay_alu instid0(VALU_DEP_2) | instskip(SKIP_2) | instid1(VALU_DEP_2)
	v_cndmask_b32_e64 v5, v6, v5, s2
	s_mov_b32 s2, 0x76543210
	v_lshrrev_b32_e32 v6, 3, v0
	v_permlanex16_b32 v7, v5, s2, 0xfedcba98 op_sel:[1,1]
	s_delay_alu instid0(VALU_DEP_2) | instskip(NEXT) | instid1(VALU_DEP_2)
	v_and_b32_e32 v6, 0x7c, v6
	v_cmp_gt_f32_e64 s2, v5, v7
	s_delay_alu instid0(VALU_DEP_1)
	v_cndmask_b32_e64 v5, v7, v5, s2
	ds_store_b32 v6, v5
.LBB34_7:
	s_or_b32 exec_lo, exec_lo, s5
	v_and_b32_e32 v5, 7, v0
	s_waitcnt lgkmcnt(0)
	s_barrier
	buffer_gl0_inv
	s_mov_b32 s3, exec_lo
	v_lshlrev_b32_e32 v5, 2, v5
	ds_load_b32 v5, v5
	s_waitcnt lgkmcnt(0)
	v_mov_b32_dpp v6, v5 quad_perm:[1,0,3,2] row_mask:0xf bank_mask:0xf
	s_delay_alu instid0(VALU_DEP_1) | instskip(NEXT) | instid1(VALU_DEP_1)
	v_cmp_gt_f32_e64 s2, v5, v6
	v_cndmask_b32_e64 v5, v6, v5, s2
	s_delay_alu instid0(VALU_DEP_1) | instskip(NEXT) | instid1(VALU_DEP_1)
	v_mov_b32_dpp v6, v5 quad_perm:[2,3,0,1] row_mask:0xf bank_mask:0xf
	v_cmp_gt_f32_e64 s2, v5, v6
	s_delay_alu instid0(VALU_DEP_1) | instskip(NEXT) | instid1(VALU_DEP_1)
	v_cndmask_b32_e64 v5, v6, v5, s2
	v_mov_b32_dpp v6, v5 row_xmask:7 row_mask:0xf bank_mask:0xf
	s_delay_alu instid0(VALU_DEP_1) | instskip(NEXT) | instid1(VALU_DEP_1)
	v_cmp_gt_f32_e64 s2, v5, v6
	v_cndmask_b32_e64 v5, v6, v5, s2
	s_delay_alu instid0(VALU_DEP_1)
	v_mul_f32_e32 v5, 0x3b124925, v5
	v_cmpx_eq_u32_e32 0, v0
	s_cbranch_execz .LBB34_9
; %bb.8:
	s_load_b64 s[10:11], s[0:1], 0x8
	s_ashr_i32 s7, s6, 31
	v_mov_b32_e32 v6, 0
	s_lshl_b64 s[6:7], s[6:7], 2
	s_waitcnt lgkmcnt(0)
	s_add_u32 s6, s10, s6
	s_addc_u32 s7, s11, s7
	global_store_b32 v6, v5, s[6:7]
.LBB34_9:
	s_or_b32 exec_lo, exec_lo, s3
	s_and_saveexec_b32 s2, vcc_lo
	s_cbranch_execz .LBB34_11
; %bb.10:
	v_rcp_f32_e32 v5, v5
	v_lshrrev_b32_e32 v6, 16, v1
	v_lshrrev_b32_e32 v7, 16, v2
	v_cvt_f32_f16_e32 v1, v1
	v_cvt_f32_f16_e32 v2, v2
	v_mov_b32_e32 v8, 0xc3e00000
	v_cvt_f32_f16_e32 v6, v6
	v_cvt_f32_f16_e32 v7, v7
	s_load_b64 s[0:1], s[0:1], 0x0
	v_mov_b32_e32 v9, 0x43e00000
	v_mul_f32_e32 v1, v5, v1
	v_mul_f32_e32 v6, v5, v6
	;; [unrolled: 1-line block ×4, first 2 shown]
	;;#ASMSTART
	v_med3_f32 v1, v1, v8, v9
v_med3_f32 v6, v6, v8, v9
v_cvt_pk_fp8_f32 v10, v1, v6
	;;#ASMEND
	;;#ASMSTART
	v_med3_f32 v2, v2, v8, v9
v_med3_f32 v7, v7, v8, v9
v_cvt_pk_fp8_f32 v1, v2, v7
	;;#ASMEND
	v_perm_b32 v2, v1, v10, 0x5040100
	v_lshrrev_b32_e32 v6, 16, v3
	v_lshrrev_b32_e32 v7, 16, v4
	v_and_b32_e32 v1, 0xffffff00, v1
	v_cvt_f32_f16_e32 v3, v3
	v_lshrrev_b32_e32 v10, 16, v2
	v_cvt_f32_f16_e32 v6, v6
	v_cvt_f32_f16_e32 v4, v4
	;; [unrolled: 1-line block ×3, first 2 shown]
	s_delay_alu instid0(VALU_DEP_4) | instskip(NEXT) | instid1(VALU_DEP_3)
	v_dual_mul_f32 v3, v5, v3 :: v_dual_and_b32 v10, 0xff, v10
	v_mul_f32_e32 v4, v5, v4
	s_waitcnt lgkmcnt(0)
	s_add_u32 s0, s0, s4
	s_addc_u32 s1, s1, 0
	v_or_b32_e32 v1, v10, v1
	v_mul_f32_e32 v6, v5, v6
	v_mul_f32_e32 v5, v5, v7
	s_add_i32 s2, s8, 3
	s_and_b32 s1, s1, 0xffff
	v_lshlrev_b32_e32 v1, 16, v1
	;;#ASMSTART
	v_med3_f32 v3, v3, v8, v9
v_med3_f32 v6, v6, v8, v9
v_cvt_pk_fp8_f32 v7, v3, v6
	;;#ASMEND
	;;#ASMSTART
	v_med3_f32 v4, v4, v8, v9
v_med3_f32 v5, v5, v8, v9
v_cvt_pk_fp8_f32 v3, v4, v5
	;;#ASMEND
	v_lshlrev_b32_e32 v3, 16, v3
	s_ashr_i32 s3, s2, 31
	v_lshlrev_b32_e32 v4, 3, v0
	s_lshr_b32 s3, s3, 30
	v_and_or_b32 v0, 0xffff, v2, v1
	v_and_or_b32 v1, 0xffff, v7, v3
	s_add_i32 s2, s2, s3
	s_mov_b32 s3, -1
	s_and_b32 s2, s2, -4
	buffer_store_b64 v[0:1], v4, s[0:3], 0 offen
	;;#ASMSTART
	s_nop 0
	;;#ASMEND
.LBB34_11:
	s_nop 0
	s_sendmsg sendmsg(MSG_DEALLOC_VGPRS)
	s_endpgm
	.section	.rodata,"a",@progbits
	.p2align	6, 0x0
	.amdhsa_kernel _ZN5aiter37dynamic_per_token_scaled_quant_kernelIDF16_DB8_Li8EEEvPT0_PfPT_PKfiPKii
		.amdhsa_group_segment_fixed_size 32
		.amdhsa_private_segment_fixed_size 0
		.amdhsa_kernarg_size 52
		.amdhsa_user_sgpr_count 15
		.amdhsa_user_sgpr_dispatch_ptr 0
		.amdhsa_user_sgpr_queue_ptr 0
		.amdhsa_user_sgpr_kernarg_segment_ptr 1
		.amdhsa_user_sgpr_dispatch_id 0
		.amdhsa_user_sgpr_private_segment_size 0
		.amdhsa_wavefront_size32 1
		.amdhsa_uses_dynamic_stack 0
		.amdhsa_enable_private_segment 0
		.amdhsa_system_sgpr_workgroup_id_x 1
		.amdhsa_system_sgpr_workgroup_id_y 0
		.amdhsa_system_sgpr_workgroup_id_z 0
		.amdhsa_system_sgpr_workgroup_info 0
		.amdhsa_system_vgpr_workitem_id 0
		.amdhsa_next_free_vgpr 11
		.amdhsa_next_free_sgpr 16
		.amdhsa_reserve_vcc 1
		.amdhsa_float_round_mode_32 0
		.amdhsa_float_round_mode_16_64 0
		.amdhsa_float_denorm_mode_32 3
		.amdhsa_float_denorm_mode_16_64 3
		.amdhsa_dx10_clamp 1
		.amdhsa_ieee_mode 1
		.amdhsa_fp16_overflow 0
		.amdhsa_workgroup_processor_mode 1
		.amdhsa_memory_ordered 1
		.amdhsa_forward_progress 0
		.amdhsa_shared_vgpr_count 0
		.amdhsa_exception_fp_ieee_invalid_op 0
		.amdhsa_exception_fp_denorm_src 0
		.amdhsa_exception_fp_ieee_div_zero 0
		.amdhsa_exception_fp_ieee_overflow 0
		.amdhsa_exception_fp_ieee_underflow 0
		.amdhsa_exception_fp_ieee_inexact 0
		.amdhsa_exception_int_div_zero 0
	.end_amdhsa_kernel
	.section	.text._ZN5aiter37dynamic_per_token_scaled_quant_kernelIDF16_DB8_Li8EEEvPT0_PfPT_PKfiPKii,"axG",@progbits,_ZN5aiter37dynamic_per_token_scaled_quant_kernelIDF16_DB8_Li8EEEvPT0_PfPT_PKfiPKii,comdat
.Lfunc_end34:
	.size	_ZN5aiter37dynamic_per_token_scaled_quant_kernelIDF16_DB8_Li8EEEvPT0_PfPT_PKfiPKii, .Lfunc_end34-_ZN5aiter37dynamic_per_token_scaled_quant_kernelIDF16_DB8_Li8EEEvPT0_PfPT_PKfiPKii
                                        ; -- End function
	.section	.AMDGPU.csdata,"",@progbits
; Kernel info:
; codeLenInByte = 1276
; NumSgprs: 18
; NumVgprs: 11
; ScratchSize: 0
; MemoryBound: 0
; FloatMode: 240
; IeeeMode: 1
; LDSByteSize: 32 bytes/workgroup (compile time only)
; SGPRBlocks: 2
; VGPRBlocks: 1
; NumSGPRsForWavesPerEU: 18
; NumVGPRsForWavesPerEU: 11
; Occupancy: 16
; WaveLimiterHint : 0
; COMPUTE_PGM_RSRC2:SCRATCH_EN: 0
; COMPUTE_PGM_RSRC2:USER_SGPR: 15
; COMPUTE_PGM_RSRC2:TRAP_HANDLER: 0
; COMPUTE_PGM_RSRC2:TGID_X_EN: 1
; COMPUTE_PGM_RSRC2:TGID_Y_EN: 0
; COMPUTE_PGM_RSRC2:TGID_Z_EN: 0
; COMPUTE_PGM_RSRC2:TIDIG_COMP_CNT: 0
	.section	.text._ZN5aiter37dynamic_per_token_scaled_quant_kernelItDB8_Li8EEEvPT0_PfPT_PKfiPKii,"axG",@progbits,_ZN5aiter37dynamic_per_token_scaled_quant_kernelItDB8_Li8EEEvPT0_PfPT_PKfiPKii,comdat
	.protected	_ZN5aiter37dynamic_per_token_scaled_quant_kernelItDB8_Li8EEEvPT0_PfPT_PKfiPKii ; -- Begin function _ZN5aiter37dynamic_per_token_scaled_quant_kernelItDB8_Li8EEEvPT0_PfPT_PKfiPKii
	.globl	_ZN5aiter37dynamic_per_token_scaled_quant_kernelItDB8_Li8EEEvPT0_PfPT_PKfiPKii
	.p2align	8
	.type	_ZN5aiter37dynamic_per_token_scaled_quant_kernelItDB8_Li8EEEvPT0_PfPT_PKfiPKii,@function
_ZN5aiter37dynamic_per_token_scaled_quant_kernelItDB8_Li8EEEvPT0_PfPT_PKfiPKii: ; @_ZN5aiter37dynamic_per_token_scaled_quant_kernelItDB8_Li8EEEvPT0_PfPT_PKfiPKii
; %bb.0:
	s_load_b64 s[2:3], s[0:1], 0x28
	s_mov_b32 s6, s15
	s_waitcnt lgkmcnt(0)
	s_cmp_eq_u64 s[2:3], 0
	s_cselect_b32 s4, -1, 0
	s_delay_alu instid0(SALU_CYCLE_1)
	s_and_b32 vcc_lo, exec_lo, s4
	s_cbranch_vccnz .LBB35_2
; %bb.1:
	s_load_b32 s4, s[0:1], 0x30
	s_load_b32 s2, s[2:3], 0x0
	s_waitcnt lgkmcnt(0)
	s_mul_i32 s2, s2, s4
	s_delay_alu instid0(SALU_CYCLE_1)
	s_cmp_lt_i32 s6, s2
	s_cselect_b32 s4, -1, 0
.LBB35_2:
	s_delay_alu instid0(SALU_CYCLE_1)
	s_and_not1_b32 vcc_lo, exec_lo, s4
	s_cbranch_vccnz .LBB35_11
; %bb.3:
	s_load_b32 s8, s[0:1], 0x20
	v_mov_b32_e32 v5, 0
                                        ; implicit-def: $vgpr1
	s_waitcnt lgkmcnt(0)
	s_add_i32 s2, s8, 7
	s_mul_i32 s4, s6, s8
	s_ashr_i32 s3, s2, 31
	s_delay_alu instid0(SALU_CYCLE_1) | instskip(NEXT) | instid1(SALU_CYCLE_1)
	s_lshr_b32 s3, s3, 29
	s_add_i32 s2, s2, s3
	s_delay_alu instid0(SALU_CYCLE_1) | instskip(NEXT) | instid1(SALU_CYCLE_1)
	s_ashr_i32 s2, s2, 3
	v_cmp_gt_u32_e32 vcc_lo, s2, v0
	s_and_saveexec_b32 s2, vcc_lo
	s_cbranch_execz .LBB35_5
; %bb.4:
	s_load_b64 s[10:11], s[0:1], 0x10
	s_mov_b32 s5, 0
	v_lshlrev_b32_e32 v1, 4, v0
	s_lshl_b64 s[12:13], s[4:5], 1
	s_mov_b32 s15, -1
	s_waitcnt lgkmcnt(0)
	s_add_u32 s12, s10, s12
	s_addc_u32 s3, s11, s13
	s_add_i32 s5, s8, 1
	s_and_b32 s13, s3, 0xffff
	s_lshr_b32 s7, s5, 31
	s_delay_alu instid0(SALU_CYCLE_1) | instskip(NEXT) | instid1(SALU_CYCLE_1)
	s_add_i32 s5, s5, s7
	s_lshl_b32 s5, s5, 1
	s_delay_alu instid0(SALU_CYCLE_1)
	s_and_b32 s14, s5, -4
	buffer_load_b128 v[1:4], v1, s[12:15], 0 offen
	s_waitcnt vmcnt(0)
	v_and_b32_e32 v5, 0xffff, v1
	v_lshrrev_b32_e32 v6, 16, v1
	v_and_b32_e32 v7, 0xffff, v2
	v_lshrrev_b32_e32 v8, 16, v2
	v_and_b32_e32 v9, 0xffff, v3
	v_cvt_f32_u32_e32 v5, v5
	v_cvt_f32_u32_e32 v6, v6
	v_lshrrev_b32_e32 v10, 16, v3
	v_cvt_f32_u32_e32 v7, v7
	v_cvt_f32_u32_e32 v8, v8
	;; [unrolled: 1-line block ×3, first 2 shown]
	v_max3_f32 v5, v5, 0, v6
	v_and_b32_e32 v6, 0xffff, v4
	v_cvt_f32_u32_e32 v10, v10
	s_delay_alu instid0(VALU_DEP_3) | instskip(SKIP_1) | instid1(VALU_DEP_4)
	v_max3_f32 v5, v5, v7, v8
	v_lshrrev_b32_e32 v7, 16, v4
	v_cvt_f32_u32_e32 v6, v6
	s_delay_alu instid0(VALU_DEP_3) | instskip(NEXT) | instid1(VALU_DEP_3)
	v_max3_f32 v5, v5, v9, v10
	v_cvt_f32_u32_e32 v7, v7
	s_delay_alu instid0(VALU_DEP_1)
	v_max3_f32 v5, v5, v6, v7
.LBB35_5:
	s_or_b32 exec_lo, exec_lo, s2
	s_delay_alu instid0(VALU_DEP_1) | instskip(SKIP_2) | instid1(VALU_DEP_2)
	v_mov_b32_dpp v6, v5 quad_perm:[1,0,3,2] row_mask:0xf bank_mask:0xf
	v_and_b32_e32 v7, 31, v0
	s_mov_b32 s5, exec_lo
	v_cmp_gt_f32_e64 s2, v5, v6
	s_delay_alu instid0(VALU_DEP_1) | instskip(NEXT) | instid1(VALU_DEP_1)
	v_cndmask_b32_e64 v5, v6, v5, s2
	v_mov_b32_dpp v6, v5 quad_perm:[2,3,0,1] row_mask:0xf bank_mask:0xf
	s_delay_alu instid0(VALU_DEP_1) | instskip(NEXT) | instid1(VALU_DEP_1)
	v_cmp_gt_f32_e64 s2, v5, v6
	v_cndmask_b32_e64 v5, v6, v5, s2
	s_delay_alu instid0(VALU_DEP_1) | instskip(NEXT) | instid1(VALU_DEP_1)
	v_mov_b32_dpp v6, v5 row_xmask:7 row_mask:0xf bank_mask:0xf
	v_cmp_gt_f32_e64 s2, v5, v6
	s_delay_alu instid0(VALU_DEP_1) | instskip(NEXT) | instid1(VALU_DEP_1)
	v_cndmask_b32_e64 v5, v6, v5, s2
	v_mov_b32_dpp v6, v5 row_xmask:15 row_mask:0xf bank_mask:0xf
	s_delay_alu instid0(VALU_DEP_1)
	v_cmp_gt_f32_e64 s2, v5, v6
	v_cmpx_eq_u32_e32 31, v7
	s_cbranch_execz .LBB35_7
; %bb.6:
	s_delay_alu instid0(VALU_DEP_2) | instskip(SKIP_2) | instid1(VALU_DEP_2)
	v_cndmask_b32_e64 v5, v6, v5, s2
	s_mov_b32 s2, 0x76543210
	v_lshrrev_b32_e32 v6, 3, v0
	v_permlanex16_b32 v7, v5, s2, 0xfedcba98 op_sel:[1,1]
	s_delay_alu instid0(VALU_DEP_2) | instskip(NEXT) | instid1(VALU_DEP_2)
	v_and_b32_e32 v6, 0x7c, v6
	v_cmp_gt_f32_e64 s2, v5, v7
	s_delay_alu instid0(VALU_DEP_1)
	v_cndmask_b32_e64 v5, v7, v5, s2
	ds_store_b32 v6, v5
.LBB35_7:
	s_or_b32 exec_lo, exec_lo, s5
	v_and_b32_e32 v5, 7, v0
	s_waitcnt lgkmcnt(0)
	s_barrier
	buffer_gl0_inv
	s_mov_b32 s3, exec_lo
	v_lshlrev_b32_e32 v5, 2, v5
	ds_load_b32 v5, v5
	s_waitcnt lgkmcnt(0)
	v_mov_b32_dpp v6, v5 quad_perm:[1,0,3,2] row_mask:0xf bank_mask:0xf
	s_delay_alu instid0(VALU_DEP_1) | instskip(NEXT) | instid1(VALU_DEP_1)
	v_cmp_gt_f32_e64 s2, v5, v6
	v_cndmask_b32_e64 v5, v6, v5, s2
	s_delay_alu instid0(VALU_DEP_1) | instskip(NEXT) | instid1(VALU_DEP_1)
	v_mov_b32_dpp v6, v5 quad_perm:[2,3,0,1] row_mask:0xf bank_mask:0xf
	v_cmp_gt_f32_e64 s2, v5, v6
	s_delay_alu instid0(VALU_DEP_1) | instskip(NEXT) | instid1(VALU_DEP_1)
	v_cndmask_b32_e64 v5, v6, v5, s2
	v_mov_b32_dpp v6, v5 row_xmask:7 row_mask:0xf bank_mask:0xf
	s_delay_alu instid0(VALU_DEP_1) | instskip(NEXT) | instid1(VALU_DEP_1)
	v_cmp_gt_f32_e64 s2, v5, v6
	v_cndmask_b32_e64 v5, v6, v5, s2
	s_delay_alu instid0(VALU_DEP_1)
	v_mul_f32_e32 v5, 0x3b124925, v5
	v_cmpx_eq_u32_e32 0, v0
	s_cbranch_execz .LBB35_9
; %bb.8:
	s_load_b64 s[10:11], s[0:1], 0x8
	s_ashr_i32 s7, s6, 31
	v_mov_b32_e32 v6, 0
	s_lshl_b64 s[6:7], s[6:7], 2
	s_waitcnt lgkmcnt(0)
	s_add_u32 s6, s10, s6
	s_addc_u32 s7, s11, s7
	global_store_b32 v6, v5, s[6:7]
.LBB35_9:
	s_or_b32 exec_lo, exec_lo, s3
	s_and_saveexec_b32 s2, vcc_lo
	s_cbranch_execz .LBB35_11
; %bb.10:
	v_rcp_f32_e32 v5, v5
	v_and_b32_e32 v7, 0xffff, v2
	v_lshrrev_b32_e32 v2, 16, v2
	s_load_b64 s[0:1], s[0:1], 0x0
	v_mov_b32_e32 v8, 0xc3e00000
	v_mov_b32_e32 v9, 0x43e00000
	v_cvt_f32_u32_e32 v7, v7
	v_and_b32_e32 v6, 0xffff, v1
	v_lshrrev_b32_e32 v1, 16, v1
	v_cvt_f32_u32_e32 v2, v2
	s_delay_alu instid0(VALU_DEP_4) | instskip(NEXT) | instid1(VALU_DEP_4)
	v_mul_f32_e32 v7, v5, v7
	v_cvt_f32_u32_e32 v6, v6
	s_delay_alu instid0(VALU_DEP_4) | instskip(NEXT) | instid1(VALU_DEP_4)
	v_cvt_f32_u32_e32 v1, v1
	v_mul_f32_e32 v2, v5, v2
	s_delay_alu instid0(VALU_DEP_3) | instskip(NEXT) | instid1(VALU_DEP_3)
	v_mul_f32_e32 v6, v5, v6
	v_mul_f32_e32 v1, v5, v1
	;;#ASMSTART
	v_med3_f32 v6, v6, v8, v9
v_med3_f32 v1, v1, v8, v9
v_cvt_pk_fp8_f32 v10, v6, v1
	;;#ASMEND
	;;#ASMSTART
	v_med3_f32 v7, v7, v8, v9
v_med3_f32 v2, v2, v8, v9
v_cvt_pk_fp8_f32 v1, v7, v2
	;;#ASMEND
	s_delay_alu instid0(VALU_DEP_1)
	v_perm_b32 v2, v1, v10, 0x5040100
	v_and_b32_e32 v10, 0xffff, v4
	v_and_b32_e32 v1, 0xffffff00, v1
	v_lshrrev_b32_e32 v4, 16, v4
	s_waitcnt lgkmcnt(0)
	s_add_u32 s0, s0, s4
	v_lshrrev_b32_e32 v7, 16, v2
	v_cvt_f32_u32_e32 v10, v10
	v_and_b32_e32 v6, 0xffff, v3
	v_lshrrev_b32_e32 v3, 16, v3
	v_cvt_f32_u32_e32 v4, v4
	v_and_b32_e32 v7, 0xff, v7
	s_addc_u32 s1, s1, 0
	s_add_i32 s2, s8, 3
	v_cvt_f32_u32_e32 v3, v3
	v_mul_f32_e32 v4, v5, v4
	v_or_b32_e32 v1, v7, v1
	v_mul_f32_e32 v7, v5, v10
	v_cvt_f32_u32_e32 v6, v6
	v_mul_f32_e32 v3, v5, v3
	s_ashr_i32 s3, s2, 31
	v_lshlrev_b32_e32 v1, 16, v1
	s_lshr_b32 s3, s3, 30
	v_mul_f32_e32 v6, v5, v6
	;;#ASMSTART
	v_med3_f32 v6, v6, v8, v9
v_med3_f32 v3, v3, v8, v9
v_cvt_pk_fp8_f32 v5, v6, v3
	;;#ASMEND
	;;#ASMSTART
	v_med3_f32 v7, v7, v8, v9
v_med3_f32 v4, v4, v8, v9
v_cvt_pk_fp8_f32 v3, v7, v4
	;;#ASMEND
	v_lshlrev_b32_e32 v3, 16, v3
	v_lshlrev_b32_e32 v4, 3, v0
	v_and_or_b32 v0, 0xffff, v2, v1
	s_add_i32 s2, s2, s3
	s_and_b32 s1, s1, 0xffff
	v_and_or_b32 v1, 0xffff, v5, v3
	s_and_b32 s2, s2, -4
	s_mov_b32 s3, -1
	buffer_store_b64 v[0:1], v4, s[0:3], 0 offen
	;;#ASMSTART
	s_nop 0
	;;#ASMEND
.LBB35_11:
	s_nop 0
	s_sendmsg sendmsg(MSG_DEALLOC_VGPRS)
	s_endpgm
	.section	.rodata,"a",@progbits
	.p2align	6, 0x0
	.amdhsa_kernel _ZN5aiter37dynamic_per_token_scaled_quant_kernelItDB8_Li8EEEvPT0_PfPT_PKfiPKii
		.amdhsa_group_segment_fixed_size 32
		.amdhsa_private_segment_fixed_size 0
		.amdhsa_kernarg_size 52
		.amdhsa_user_sgpr_count 15
		.amdhsa_user_sgpr_dispatch_ptr 0
		.amdhsa_user_sgpr_queue_ptr 0
		.amdhsa_user_sgpr_kernarg_segment_ptr 1
		.amdhsa_user_sgpr_dispatch_id 0
		.amdhsa_user_sgpr_private_segment_size 0
		.amdhsa_wavefront_size32 1
		.amdhsa_uses_dynamic_stack 0
		.amdhsa_enable_private_segment 0
		.amdhsa_system_sgpr_workgroup_id_x 1
		.amdhsa_system_sgpr_workgroup_id_y 0
		.amdhsa_system_sgpr_workgroup_id_z 0
		.amdhsa_system_sgpr_workgroup_info 0
		.amdhsa_system_vgpr_workitem_id 0
		.amdhsa_next_free_vgpr 11
		.amdhsa_next_free_sgpr 16
		.amdhsa_reserve_vcc 1
		.amdhsa_float_round_mode_32 0
		.amdhsa_float_round_mode_16_64 0
		.amdhsa_float_denorm_mode_32 3
		.amdhsa_float_denorm_mode_16_64 3
		.amdhsa_dx10_clamp 1
		.amdhsa_ieee_mode 1
		.amdhsa_fp16_overflow 0
		.amdhsa_workgroup_processor_mode 1
		.amdhsa_memory_ordered 1
		.amdhsa_forward_progress 0
		.amdhsa_shared_vgpr_count 0
		.amdhsa_exception_fp_ieee_invalid_op 0
		.amdhsa_exception_fp_denorm_src 0
		.amdhsa_exception_fp_ieee_div_zero 0
		.amdhsa_exception_fp_ieee_overflow 0
		.amdhsa_exception_fp_ieee_underflow 0
		.amdhsa_exception_fp_ieee_inexact 0
		.amdhsa_exception_int_div_zero 0
	.end_amdhsa_kernel
	.section	.text._ZN5aiter37dynamic_per_token_scaled_quant_kernelItDB8_Li8EEEvPT0_PfPT_PKfiPKii,"axG",@progbits,_ZN5aiter37dynamic_per_token_scaled_quant_kernelItDB8_Li8EEEvPT0_PfPT_PKfiPKii,comdat
.Lfunc_end35:
	.size	_ZN5aiter37dynamic_per_token_scaled_quant_kernelItDB8_Li8EEEvPT0_PfPT_PKfiPKii, .Lfunc_end35-_ZN5aiter37dynamic_per_token_scaled_quant_kernelItDB8_Li8EEEvPT0_PfPT_PKfiPKii
                                        ; -- End function
	.section	.AMDGPU.csdata,"",@progbits
; Kernel info:
; codeLenInByte = 1316
; NumSgprs: 18
; NumVgprs: 11
; ScratchSize: 0
; MemoryBound: 0
; FloatMode: 240
; IeeeMode: 1
; LDSByteSize: 32 bytes/workgroup (compile time only)
; SGPRBlocks: 2
; VGPRBlocks: 1
; NumSGPRsForWavesPerEU: 18
; NumVGPRsForWavesPerEU: 11
; Occupancy: 16
; WaveLimiterHint : 0
; COMPUTE_PGM_RSRC2:SCRATCH_EN: 0
; COMPUTE_PGM_RSRC2:USER_SGPR: 15
; COMPUTE_PGM_RSRC2:TRAP_HANDLER: 0
; COMPUTE_PGM_RSRC2:TGID_X_EN: 1
; COMPUTE_PGM_RSRC2:TGID_Y_EN: 0
; COMPUTE_PGM_RSRC2:TGID_Z_EN: 0
; COMPUTE_PGM_RSRC2:TIDIG_COMP_CNT: 0
	.section	.text._ZN5aiter37dynamic_per_token_scaled_quant_kernelIDF16_DB8_Li16EEEvPT0_PfPT_PKfiPKii,"axG",@progbits,_ZN5aiter37dynamic_per_token_scaled_quant_kernelIDF16_DB8_Li16EEEvPT0_PfPT_PKfiPKii,comdat
	.protected	_ZN5aiter37dynamic_per_token_scaled_quant_kernelIDF16_DB8_Li16EEEvPT0_PfPT_PKfiPKii ; -- Begin function _ZN5aiter37dynamic_per_token_scaled_quant_kernelIDF16_DB8_Li16EEEvPT0_PfPT_PKfiPKii
	.globl	_ZN5aiter37dynamic_per_token_scaled_quant_kernelIDF16_DB8_Li16EEEvPT0_PfPT_PKfiPKii
	.p2align	8
	.type	_ZN5aiter37dynamic_per_token_scaled_quant_kernelIDF16_DB8_Li16EEEvPT0_PfPT_PKfiPKii,@function
_ZN5aiter37dynamic_per_token_scaled_quant_kernelIDF16_DB8_Li16EEEvPT0_PfPT_PKfiPKii: ; @_ZN5aiter37dynamic_per_token_scaled_quant_kernelIDF16_DB8_Li16EEEvPT0_PfPT_PKfiPKii
; %bb.0:
	s_load_b64 s[2:3], s[0:1], 0x28
	s_mov_b32 s6, s15
	s_waitcnt lgkmcnt(0)
	s_cmp_eq_u64 s[2:3], 0
	s_cselect_b32 s4, -1, 0
	s_delay_alu instid0(SALU_CYCLE_1)
	s_and_b32 vcc_lo, exec_lo, s4
	s_cbranch_vccnz .LBB36_2
; %bb.1:
	s_load_b32 s4, s[0:1], 0x30
	s_load_b32 s2, s[2:3], 0x0
	s_waitcnt lgkmcnt(0)
	s_mul_i32 s2, s2, s4
	s_delay_alu instid0(SALU_CYCLE_1)
	s_cmp_lt_i32 s6, s2
	s_cselect_b32 s4, -1, 0
.LBB36_2:
	s_delay_alu instid0(SALU_CYCLE_1)
	s_and_not1_b32 vcc_lo, exec_lo, s4
	s_cbranch_vccnz .LBB36_11
; %bb.3:
	s_load_b32 s8, s[0:1], 0x20
	v_mov_b32_e32 v9, 0
                                        ; implicit-def: $vgpr5
                                        ; implicit-def: $vgpr1
	s_waitcnt lgkmcnt(0)
	s_add_i32 s2, s8, 15
	s_mul_i32 s4, s6, s8
	s_ashr_i32 s3, s2, 31
	s_delay_alu instid0(SALU_CYCLE_1) | instskip(NEXT) | instid1(SALU_CYCLE_1)
	s_lshr_b32 s3, s3, 28
	s_add_i32 s2, s2, s3
	s_delay_alu instid0(SALU_CYCLE_1) | instskip(NEXT) | instid1(SALU_CYCLE_1)
	s_ashr_i32 s2, s2, 4
	v_cmp_gt_u32_e32 vcc_lo, s2, v0
	s_and_saveexec_b32 s2, vcc_lo
	s_cbranch_execz .LBB36_5
; %bb.4:
	s_load_b64 s[10:11], s[0:1], 0x10
	s_mov_b32 s5, 0
	v_lshlrev_b32_e32 v1, 5, v0
	s_lshl_b64 s[12:13], s[4:5], 1
	s_mov_b32 s15, -1
	s_waitcnt lgkmcnt(0)
	s_add_u32 s12, s10, s12
	s_addc_u32 s3, s11, s13
	s_add_i32 s5, s8, 1
	s_and_b32 s13, s3, 0xffff
	s_lshr_b32 s7, s5, 31
	s_delay_alu instid0(SALU_CYCLE_1) | instskip(NEXT) | instid1(SALU_CYCLE_1)
	s_add_i32 s5, s5, s7
	s_lshl_b32 s5, s5, 1
	s_delay_alu instid0(SALU_CYCLE_1)
	s_and_b32 s14, s5, -4
	s_clause 0x1
	buffer_load_b128 v[5:8], v1, s[12:15], 0 offen
	buffer_load_b128 v[1:4], v1, s[12:15], 16 offen
	s_waitcnt vmcnt(1)
	v_lshrrev_b32_e32 v9, 16, v5
	v_cvt_f32_f16_e64 v10, |v5|
	v_lshrrev_b32_e32 v11, 16, v6
	v_cvt_f32_f16_e64 v12, |v6|
	v_lshrrev_b32_e32 v13, 16, v7
	v_cvt_f32_f16_e64 v9, |v9|
	v_lshrrev_b32_e32 v14, 16, v8
	v_cvt_f32_f16_e64 v11, |v11|
	s_delay_alu instid0(VALU_DEP_4) | instskip(NEXT) | instid1(VALU_DEP_4)
	v_cvt_f32_f16_e64 v13, |v13|
	v_max3_f32 v9, v10, 0, v9
	v_cvt_f32_f16_e64 v10, |v7|
	v_cvt_f32_f16_e64 v14, |v14|
	s_delay_alu instid0(VALU_DEP_3) | instskip(SKIP_3) | instid1(VALU_DEP_3)
	v_max3_f32 v9, v9, v12, v11
	v_cvt_f32_f16_e64 v11, |v8|
	s_waitcnt vmcnt(0)
	v_lshrrev_b32_e32 v12, 16, v1
	v_max3_f32 v9, v9, v10, v13
	v_cvt_f32_f16_e64 v10, |v1|
	v_lshrrev_b32_e32 v13, 16, v2
	s_delay_alu instid0(VALU_DEP_4) | instskip(NEXT) | instid1(VALU_DEP_4)
	v_cvt_f32_f16_e64 v12, |v12|
	v_max3_f32 v9, v9, v11, v14
	v_cvt_f32_f16_e64 v11, |v2|
	v_lshrrev_b32_e32 v14, 16, v3
	v_cvt_f32_f16_e64 v13, |v13|
	s_delay_alu instid0(VALU_DEP_4) | instskip(SKIP_1) | instid1(VALU_DEP_4)
	v_max3_f32 v9, v9, v10, v12
	v_cvt_f32_f16_e64 v10, |v3|
	v_cvt_f32_f16_e64 v12, |v14|
	s_delay_alu instid0(VALU_DEP_3) | instskip(SKIP_2) | instid1(VALU_DEP_3)
	v_max3_f32 v9, v9, v11, v13
	v_lshrrev_b32_e32 v11, 16, v4
	v_cvt_f32_f16_e64 v13, |v4|
	v_max3_f32 v9, v9, v10, v12
	s_delay_alu instid0(VALU_DEP_3) | instskip(NEXT) | instid1(VALU_DEP_1)
	v_cvt_f32_f16_e64 v10, |v11|
	v_max3_f32 v9, v9, v13, v10
.LBB36_5:
	s_or_b32 exec_lo, exec_lo, s2
	s_delay_alu instid0(VALU_DEP_1) | instskip(SKIP_2) | instid1(VALU_DEP_2)
	v_mov_b32_dpp v10, v9 quad_perm:[1,0,3,2] row_mask:0xf bank_mask:0xf
	v_and_b32_e32 v11, 31, v0
	s_mov_b32 s5, exec_lo
	v_cmp_gt_f32_e64 s2, v9, v10
	s_delay_alu instid0(VALU_DEP_1) | instskip(NEXT) | instid1(VALU_DEP_1)
	v_cndmask_b32_e64 v9, v10, v9, s2
	v_mov_b32_dpp v10, v9 quad_perm:[2,3,0,1] row_mask:0xf bank_mask:0xf
	s_delay_alu instid0(VALU_DEP_1) | instskip(NEXT) | instid1(VALU_DEP_1)
	v_cmp_gt_f32_e64 s2, v9, v10
	v_cndmask_b32_e64 v9, v10, v9, s2
	s_delay_alu instid0(VALU_DEP_1) | instskip(NEXT) | instid1(VALU_DEP_1)
	v_mov_b32_dpp v10, v9 row_xmask:7 row_mask:0xf bank_mask:0xf
	v_cmp_gt_f32_e64 s2, v9, v10
	s_delay_alu instid0(VALU_DEP_1) | instskip(NEXT) | instid1(VALU_DEP_1)
	v_cndmask_b32_e64 v9, v10, v9, s2
	v_mov_b32_dpp v10, v9 row_xmask:15 row_mask:0xf bank_mask:0xf
	s_delay_alu instid0(VALU_DEP_1)
	v_cmp_gt_f32_e64 s2, v9, v10
	v_cmpx_eq_u32_e32 31, v11
	s_cbranch_execz .LBB36_7
; %bb.6:
	s_delay_alu instid0(VALU_DEP_2) | instskip(SKIP_2) | instid1(VALU_DEP_2)
	v_cndmask_b32_e64 v9, v10, v9, s2
	s_mov_b32 s2, 0x76543210
	v_lshrrev_b32_e32 v10, 3, v0
	v_permlanex16_b32 v11, v9, s2, 0xfedcba98 op_sel:[1,1]
	s_delay_alu instid0(VALU_DEP_2) | instskip(NEXT) | instid1(VALU_DEP_2)
	v_and_b32_e32 v10, 0x7c, v10
	v_cmp_gt_f32_e64 s2, v9, v11
	s_delay_alu instid0(VALU_DEP_1)
	v_cndmask_b32_e64 v9, v11, v9, s2
	ds_store_b32 v10, v9
.LBB36_7:
	s_or_b32 exec_lo, exec_lo, s5
	v_and_b32_e32 v9, 7, v0
	s_waitcnt lgkmcnt(0)
	s_barrier
	buffer_gl0_inv
	s_mov_b32 s3, exec_lo
	v_lshlrev_b32_e32 v9, 2, v9
	ds_load_b32 v9, v9
	s_waitcnt lgkmcnt(0)
	v_mov_b32_dpp v10, v9 quad_perm:[1,0,3,2] row_mask:0xf bank_mask:0xf
	s_delay_alu instid0(VALU_DEP_1) | instskip(NEXT) | instid1(VALU_DEP_1)
	v_cmp_gt_f32_e64 s2, v9, v10
	v_cndmask_b32_e64 v9, v10, v9, s2
	s_delay_alu instid0(VALU_DEP_1) | instskip(NEXT) | instid1(VALU_DEP_1)
	v_mov_b32_dpp v10, v9 quad_perm:[2,3,0,1] row_mask:0xf bank_mask:0xf
	v_cmp_gt_f32_e64 s2, v9, v10
	s_delay_alu instid0(VALU_DEP_1) | instskip(NEXT) | instid1(VALU_DEP_1)
	v_cndmask_b32_e64 v9, v10, v9, s2
	v_mov_b32_dpp v10, v9 row_xmask:7 row_mask:0xf bank_mask:0xf
	s_delay_alu instid0(VALU_DEP_1) | instskip(NEXT) | instid1(VALU_DEP_1)
	v_cmp_gt_f32_e64 s2, v9, v10
	v_cndmask_b32_e64 v9, v10, v9, s2
	s_delay_alu instid0(VALU_DEP_1)
	v_mul_f32_e32 v9, 0x3b124925, v9
	v_cmpx_eq_u32_e32 0, v0
	s_cbranch_execz .LBB36_9
; %bb.8:
	s_load_b64 s[10:11], s[0:1], 0x8
	s_ashr_i32 s7, s6, 31
	v_mov_b32_e32 v10, 0
	s_lshl_b64 s[6:7], s[6:7], 2
	s_waitcnt lgkmcnt(0)
	s_add_u32 s6, s10, s6
	s_addc_u32 s7, s11, s7
	global_store_b32 v10, v9, s[6:7]
.LBB36_9:
	s_or_b32 exec_lo, exec_lo, s3
	s_and_saveexec_b32 s2, vcc_lo
	s_cbranch_execz .LBB36_11
; %bb.10:
	s_load_b64 s[0:1], s[0:1], 0x0
	v_rcp_f32_e32 v9, v9
	v_lshlrev_b32_e32 v10, 4, v0
	v_cvt_f32_f16_e32 v0, v5
	v_lshrrev_b32_e32 v5, 16, v5
	v_cvt_f32_f16_e32 v11, v6
	v_lshrrev_b32_e32 v6, 16, v6
	;; [unrolled: 2-line block ×3, first 2 shown]
	v_cvt_f32_f16_e32 v5, v5
	v_cvt_f32_f16_e32 v12, v7
	v_lshrrev_b32_e32 v7, 16, v7
	v_cvt_f32_f16_e32 v6, v6
	v_cvt_f32_f16_e32 v13, v8
	v_lshrrev_b32_e32 v8, 16, v8
	v_cvt_f32_f16_e32 v15, v2
	v_lshrrev_b32_e32 v2, 16, v2
	v_lshrrev_b32_e32 v16, 16, v3
	v_cvt_f32_f16_e32 v17, v1
	v_mul_f32_e32 v1, v9, v5
	v_dual_mul_f32 v0, v9, v0 :: v_dual_mov_b32 v5, 0xc3e00000
	v_lshrrev_b32_e32 v19, 16, v4
	v_cvt_f32_f16_e32 v7, v7
	v_dual_mov_b32 v18, 0x43e00000 :: v_dual_mul_f32 v11, v9, v11
	v_mul_f32_e32 v6, v9, v6
	;;#ASMSTART
	v_med3_f32 v0, v0, v5, v18
v_med3_f32 v1, v1, v5, v18
v_cvt_pk_fp8_f32 v20, v0, v1
	;;#ASMEND
	v_cvt_f32_f16_e32 v8, v8
	;;#ASMSTART
	v_med3_f32 v11, v11, v5, v18
v_med3_f32 v6, v6, v5, v18
v_cvt_pk_fp8_f32 v0, v11, v6
	;;#ASMEND
	v_perm_b32 v1, v0, v20, 0x5040100
	v_cvt_f32_f16_e32 v2, v2
	v_cvt_f32_f16_e32 v3, v3
	;; [unrolled: 1-line block ×3, first 2 shown]
	v_mul_f32_e32 v6, v9, v12
	v_cvt_f32_f16_e32 v4, v4
	v_cvt_f32_f16_e32 v12, v19
	v_mul_f32_e32 v7, v9, v7
	v_mul_f32_e32 v11, v9, v13
	;; [unrolled: 1-line block ×3, first 2 shown]
	v_perm_b32 v0, v1, v0, 0x1060504
	;;#ASMSTART
	v_med3_f32 v6, v6, v5, v18
v_med3_f32 v7, v7, v5, v18
v_cvt_pk_fp8_f32 v1, v6, v7
	;;#ASMEND
	s_waitcnt lgkmcnt(0)
	s_add_u32 s0, s0, s4
	;;#ASMSTART
	v_med3_f32 v11, v11, v5, v18
v_med3_f32 v8, v8, v5, v18
v_cvt_pk_fp8_f32 v6, v11, v8
	;;#ASMEND
	s_addc_u32 s1, s1, 0
	s_add_i32 s2, s8, 3
	v_perm_b32 v1, v1, v6, 0x1000504
	v_mul_f32_e32 v6, v9, v14
	v_mul_f32_e32 v7, v9, v17
	;; [unrolled: 1-line block ×8, first 2 shown]
	;;#ASMSTART
	v_med3_f32 v6, v6, v5, v18
v_med3_f32 v7, v7, v5, v18
v_cvt_pk_fp8_f32 v12, v6, v7
	;;#ASMEND
	s_ashr_i32 s3, s2, 31
	;;#ASMSTART
	v_med3_f32 v8, v8, v5, v18
v_med3_f32 v2, v2, v5, v18
v_cvt_pk_fp8_f32 v6, v8, v2
	;;#ASMEND
	v_perm_b32 v2, v12, v6, 0x1000504
	;;#ASMSTART
	v_med3_f32 v3, v3, v5, v18
v_med3_f32 v11, v11, v5, v18
v_cvt_pk_fp8_f32 v6, v3, v11
	;;#ASMEND
	s_lshr_b32 s3, s3, 30
	;;#ASMSTART
	v_med3_f32 v4, v4, v5, v18
v_med3_f32 v9, v9, v5, v18
v_cvt_pk_fp8_f32 v3, v4, v9
	;;#ASMEND
	v_perm_b32 v3, v6, v3, 0x1000504
	s_add_i32 s2, s2, s3
	s_and_b32 s1, s1, 0xffff
	s_and_b32 s2, s2, -4
	s_mov_b32 s3, -1
	buffer_store_b128 v[0:3], v10, s[0:3], 0 offen
	;;#ASMSTART
	s_nop 0
	;;#ASMEND
.LBB36_11:
	s_nop 0
	s_sendmsg sendmsg(MSG_DEALLOC_VGPRS)
	s_endpgm
	.section	.rodata,"a",@progbits
	.p2align	6, 0x0
	.amdhsa_kernel _ZN5aiter37dynamic_per_token_scaled_quant_kernelIDF16_DB8_Li16EEEvPT0_PfPT_PKfiPKii
		.amdhsa_group_segment_fixed_size 32
		.amdhsa_private_segment_fixed_size 0
		.amdhsa_kernarg_size 52
		.amdhsa_user_sgpr_count 15
		.amdhsa_user_sgpr_dispatch_ptr 0
		.amdhsa_user_sgpr_queue_ptr 0
		.amdhsa_user_sgpr_kernarg_segment_ptr 1
		.amdhsa_user_sgpr_dispatch_id 0
		.amdhsa_user_sgpr_private_segment_size 0
		.amdhsa_wavefront_size32 1
		.amdhsa_uses_dynamic_stack 0
		.amdhsa_enable_private_segment 0
		.amdhsa_system_sgpr_workgroup_id_x 1
		.amdhsa_system_sgpr_workgroup_id_y 0
		.amdhsa_system_sgpr_workgroup_id_z 0
		.amdhsa_system_sgpr_workgroup_info 0
		.amdhsa_system_vgpr_workitem_id 0
		.amdhsa_next_free_vgpr 21
		.amdhsa_next_free_sgpr 16
		.amdhsa_reserve_vcc 1
		.amdhsa_float_round_mode_32 0
		.amdhsa_float_round_mode_16_64 0
		.amdhsa_float_denorm_mode_32 3
		.amdhsa_float_denorm_mode_16_64 3
		.amdhsa_dx10_clamp 1
		.amdhsa_ieee_mode 1
		.amdhsa_fp16_overflow 0
		.amdhsa_workgroup_processor_mode 1
		.amdhsa_memory_ordered 1
		.amdhsa_forward_progress 0
		.amdhsa_shared_vgpr_count 0
		.amdhsa_exception_fp_ieee_invalid_op 0
		.amdhsa_exception_fp_denorm_src 0
		.amdhsa_exception_fp_ieee_div_zero 0
		.amdhsa_exception_fp_ieee_overflow 0
		.amdhsa_exception_fp_ieee_underflow 0
		.amdhsa_exception_fp_ieee_inexact 0
		.amdhsa_exception_int_div_zero 0
	.end_amdhsa_kernel
	.section	.text._ZN5aiter37dynamic_per_token_scaled_quant_kernelIDF16_DB8_Li16EEEvPT0_PfPT_PKfiPKii,"axG",@progbits,_ZN5aiter37dynamic_per_token_scaled_quant_kernelIDF16_DB8_Li16EEEvPT0_PfPT_PKfiPKii,comdat
.Lfunc_end36:
	.size	_ZN5aiter37dynamic_per_token_scaled_quant_kernelIDF16_DB8_Li16EEEvPT0_PfPT_PKfiPKii, .Lfunc_end36-_ZN5aiter37dynamic_per_token_scaled_quant_kernelIDF16_DB8_Li16EEEvPT0_PfPT_PKfiPKii
                                        ; -- End function
	.section	.AMDGPU.csdata,"",@progbits
; Kernel info:
; codeLenInByte = 1720
; NumSgprs: 18
; NumVgprs: 21
; ScratchSize: 0
; MemoryBound: 0
; FloatMode: 240
; IeeeMode: 1
; LDSByteSize: 32 bytes/workgroup (compile time only)
; SGPRBlocks: 2
; VGPRBlocks: 2
; NumSGPRsForWavesPerEU: 18
; NumVGPRsForWavesPerEU: 21
; Occupancy: 16
; WaveLimiterHint : 0
; COMPUTE_PGM_RSRC2:SCRATCH_EN: 0
; COMPUTE_PGM_RSRC2:USER_SGPR: 15
; COMPUTE_PGM_RSRC2:TRAP_HANDLER: 0
; COMPUTE_PGM_RSRC2:TGID_X_EN: 1
; COMPUTE_PGM_RSRC2:TGID_Y_EN: 0
; COMPUTE_PGM_RSRC2:TGID_Z_EN: 0
; COMPUTE_PGM_RSRC2:TIDIG_COMP_CNT: 0
	.section	.text._ZN5aiter37dynamic_per_token_scaled_quant_kernelItDB8_Li16EEEvPT0_PfPT_PKfiPKii,"axG",@progbits,_ZN5aiter37dynamic_per_token_scaled_quant_kernelItDB8_Li16EEEvPT0_PfPT_PKfiPKii,comdat
	.protected	_ZN5aiter37dynamic_per_token_scaled_quant_kernelItDB8_Li16EEEvPT0_PfPT_PKfiPKii ; -- Begin function _ZN5aiter37dynamic_per_token_scaled_quant_kernelItDB8_Li16EEEvPT0_PfPT_PKfiPKii
	.globl	_ZN5aiter37dynamic_per_token_scaled_quant_kernelItDB8_Li16EEEvPT0_PfPT_PKfiPKii
	.p2align	8
	.type	_ZN5aiter37dynamic_per_token_scaled_quant_kernelItDB8_Li16EEEvPT0_PfPT_PKfiPKii,@function
_ZN5aiter37dynamic_per_token_scaled_quant_kernelItDB8_Li16EEEvPT0_PfPT_PKfiPKii: ; @_ZN5aiter37dynamic_per_token_scaled_quant_kernelItDB8_Li16EEEvPT0_PfPT_PKfiPKii
; %bb.0:
	s_load_b64 s[2:3], s[0:1], 0x28
	s_mov_b32 s6, s15
	s_waitcnt lgkmcnt(0)
	s_cmp_eq_u64 s[2:3], 0
	s_cselect_b32 s4, -1, 0
	s_delay_alu instid0(SALU_CYCLE_1)
	s_and_b32 vcc_lo, exec_lo, s4
	s_cbranch_vccnz .LBB37_2
; %bb.1:
	s_load_b32 s4, s[0:1], 0x30
	s_load_b32 s2, s[2:3], 0x0
	s_waitcnt lgkmcnt(0)
	s_mul_i32 s2, s2, s4
	s_delay_alu instid0(SALU_CYCLE_1)
	s_cmp_lt_i32 s6, s2
	s_cselect_b32 s4, -1, 0
.LBB37_2:
	s_delay_alu instid0(SALU_CYCLE_1)
	s_and_not1_b32 vcc_lo, exec_lo, s4
	s_cbranch_vccnz .LBB37_11
; %bb.3:
	s_load_b32 s8, s[0:1], 0x20
	v_mov_b32_e32 v9, 0
                                        ; implicit-def: $vgpr5
                                        ; implicit-def: $vgpr1
	s_waitcnt lgkmcnt(0)
	s_add_i32 s2, s8, 15
	s_mul_i32 s4, s6, s8
	s_ashr_i32 s3, s2, 31
	s_delay_alu instid0(SALU_CYCLE_1) | instskip(NEXT) | instid1(SALU_CYCLE_1)
	s_lshr_b32 s3, s3, 28
	s_add_i32 s2, s2, s3
	s_delay_alu instid0(SALU_CYCLE_1) | instskip(NEXT) | instid1(SALU_CYCLE_1)
	s_ashr_i32 s2, s2, 4
	v_cmp_gt_u32_e32 vcc_lo, s2, v0
	s_and_saveexec_b32 s2, vcc_lo
	s_cbranch_execz .LBB37_5
; %bb.4:
	s_load_b64 s[10:11], s[0:1], 0x10
	s_mov_b32 s5, 0
	v_lshlrev_b32_e32 v1, 5, v0
	s_lshl_b64 s[12:13], s[4:5], 1
	s_mov_b32 s15, -1
	s_waitcnt lgkmcnt(0)
	s_add_u32 s12, s10, s12
	s_addc_u32 s3, s11, s13
	s_add_i32 s5, s8, 1
	s_and_b32 s13, s3, 0xffff
	s_lshr_b32 s7, s5, 31
	s_delay_alu instid0(SALU_CYCLE_1) | instskip(NEXT) | instid1(SALU_CYCLE_1)
	s_add_i32 s5, s5, s7
	s_lshl_b32 s5, s5, 1
	s_delay_alu instid0(SALU_CYCLE_1)
	s_and_b32 s14, s5, -4
	s_clause 0x1
	buffer_load_b128 v[5:8], v1, s[12:15], 0 offen
	buffer_load_b128 v[1:4], v1, s[12:15], 16 offen
	s_waitcnt vmcnt(1)
	v_and_b32_e32 v9, 0xffff, v5
	v_lshrrev_b32_e32 v10, 16, v5
	v_and_b32_e32 v11, 0xffff, v6
	v_lshrrev_b32_e32 v12, 16, v6
	v_and_b32_e32 v13, 0xffff, v7
	v_cvt_f32_u32_e32 v9, v9
	v_cvt_f32_u32_e32 v10, v10
	v_lshrrev_b32_e32 v14, 16, v7
	v_cvt_f32_u32_e32 v11, v11
	v_cvt_f32_u32_e32 v12, v12
	v_lshrrev_b32_e32 v15, 16, v8
	v_max3_f32 v9, v9, 0, v10
	v_and_b32_e32 v10, 0xffff, v8
	v_cvt_f32_u32_e32 v13, v13
	v_cvt_f32_u32_e32 v14, v14
	;; [unrolled: 1-line block ×3, first 2 shown]
	v_max3_f32 v9, v9, v11, v12
	s_waitcnt vmcnt(0)
	v_and_b32_e32 v11, 0xffff, v1
	v_lshrrev_b32_e32 v12, 16, v1
	v_cvt_f32_u32_e32 v10, v10
	v_max3_f32 v9, v9, v13, v14
	v_and_b32_e32 v13, 0xffff, v2
	v_lshrrev_b32_e32 v14, 16, v2
	v_cvt_f32_u32_e32 v11, v11
	v_cvt_f32_u32_e32 v12, v12
	v_max3_f32 v9, v9, v10, v15
	v_and_b32_e32 v10, 0xffff, v3
	v_lshrrev_b32_e32 v15, 16, v3
	v_cvt_f32_u32_e32 v13, v13
	v_cvt_f32_u32_e32 v14, v14
	v_max3_f32 v9, v9, v11, v12
	v_and_b32_e32 v11, 0xffff, v4
	v_cvt_f32_u32_e32 v10, v10
	v_cvt_f32_u32_e32 v12, v15
	s_delay_alu instid0(VALU_DEP_4) | instskip(SKIP_2) | instid1(VALU_DEP_3)
	v_max3_f32 v9, v9, v13, v14
	v_lshrrev_b32_e32 v13, 16, v4
	v_cvt_f32_u32_e32 v11, v11
	v_max3_f32 v9, v9, v10, v12
	s_delay_alu instid0(VALU_DEP_3) | instskip(NEXT) | instid1(VALU_DEP_1)
	v_cvt_f32_u32_e32 v10, v13
	v_max3_f32 v9, v9, v11, v10
.LBB37_5:
	s_or_b32 exec_lo, exec_lo, s2
	s_delay_alu instid0(VALU_DEP_1) | instskip(SKIP_2) | instid1(VALU_DEP_2)
	v_mov_b32_dpp v10, v9 quad_perm:[1,0,3,2] row_mask:0xf bank_mask:0xf
	v_and_b32_e32 v11, 31, v0
	s_mov_b32 s5, exec_lo
	v_cmp_gt_f32_e64 s2, v9, v10
	s_delay_alu instid0(VALU_DEP_1) | instskip(NEXT) | instid1(VALU_DEP_1)
	v_cndmask_b32_e64 v9, v10, v9, s2
	v_mov_b32_dpp v10, v9 quad_perm:[2,3,0,1] row_mask:0xf bank_mask:0xf
	s_delay_alu instid0(VALU_DEP_1) | instskip(NEXT) | instid1(VALU_DEP_1)
	v_cmp_gt_f32_e64 s2, v9, v10
	v_cndmask_b32_e64 v9, v10, v9, s2
	s_delay_alu instid0(VALU_DEP_1) | instskip(NEXT) | instid1(VALU_DEP_1)
	v_mov_b32_dpp v10, v9 row_xmask:7 row_mask:0xf bank_mask:0xf
	v_cmp_gt_f32_e64 s2, v9, v10
	s_delay_alu instid0(VALU_DEP_1) | instskip(NEXT) | instid1(VALU_DEP_1)
	v_cndmask_b32_e64 v9, v10, v9, s2
	v_mov_b32_dpp v10, v9 row_xmask:15 row_mask:0xf bank_mask:0xf
	s_delay_alu instid0(VALU_DEP_1)
	v_cmp_gt_f32_e64 s2, v9, v10
	v_cmpx_eq_u32_e32 31, v11
	s_cbranch_execz .LBB37_7
; %bb.6:
	s_delay_alu instid0(VALU_DEP_2) | instskip(SKIP_2) | instid1(VALU_DEP_2)
	v_cndmask_b32_e64 v9, v10, v9, s2
	s_mov_b32 s2, 0x76543210
	v_lshrrev_b32_e32 v10, 3, v0
	v_permlanex16_b32 v11, v9, s2, 0xfedcba98 op_sel:[1,1]
	s_delay_alu instid0(VALU_DEP_2) | instskip(NEXT) | instid1(VALU_DEP_2)
	v_and_b32_e32 v10, 0x7c, v10
	v_cmp_gt_f32_e64 s2, v9, v11
	s_delay_alu instid0(VALU_DEP_1)
	v_cndmask_b32_e64 v9, v11, v9, s2
	ds_store_b32 v10, v9
.LBB37_7:
	s_or_b32 exec_lo, exec_lo, s5
	v_and_b32_e32 v9, 7, v0
	s_waitcnt lgkmcnt(0)
	s_barrier
	buffer_gl0_inv
	s_mov_b32 s3, exec_lo
	v_lshlrev_b32_e32 v9, 2, v9
	ds_load_b32 v9, v9
	s_waitcnt lgkmcnt(0)
	v_mov_b32_dpp v10, v9 quad_perm:[1,0,3,2] row_mask:0xf bank_mask:0xf
	s_delay_alu instid0(VALU_DEP_1) | instskip(NEXT) | instid1(VALU_DEP_1)
	v_cmp_gt_f32_e64 s2, v9, v10
	v_cndmask_b32_e64 v9, v10, v9, s2
	s_delay_alu instid0(VALU_DEP_1) | instskip(NEXT) | instid1(VALU_DEP_1)
	v_mov_b32_dpp v10, v9 quad_perm:[2,3,0,1] row_mask:0xf bank_mask:0xf
	v_cmp_gt_f32_e64 s2, v9, v10
	s_delay_alu instid0(VALU_DEP_1) | instskip(NEXT) | instid1(VALU_DEP_1)
	v_cndmask_b32_e64 v9, v10, v9, s2
	v_mov_b32_dpp v10, v9 row_xmask:7 row_mask:0xf bank_mask:0xf
	s_delay_alu instid0(VALU_DEP_1) | instskip(NEXT) | instid1(VALU_DEP_1)
	v_cmp_gt_f32_e64 s2, v9, v10
	v_cndmask_b32_e64 v9, v10, v9, s2
	s_delay_alu instid0(VALU_DEP_1)
	v_mul_f32_e32 v9, 0x3b124925, v9
	v_cmpx_eq_u32_e32 0, v0
	s_cbranch_execz .LBB37_9
; %bb.8:
	s_load_b64 s[10:11], s[0:1], 0x8
	s_ashr_i32 s7, s6, 31
	v_mov_b32_e32 v10, 0
	s_lshl_b64 s[6:7], s[6:7], 2
	s_waitcnt lgkmcnt(0)
	s_add_u32 s6, s10, s6
	s_addc_u32 s7, s11, s7
	global_store_b32 v10, v9, s[6:7]
.LBB37_9:
	s_or_b32 exec_lo, exec_lo, s3
	s_and_saveexec_b32 s2, vcc_lo
	s_cbranch_execz .LBB37_11
; %bb.10:
	v_rcp_f32_e32 v9, v9
	v_and_b32_e32 v11, 0xffff, v6
	v_lshrrev_b32_e32 v6, 16, v6
	v_lshlrev_b32_e32 v10, 4, v0
	s_load_b64 s[0:1], s[0:1], 0x0
	v_mov_b32_e32 v18, 0x43e00000
	v_cvt_f32_u32_e32 v11, v11
	v_cvt_f32_u32_e32 v6, v6
	v_and_b32_e32 v13, 0xffff, v8
	v_and_b32_e32 v0, 0xffff, v5
	v_lshrrev_b32_e32 v5, 16, v5
	v_mul_f32_e32 v11, v9, v11
	v_mul_f32_e32 v6, v9, v6
	v_cvt_f32_u32_e32 v13, v13
	v_and_b32_e32 v12, 0xffff, v7
	v_lshrrev_b32_e32 v7, 16, v7
	v_lshrrev_b32_e32 v8, 16, v8
	v_cvt_f32_u32_e32 v0, v0
	v_cvt_f32_u32_e32 v5, v5
	s_delay_alu instid0(VALU_DEP_4)
	v_cvt_f32_u32_e32 v7, v7
	v_and_b32_e32 v14, 0xffff, v1
	v_lshrrev_b32_e32 v1, 16, v1
	v_cvt_f32_u32_e32 v8, v8
	v_mul_f32_e32 v0, v9, v0
	v_mul_f32_e32 v7, v9, v7
	v_cvt_f32_u32_e32 v14, v14
	v_and_b32_e32 v16, 0xffff, v3
	v_cvt_f32_u32_e32 v17, v1
	v_lshrrev_b32_e32 v1, 16, v3
	v_mul_f32_e32 v3, v9, v5
	v_dual_mov_b32 v5, 0xc3e00000 :: v_dual_mul_f32 v8, v9, v8
	;;#ASMSTART
	v_med3_f32 v0, v0, v5, v18
v_med3_f32 v3, v3, v5, v18
v_cvt_pk_fp8_f32 v20, v0, v3
	;;#ASMEND
	;;#ASMSTART
	v_med3_f32 v11, v11, v5, v18
v_med3_f32 v6, v6, v5, v18
v_cvt_pk_fp8_f32 v0, v11, v6
	;;#ASMEND
	v_mul_f32_e32 v11, v9, v13
	v_cvt_f32_u32_e32 v12, v12
	v_and_b32_e32 v15, 0xffff, v2
	v_cvt_f32_u32_e32 v19, v1
	v_and_b32_e32 v1, 0xffff, v4
	v_perm_b32 v3, v0, v20, 0x5040100
	v_mul_f32_e32 v6, v9, v12
	v_cvt_f32_u32_e32 v15, v15
	v_lshrrev_b32_e32 v2, 16, v2
	v_lshrrev_b32_e32 v4, 16, v4
	v_cvt_f32_u32_e32 v12, v1
	;;#ASMSTART
	v_med3_f32 v6, v6, v5, v18
v_med3_f32 v7, v7, v5, v18
v_cvt_pk_fp8_f32 v1, v6, v7
	;;#ASMEND
	v_mul_f32_e32 v6, v9, v17
	v_perm_b32 v0, v3, v0, 0x1060504
	v_mul_f32_e32 v7, v9, v15
	;;#ASMSTART
	v_med3_f32 v11, v11, v5, v18
v_med3_f32 v8, v8, v5, v18
v_cvt_pk_fp8_f32 v3, v11, v8
	;;#ASMEND
	v_cvt_f32_u32_e32 v2, v2
	v_cvt_f32_u32_e32 v4, v4
	v_perm_b32 v1, v1, v3, 0x1000504
	v_mul_f32_e32 v3, v9, v14
	v_cvt_f32_u32_e32 v16, v16
	s_waitcnt lgkmcnt(0)
	s_add_u32 s0, s0, s4
	s_addc_u32 s1, s1, 0
	s_add_i32 s2, s8, 3
	v_mul_f32_e32 v2, v9, v2
	s_ashr_i32 s3, s2, 31
	v_mul_f32_e32 v8, v9, v16
	v_mul_f32_e32 v11, v9, v19
	;; [unrolled: 1-line block ×4, first 2 shown]
	;;#ASMSTART
	v_med3_f32 v3, v3, v5, v18
v_med3_f32 v6, v6, v5, v18
v_cvt_pk_fp8_f32 v9, v3, v6
	;;#ASMEND
	;;#ASMSTART
	v_med3_f32 v7, v7, v5, v18
v_med3_f32 v2, v2, v5, v18
v_cvt_pk_fp8_f32 v3, v7, v2
	;;#ASMEND
	s_lshr_b32 s3, s3, 30
	v_perm_b32 v2, v9, v3, 0x1000504
	;;#ASMSTART
	v_med3_f32 v8, v8, v5, v18
v_med3_f32 v11, v11, v5, v18
v_cvt_pk_fp8_f32 v3, v8, v11
	;;#ASMEND
	;;#ASMSTART
	v_med3_f32 v12, v12, v5, v18
v_med3_f32 v4, v4, v5, v18
v_cvt_pk_fp8_f32 v5, v12, v4
	;;#ASMEND
	v_perm_b32 v3, v3, v5, 0x1000504
	s_add_i32 s2, s2, s3
	s_and_b32 s1, s1, 0xffff
	s_and_b32 s2, s2, -4
	s_mov_b32 s3, -1
	buffer_store_b128 v[0:3], v10, s[0:3], 0 offen
	;;#ASMSTART
	s_nop 0
	;;#ASMEND
.LBB37_11:
	s_nop 0
	s_sendmsg sendmsg(MSG_DEALLOC_VGPRS)
	s_endpgm
	.section	.rodata,"a",@progbits
	.p2align	6, 0x0
	.amdhsa_kernel _ZN5aiter37dynamic_per_token_scaled_quant_kernelItDB8_Li16EEEvPT0_PfPT_PKfiPKii
		.amdhsa_group_segment_fixed_size 32
		.amdhsa_private_segment_fixed_size 0
		.amdhsa_kernarg_size 52
		.amdhsa_user_sgpr_count 15
		.amdhsa_user_sgpr_dispatch_ptr 0
		.amdhsa_user_sgpr_queue_ptr 0
		.amdhsa_user_sgpr_kernarg_segment_ptr 1
		.amdhsa_user_sgpr_dispatch_id 0
		.amdhsa_user_sgpr_private_segment_size 0
		.amdhsa_wavefront_size32 1
		.amdhsa_uses_dynamic_stack 0
		.amdhsa_enable_private_segment 0
		.amdhsa_system_sgpr_workgroup_id_x 1
		.amdhsa_system_sgpr_workgroup_id_y 0
		.amdhsa_system_sgpr_workgroup_id_z 0
		.amdhsa_system_sgpr_workgroup_info 0
		.amdhsa_system_vgpr_workitem_id 0
		.amdhsa_next_free_vgpr 21
		.amdhsa_next_free_sgpr 16
		.amdhsa_reserve_vcc 1
		.amdhsa_float_round_mode_32 0
		.amdhsa_float_round_mode_16_64 0
		.amdhsa_float_denorm_mode_32 3
		.amdhsa_float_denorm_mode_16_64 3
		.amdhsa_dx10_clamp 1
		.amdhsa_ieee_mode 1
		.amdhsa_fp16_overflow 0
		.amdhsa_workgroup_processor_mode 1
		.amdhsa_memory_ordered 1
		.amdhsa_forward_progress 0
		.amdhsa_shared_vgpr_count 0
		.amdhsa_exception_fp_ieee_invalid_op 0
		.amdhsa_exception_fp_denorm_src 0
		.amdhsa_exception_fp_ieee_div_zero 0
		.amdhsa_exception_fp_ieee_overflow 0
		.amdhsa_exception_fp_ieee_underflow 0
		.amdhsa_exception_fp_ieee_inexact 0
		.amdhsa_exception_int_div_zero 0
	.end_amdhsa_kernel
	.section	.text._ZN5aiter37dynamic_per_token_scaled_quant_kernelItDB8_Li16EEEvPT0_PfPT_PKfiPKii,"axG",@progbits,_ZN5aiter37dynamic_per_token_scaled_quant_kernelItDB8_Li16EEEvPT0_PfPT_PKfiPKii,comdat
.Lfunc_end37:
	.size	_ZN5aiter37dynamic_per_token_scaled_quant_kernelItDB8_Li16EEEvPT0_PfPT_PKfiPKii, .Lfunc_end37-_ZN5aiter37dynamic_per_token_scaled_quant_kernelItDB8_Li16EEEvPT0_PfPT_PKfiPKii
                                        ; -- End function
	.section	.AMDGPU.csdata,"",@progbits
; Kernel info:
; codeLenInByte = 1772
; NumSgprs: 18
; NumVgprs: 21
; ScratchSize: 0
; MemoryBound: 0
; FloatMode: 240
; IeeeMode: 1
; LDSByteSize: 32 bytes/workgroup (compile time only)
; SGPRBlocks: 2
; VGPRBlocks: 2
; NumSGPRsForWavesPerEU: 18
; NumVGPRsForWavesPerEU: 21
; Occupancy: 16
; WaveLimiterHint : 0
; COMPUTE_PGM_RSRC2:SCRATCH_EN: 0
; COMPUTE_PGM_RSRC2:USER_SGPR: 15
; COMPUTE_PGM_RSRC2:TRAP_HANDLER: 0
; COMPUTE_PGM_RSRC2:TGID_X_EN: 1
; COMPUTE_PGM_RSRC2:TGID_Y_EN: 0
; COMPUTE_PGM_RSRC2:TGID_Z_EN: 0
; COMPUTE_PGM_RSRC2:TIDIG_COMP_CNT: 0
	.section	.text._ZN5aiter37dynamic_per_token_scaled_quant_kernelIDF16_DB8_Li32EEEvPT0_PfPT_PKfiPKii,"axG",@progbits,_ZN5aiter37dynamic_per_token_scaled_quant_kernelIDF16_DB8_Li32EEEvPT0_PfPT_PKfiPKii,comdat
	.protected	_ZN5aiter37dynamic_per_token_scaled_quant_kernelIDF16_DB8_Li32EEEvPT0_PfPT_PKfiPKii ; -- Begin function _ZN5aiter37dynamic_per_token_scaled_quant_kernelIDF16_DB8_Li32EEEvPT0_PfPT_PKfiPKii
	.globl	_ZN5aiter37dynamic_per_token_scaled_quant_kernelIDF16_DB8_Li32EEEvPT0_PfPT_PKfiPKii
	.p2align	8
	.type	_ZN5aiter37dynamic_per_token_scaled_quant_kernelIDF16_DB8_Li32EEEvPT0_PfPT_PKfiPKii,@function
_ZN5aiter37dynamic_per_token_scaled_quant_kernelIDF16_DB8_Li32EEEvPT0_PfPT_PKfiPKii: ; @_ZN5aiter37dynamic_per_token_scaled_quant_kernelIDF16_DB8_Li32EEEvPT0_PfPT_PKfiPKii
; %bb.0:
	s_load_b64 s[2:3], s[0:1], 0x28
	s_mov_b32 s6, s15
	s_waitcnt lgkmcnt(0)
	s_cmp_eq_u64 s[2:3], 0
	s_cselect_b32 s4, -1, 0
	s_delay_alu instid0(SALU_CYCLE_1)
	s_and_b32 vcc_lo, exec_lo, s4
	s_cbranch_vccnz .LBB38_2
; %bb.1:
	s_load_b32 s4, s[0:1], 0x30
	s_load_b32 s2, s[2:3], 0x0
	s_waitcnt lgkmcnt(0)
	s_mul_i32 s2, s2, s4
	s_delay_alu instid0(SALU_CYCLE_1)
	s_cmp_lt_i32 s6, s2
	s_cselect_b32 s4, -1, 0
.LBB38_2:
	s_delay_alu instid0(SALU_CYCLE_1)
	s_and_not1_b32 vcc_lo, exec_lo, s4
	s_cbranch_vccnz .LBB38_11
; %bb.3:
	s_load_b32 s8, s[0:1], 0x20
	v_mov_b32_e32 v17, 0
                                        ; implicit-def: $vgpr13
                                        ; implicit-def: $vgpr9
                                        ; implicit-def: $vgpr5
                                        ; implicit-def: $vgpr1
	s_waitcnt lgkmcnt(0)
	s_add_i32 s2, s8, 31
	s_mul_i32 s4, s6, s8
	s_ashr_i32 s3, s2, 31
	s_delay_alu instid0(SALU_CYCLE_1) | instskip(NEXT) | instid1(SALU_CYCLE_1)
	s_lshr_b32 s3, s3, 27
	s_add_i32 s2, s2, s3
	s_delay_alu instid0(SALU_CYCLE_1) | instskip(NEXT) | instid1(SALU_CYCLE_1)
	s_ashr_i32 s2, s2, 5
	v_cmp_gt_u32_e32 vcc_lo, s2, v0
	s_and_saveexec_b32 s2, vcc_lo
	s_cbranch_execz .LBB38_5
; %bb.4:
	s_load_b64 s[10:11], s[0:1], 0x10
	s_mov_b32 s5, 0
	v_lshlrev_b32_e32 v1, 6, v0
	s_lshl_b64 s[12:13], s[4:5], 1
	s_mov_b32 s15, -1
	s_waitcnt lgkmcnt(0)
	s_add_u32 s12, s10, s12
	s_addc_u32 s3, s11, s13
	s_add_i32 s5, s8, 1
	s_and_b32 s13, s3, 0xffff
	s_lshr_b32 s7, s5, 31
	s_delay_alu instid0(SALU_CYCLE_1) | instskip(NEXT) | instid1(SALU_CYCLE_1)
	s_add_i32 s5, s5, s7
	s_lshl_b32 s5, s5, 1
	s_delay_alu instid0(SALU_CYCLE_1)
	s_and_b32 s14, s5, -4
	s_clause 0x3
	buffer_load_b128 v[13:16], v1, s[12:15], 0 offen
	buffer_load_b128 v[9:12], v1, s[12:15], 16 offen
	buffer_load_b128 v[5:8], v1, s[12:15], 32 offen
	buffer_load_b128 v[1:4], v1, s[12:15], 48 offen
	s_waitcnt vmcnt(3)
	v_lshrrev_b32_e32 v17, 16, v13
	v_cvt_f32_f16_e64 v18, |v13|
	v_lshrrev_b32_e32 v19, 16, v14
	v_cvt_f32_f16_e64 v20, |v14|
	;; [unrolled: 2-line block ×4, first 2 shown]
	s_delay_alu instid0(VALU_DEP_4) | instskip(NEXT) | instid1(VALU_DEP_4)
	v_cvt_f32_f16_e64 v21, |v21|
	v_max3_f32 v17, v18, 0, v17
	v_cvt_f32_f16_e64 v18, |v15|
	v_cvt_f32_f16_e64 v22, |v22|
	s_delay_alu instid0(VALU_DEP_3) | instskip(SKIP_3) | instid1(VALU_DEP_3)
	v_max3_f32 v17, v17, v20, v19
	v_cvt_f32_f16_e64 v19, |v16|
	s_waitcnt vmcnt(2)
	v_lshrrev_b32_e32 v20, 16, v9
	v_max3_f32 v17, v17, v18, v21
	v_cvt_f32_f16_e64 v18, |v9|
	v_lshrrev_b32_e32 v21, 16, v10
	s_delay_alu instid0(VALU_DEP_4) | instskip(NEXT) | instid1(VALU_DEP_4)
	v_cvt_f32_f16_e64 v20, |v20|
	v_max3_f32 v17, v17, v19, v22
	v_cvt_f32_f16_e64 v19, |v10|
	v_lshrrev_b32_e32 v22, 16, v11
	v_cvt_f32_f16_e64 v21, |v21|
	s_delay_alu instid0(VALU_DEP_4) | instskip(SKIP_3) | instid1(VALU_DEP_4)
	v_max3_f32 v17, v17, v18, v20
	v_cvt_f32_f16_e64 v18, |v11|
	v_lshrrev_b32_e32 v20, 16, v12
	v_cvt_f32_f16_e64 v22, |v22|
	v_max3_f32 v17, v17, v19, v21
	v_cvt_f32_f16_e64 v19, |v12|
	s_waitcnt vmcnt(1)
	v_lshrrev_b32_e32 v21, 16, v5
	v_cvt_f32_f16_e64 v20, |v20|
	v_max3_f32 v17, v17, v18, v22
	v_cvt_f32_f16_e64 v18, |v5|
	v_lshrrev_b32_e32 v22, 16, v6
	v_cvt_f32_f16_e64 v21, |v21|
	s_delay_alu instid0(VALU_DEP_4) | instskip(SKIP_3) | instid1(VALU_DEP_4)
	v_max3_f32 v17, v17, v19, v20
	v_cvt_f32_f16_e64 v19, |v6|
	v_lshrrev_b32_e32 v20, 16, v7
	v_cvt_f32_f16_e64 v22, |v22|
	v_max3_f32 v17, v17, v18, v21
	v_cvt_f32_f16_e64 v18, |v7|
	v_lshrrev_b32_e32 v21, 16, v8
	v_cvt_f32_f16_e64 v20, |v20|
	s_delay_alu instid0(VALU_DEP_4)
	v_max3_f32 v17, v17, v19, v22
	v_cvt_f32_f16_e64 v19, |v8|
	s_waitcnt vmcnt(0)
	v_lshrrev_b32_e32 v22, 16, v1
	v_cvt_f32_f16_e64 v21, |v21|
	v_max3_f32 v17, v17, v18, v20
	v_cvt_f32_f16_e64 v18, |v1|
	v_lshrrev_b32_e32 v20, 16, v2
	v_cvt_f32_f16_e64 v22, |v22|
	s_delay_alu instid0(VALU_DEP_4) | instskip(SKIP_3) | instid1(VALU_DEP_4)
	v_max3_f32 v17, v17, v19, v21
	v_cvt_f32_f16_e64 v19, |v2|
	v_lshrrev_b32_e32 v21, 16, v3
	v_cvt_f32_f16_e64 v20, |v20|
	v_max3_f32 v17, v17, v18, v22
	v_cvt_f32_f16_e64 v18, |v3|
	s_delay_alu instid0(VALU_DEP_4) | instskip(NEXT) | instid1(VALU_DEP_3)
	v_cvt_f32_f16_e64 v21, |v21|
	v_max3_f32 v17, v17, v19, v20
	v_lshrrev_b32_e32 v19, 16, v4
	v_cvt_f32_f16_e64 v20, |v4|
	s_delay_alu instid0(VALU_DEP_3) | instskip(NEXT) | instid1(VALU_DEP_3)
	v_max3_f32 v17, v17, v18, v21
	v_cvt_f32_f16_e64 v18, |v19|
	s_delay_alu instid0(VALU_DEP_1)
	v_max3_f32 v17, v17, v20, v18
.LBB38_5:
	s_or_b32 exec_lo, exec_lo, s2
	s_delay_alu instid0(VALU_DEP_1) | instskip(SKIP_2) | instid1(VALU_DEP_2)
	v_mov_b32_dpp v18, v17 quad_perm:[1,0,3,2] row_mask:0xf bank_mask:0xf
	v_and_b32_e32 v19, 31, v0
	s_mov_b32 s5, exec_lo
	v_cmp_gt_f32_e64 s2, v17, v18
	s_delay_alu instid0(VALU_DEP_1) | instskip(NEXT) | instid1(VALU_DEP_1)
	v_cndmask_b32_e64 v17, v18, v17, s2
	v_mov_b32_dpp v18, v17 quad_perm:[2,3,0,1] row_mask:0xf bank_mask:0xf
	s_delay_alu instid0(VALU_DEP_1) | instskip(NEXT) | instid1(VALU_DEP_1)
	v_cmp_gt_f32_e64 s2, v17, v18
	v_cndmask_b32_e64 v17, v18, v17, s2
	s_delay_alu instid0(VALU_DEP_1) | instskip(NEXT) | instid1(VALU_DEP_1)
	v_mov_b32_dpp v18, v17 row_xmask:7 row_mask:0xf bank_mask:0xf
	v_cmp_gt_f32_e64 s2, v17, v18
	s_delay_alu instid0(VALU_DEP_1) | instskip(NEXT) | instid1(VALU_DEP_1)
	v_cndmask_b32_e64 v17, v18, v17, s2
	v_mov_b32_dpp v18, v17 row_xmask:15 row_mask:0xf bank_mask:0xf
	s_delay_alu instid0(VALU_DEP_1)
	v_cmp_gt_f32_e64 s2, v17, v18
	v_cmpx_eq_u32_e32 31, v19
	s_cbranch_execz .LBB38_7
; %bb.6:
	s_delay_alu instid0(VALU_DEP_2) | instskip(SKIP_2) | instid1(VALU_DEP_2)
	v_cndmask_b32_e64 v17, v18, v17, s2
	s_mov_b32 s2, 0x76543210
	v_lshrrev_b32_e32 v18, 3, v0
	v_permlanex16_b32 v19, v17, s2, 0xfedcba98 op_sel:[1,1]
	s_delay_alu instid0(VALU_DEP_2) | instskip(NEXT) | instid1(VALU_DEP_2)
	v_and_b32_e32 v18, 0x7c, v18
	v_cmp_gt_f32_e64 s2, v17, v19
	s_delay_alu instid0(VALU_DEP_1)
	v_cndmask_b32_e64 v17, v19, v17, s2
	ds_store_b32 v18, v17
.LBB38_7:
	s_or_b32 exec_lo, exec_lo, s5
	v_and_b32_e32 v17, 7, v0
	s_waitcnt lgkmcnt(0)
	s_barrier
	buffer_gl0_inv
	s_mov_b32 s3, exec_lo
	v_lshlrev_b32_e32 v17, 2, v17
	ds_load_b32 v17, v17
	s_waitcnt lgkmcnt(0)
	v_mov_b32_dpp v18, v17 quad_perm:[1,0,3,2] row_mask:0xf bank_mask:0xf
	s_delay_alu instid0(VALU_DEP_1) | instskip(NEXT) | instid1(VALU_DEP_1)
	v_cmp_gt_f32_e64 s2, v17, v18
	v_cndmask_b32_e64 v17, v18, v17, s2
	s_delay_alu instid0(VALU_DEP_1) | instskip(NEXT) | instid1(VALU_DEP_1)
	v_mov_b32_dpp v18, v17 quad_perm:[2,3,0,1] row_mask:0xf bank_mask:0xf
	v_cmp_gt_f32_e64 s2, v17, v18
	s_delay_alu instid0(VALU_DEP_1) | instskip(NEXT) | instid1(VALU_DEP_1)
	v_cndmask_b32_e64 v17, v18, v17, s2
	v_mov_b32_dpp v18, v17 row_xmask:7 row_mask:0xf bank_mask:0xf
	s_delay_alu instid0(VALU_DEP_1) | instskip(NEXT) | instid1(VALU_DEP_1)
	v_cmp_gt_f32_e64 s2, v17, v18
	v_cndmask_b32_e64 v17, v18, v17, s2
	s_delay_alu instid0(VALU_DEP_1)
	v_mul_f32_e32 v17, 0x3b124925, v17
	v_cmpx_eq_u32_e32 0, v0
	s_cbranch_execz .LBB38_9
; %bb.8:
	s_load_b64 s[10:11], s[0:1], 0x8
	s_ashr_i32 s7, s6, 31
	v_mov_b32_e32 v18, 0
	s_lshl_b64 s[6:7], s[6:7], 2
	s_waitcnt lgkmcnt(0)
	s_add_u32 s6, s10, s6
	s_addc_u32 s7, s11, s7
	global_store_b32 v18, v17, s[6:7]
.LBB38_9:
	s_or_b32 exec_lo, exec_lo, s3
	s_and_saveexec_b32 s2, vcc_lo
	s_cbranch_execz .LBB38_11
; %bb.10:
	s_load_b64 s[0:1], s[0:1], 0x0
	v_rcp_f32_e32 v17, v17
	v_lshlrev_b32_e32 v18, 5, v0
	v_cvt_f32_f16_e32 v0, v13
	v_lshrrev_b32_e32 v13, 16, v13
	v_cvt_f32_f16_e32 v19, v14
	v_lshrrev_b32_e32 v14, 16, v14
	;; [unrolled: 2-line block ×3, first 2 shown]
	v_cvt_f32_f16_e32 v13, v13
	v_cvt_f32_f16_e32 v20, v15
	v_lshrrev_b32_e32 v15, 16, v15
	v_cvt_f32_f16_e32 v23, v10
	v_lshrrev_b32_e32 v10, 16, v10
	v_lshrrev_b32_e32 v24, 16, v11
	v_cvt_f32_f16_e32 v14, v14
	v_cvt_f32_f16_e32 v21, v16
	v_lshrrev_b32_e32 v16, 16, v16
	v_cvt_f32_f16_e32 v25, v9
	v_mul_f32_e32 v9, v17, v13
	v_dual_mul_f32 v0, v17, v0 :: v_dual_mov_b32 v13, 0xc3e00000
	v_cvt_f32_f16_e32 v15, v15
	v_cvt_f32_f16_e32 v26, v10
	v_dual_mov_b32 v27, 0x43e00000 :: v_dual_mul_f32 v10, v17, v19
	v_mul_f32_e32 v14, v17, v14
	v_cvt_f32_f16_e32 v19, v24
	v_lshrrev_b32_e32 v24, 16, v12
	;;#ASMSTART
	v_med3_f32 v0, v0, v13, v27
v_med3_f32 v9, v9, v13, v27
v_cvt_pk_fp8_f32 v28, v0, v9
	;;#ASMEND
	v_cvt_f32_f16_e32 v16, v16
	;;#ASMSTART
	v_med3_f32 v10, v10, v13, v27
v_med3_f32 v14, v14, v13, v27
v_cvt_pk_fp8_f32 v0, v10, v14
	;;#ASMEND
	v_perm_b32 v9, v0, v28, 0x5040100
	v_cvt_f32_f16_e32 v11, v11
	v_mul_f32_e32 v10, v17, v20
	v_mul_f32_e32 v14, v17, v15
	v_cvt_f32_f16_e32 v12, v12
	v_cvt_f32_f16_e32 v20, v24
	s_waitcnt lgkmcnt(0)
	s_add_u32 s0, s0, s4
	v_mul_f32_e32 v15, v17, v21
	v_mul_f32_e32 v16, v17, v16
	v_perm_b32 v9, v9, v0, 0x1060504
	;;#ASMSTART
	v_med3_f32 v10, v10, v13, v27
v_med3_f32 v14, v14, v13, v27
v_cvt_pk_fp8_f32 v0, v10, v14
	;;#ASMEND
	s_addc_u32 s1, s1, 0
	s_add_i32 s2, s8, 3
	;;#ASMSTART
	v_med3_f32 v15, v15, v13, v27
v_med3_f32 v16, v16, v13, v27
v_cvt_pk_fp8_f32 v10, v15, v16
	;;#ASMEND
	v_perm_b32 v10, v0, v10, 0x1000504
	v_mul_f32_e32 v0, v17, v22
	v_mul_f32_e32 v14, v17, v25
	s_ashr_i32 s3, s2, 31
	v_mul_f32_e32 v15, v17, v23
	v_mul_f32_e32 v16, v17, v26
	;; [unrolled: 1-line block ×3, first 2 shown]
	;;#ASMSTART
	v_med3_f32 v0, v0, v13, v27
v_med3_f32 v14, v14, v13, v27
v_cvt_pk_fp8_f32 v11, v0, v14
	;;#ASMEND
	v_mul_f32_e32 v19, v17, v19
	v_mul_f32_e32 v12, v17, v12
	;; [unrolled: 1-line block ×3, first 2 shown]
	;;#ASMSTART
	v_med3_f32 v15, v15, v13, v27
v_med3_f32 v16, v16, v13, v27
v_cvt_pk_fp8_f32 v0, v15, v16
	;;#ASMEND
	s_lshr_b32 s3, s3, 30
	v_perm_b32 v11, v11, v0, 0x1000504
	;;#ASMSTART
	v_med3_f32 v21, v21, v13, v27
v_med3_f32 v19, v19, v13, v27
v_cvt_pk_fp8_f32 v0, v21, v19
	;;#ASMEND
	;;#ASMSTART
	v_med3_f32 v12, v12, v13, v27
v_med3_f32 v20, v20, v13, v27
v_cvt_pk_fp8_f32 v14, v12, v20
	;;#ASMEND
	v_perm_b32 v12, v0, v14, 0x1000504
	s_add_i32 s2, s2, s3
	s_and_b32 s1, s1, 0xffff
	s_and_b32 s2, s2, -4
	s_mov_b32 s3, -1
	v_lshrrev_b32_e32 v0, 16, v5
	buffer_store_b128 v[9:12], v18, s[0:3], 0 offen
	v_lshrrev_b32_e32 v9, 16, v6
	v_lshrrev_b32_e32 v10, 16, v7
	;; [unrolled: 1-line block ×3, first 2 shown]
	v_cvt_f32_f16_e32 v15, v1
	v_lshrrev_b32_e32 v1, 16, v3
	v_cvt_f32_f16_e32 v5, v5
	v_cvt_f32_f16_e32 v0, v0
	;; [unrolled: 1-line block ×4, first 2 shown]
	v_lshrrev_b32_e32 v11, 16, v8
	v_cvt_f32_f16_e32 v7, v7
	v_cvt_f32_f16_e32 v10, v10
	v_lshrrev_b32_e32 v14, 16, v2
	v_cvt_f32_f16_e32 v16, v1
	v_lshrrev_b32_e32 v1, 16, v4
	v_mul_f32_e32 v5, v17, v5
	v_mul_f32_e32 v0, v17, v0
	;;#ASMSTART
	s_nop 0
	;;#ASMEND
	v_cvt_f32_f16_e32 v8, v8
	v_cvt_f32_f16_e32 v11, v11
	v_mul_f32_e32 v6, v17, v6
	v_mul_f32_e32 v9, v17, v9
	;;#ASMSTART
	v_med3_f32 v5, v5, v13, v27
v_med3_f32 v0, v0, v13, v27
v_cvt_pk_fp8_f32 v19, v5, v0
	;;#ASMEND
	;;#ASMSTART
	v_med3_f32 v6, v6, v13, v27
v_med3_f32 v9, v9, v13, v27
v_cvt_pk_fp8_f32 v0, v6, v9
	;;#ASMEND
	v_perm_b32 v5, v0, v19, 0x5040100
	v_cvt_f32_f16_e32 v12, v12
	v_cvt_f32_f16_e32 v2, v2
	;; [unrolled: 1-line block ×3, first 2 shown]
	v_mul_f32_e32 v6, v17, v7
	v_mul_f32_e32 v7, v17, v10
	v_cvt_f32_f16_e32 v10, v1
	v_cvt_f32_f16_e32 v3, v3
	v_mul_f32_e32 v8, v17, v8
	v_mul_f32_e32 v9, v17, v11
	v_cvt_f32_f16_e32 v4, v4
	v_perm_b32 v0, v5, v0, 0x1060504
	;;#ASMSTART
	v_med3_f32 v6, v6, v13, v27
v_med3_f32 v7, v7, v13, v27
v_cvt_pk_fp8_f32 v1, v6, v7
	;;#ASMEND
	;;#ASMSTART
	v_med3_f32 v8, v8, v13, v27
v_med3_f32 v9, v9, v13, v27
v_cvt_pk_fp8_f32 v5, v8, v9
	;;#ASMEND
	v_perm_b32 v1, v1, v5, 0x1000504
	v_mul_f32_e32 v5, v17, v15
	v_mul_f32_e32 v6, v17, v12
	;; [unrolled: 1-line block ×5, first 2 shown]
	;;#ASMSTART
	v_med3_f32 v5, v5, v13, v27
v_med3_f32 v6, v6, v13, v27
v_cvt_pk_fp8_f32 v10, v5, v6
	;;#ASMEND
	v_mul_f32_e32 v3, v17, v3
	v_mul_f32_e32 v8, v17, v16
	;;#ASMSTART
	v_med3_f32 v2, v2, v13, v27
v_med3_f32 v7, v7, v13, v27
v_cvt_pk_fp8_f32 v5, v2, v7
	;;#ASMEND
	v_mul_f32_e32 v4, v17, v4
	v_perm_b32 v2, v10, v5, 0x1000504
	;;#ASMSTART
	v_med3_f32 v3, v3, v13, v27
v_med3_f32 v8, v8, v13, v27
v_cvt_pk_fp8_f32 v5, v3, v8
	;;#ASMEND
	;;#ASMSTART
	v_med3_f32 v4, v4, v13, v27
v_med3_f32 v9, v9, v13, v27
v_cvt_pk_fp8_f32 v3, v4, v9
	;;#ASMEND
	v_perm_b32 v3, v5, v3, 0x1000504
	buffer_store_b128 v[0:3], v18, s[0:3], 16 offen
	;;#ASMSTART
	s_nop 0
	;;#ASMEND
.LBB38_11:
	s_nop 0
	s_sendmsg sendmsg(MSG_DEALLOC_VGPRS)
	s_endpgm
	.section	.rodata,"a",@progbits
	.p2align	6, 0x0
	.amdhsa_kernel _ZN5aiter37dynamic_per_token_scaled_quant_kernelIDF16_DB8_Li32EEEvPT0_PfPT_PKfiPKii
		.amdhsa_group_segment_fixed_size 32
		.amdhsa_private_segment_fixed_size 0
		.amdhsa_kernarg_size 52
		.amdhsa_user_sgpr_count 15
		.amdhsa_user_sgpr_dispatch_ptr 0
		.amdhsa_user_sgpr_queue_ptr 0
		.amdhsa_user_sgpr_kernarg_segment_ptr 1
		.amdhsa_user_sgpr_dispatch_id 0
		.amdhsa_user_sgpr_private_segment_size 0
		.amdhsa_wavefront_size32 1
		.amdhsa_uses_dynamic_stack 0
		.amdhsa_enable_private_segment 0
		.amdhsa_system_sgpr_workgroup_id_x 1
		.amdhsa_system_sgpr_workgroup_id_y 0
		.amdhsa_system_sgpr_workgroup_id_z 0
		.amdhsa_system_sgpr_workgroup_info 0
		.amdhsa_system_vgpr_workitem_id 0
		.amdhsa_next_free_vgpr 29
		.amdhsa_next_free_sgpr 16
		.amdhsa_reserve_vcc 1
		.amdhsa_float_round_mode_32 0
		.amdhsa_float_round_mode_16_64 0
		.amdhsa_float_denorm_mode_32 3
		.amdhsa_float_denorm_mode_16_64 3
		.amdhsa_dx10_clamp 1
		.amdhsa_ieee_mode 1
		.amdhsa_fp16_overflow 0
		.amdhsa_workgroup_processor_mode 1
		.amdhsa_memory_ordered 1
		.amdhsa_forward_progress 0
		.amdhsa_shared_vgpr_count 0
		.amdhsa_exception_fp_ieee_invalid_op 0
		.amdhsa_exception_fp_denorm_src 0
		.amdhsa_exception_fp_ieee_div_zero 0
		.amdhsa_exception_fp_ieee_overflow 0
		.amdhsa_exception_fp_ieee_underflow 0
		.amdhsa_exception_fp_ieee_inexact 0
		.amdhsa_exception_int_div_zero 0
	.end_amdhsa_kernel
	.section	.text._ZN5aiter37dynamic_per_token_scaled_quant_kernelIDF16_DB8_Li32EEEvPT0_PfPT_PKfiPKii,"axG",@progbits,_ZN5aiter37dynamic_per_token_scaled_quant_kernelIDF16_DB8_Li32EEEvPT0_PfPT_PKfiPKii,comdat
.Lfunc_end38:
	.size	_ZN5aiter37dynamic_per_token_scaled_quant_kernelIDF16_DB8_Li32EEEvPT0_PfPT_PKfiPKii, .Lfunc_end38-_ZN5aiter37dynamic_per_token_scaled_quant_kernelIDF16_DB8_Li32EEEvPT0_PfPT_PKfiPKii
                                        ; -- End function
	.section	.AMDGPU.csdata,"",@progbits
; Kernel info:
; codeLenInByte = 2712
; NumSgprs: 18
; NumVgprs: 29
; ScratchSize: 0
; MemoryBound: 0
; FloatMode: 240
; IeeeMode: 1
; LDSByteSize: 32 bytes/workgroup (compile time only)
; SGPRBlocks: 2
; VGPRBlocks: 3
; NumSGPRsForWavesPerEU: 18
; NumVGPRsForWavesPerEU: 29
; Occupancy: 16
; WaveLimiterHint : 0
; COMPUTE_PGM_RSRC2:SCRATCH_EN: 0
; COMPUTE_PGM_RSRC2:USER_SGPR: 15
; COMPUTE_PGM_RSRC2:TRAP_HANDLER: 0
; COMPUTE_PGM_RSRC2:TGID_X_EN: 1
; COMPUTE_PGM_RSRC2:TGID_Y_EN: 0
; COMPUTE_PGM_RSRC2:TGID_Z_EN: 0
; COMPUTE_PGM_RSRC2:TIDIG_COMP_CNT: 0
	.section	.text._ZN5aiter37dynamic_per_token_scaled_quant_kernelItDB8_Li32EEEvPT0_PfPT_PKfiPKii,"axG",@progbits,_ZN5aiter37dynamic_per_token_scaled_quant_kernelItDB8_Li32EEEvPT0_PfPT_PKfiPKii,comdat
	.protected	_ZN5aiter37dynamic_per_token_scaled_quant_kernelItDB8_Li32EEEvPT0_PfPT_PKfiPKii ; -- Begin function _ZN5aiter37dynamic_per_token_scaled_quant_kernelItDB8_Li32EEEvPT0_PfPT_PKfiPKii
	.globl	_ZN5aiter37dynamic_per_token_scaled_quant_kernelItDB8_Li32EEEvPT0_PfPT_PKfiPKii
	.p2align	8
	.type	_ZN5aiter37dynamic_per_token_scaled_quant_kernelItDB8_Li32EEEvPT0_PfPT_PKfiPKii,@function
_ZN5aiter37dynamic_per_token_scaled_quant_kernelItDB8_Li32EEEvPT0_PfPT_PKfiPKii: ; @_ZN5aiter37dynamic_per_token_scaled_quant_kernelItDB8_Li32EEEvPT0_PfPT_PKfiPKii
; %bb.0:
	s_load_b64 s[2:3], s[0:1], 0x28
	s_mov_b32 s6, s15
	s_waitcnt lgkmcnt(0)
	s_cmp_eq_u64 s[2:3], 0
	s_cselect_b32 s4, -1, 0
	s_delay_alu instid0(SALU_CYCLE_1)
	s_and_b32 vcc_lo, exec_lo, s4
	s_cbranch_vccnz .LBB39_2
; %bb.1:
	s_load_b32 s4, s[0:1], 0x30
	s_load_b32 s2, s[2:3], 0x0
	s_waitcnt lgkmcnt(0)
	s_mul_i32 s2, s2, s4
	s_delay_alu instid0(SALU_CYCLE_1)
	s_cmp_lt_i32 s6, s2
	s_cselect_b32 s4, -1, 0
.LBB39_2:
	s_delay_alu instid0(SALU_CYCLE_1)
	s_and_not1_b32 vcc_lo, exec_lo, s4
	s_cbranch_vccnz .LBB39_11
; %bb.3:
	s_load_b32 s8, s[0:1], 0x20
	v_mov_b32_e32 v17, 0
                                        ; implicit-def: $vgpr13
                                        ; implicit-def: $vgpr9
                                        ; implicit-def: $vgpr5
                                        ; implicit-def: $vgpr1
	s_waitcnt lgkmcnt(0)
	s_add_i32 s2, s8, 31
	s_mul_i32 s4, s6, s8
	s_ashr_i32 s3, s2, 31
	s_delay_alu instid0(SALU_CYCLE_1) | instskip(NEXT) | instid1(SALU_CYCLE_1)
	s_lshr_b32 s3, s3, 27
	s_add_i32 s2, s2, s3
	s_delay_alu instid0(SALU_CYCLE_1) | instskip(NEXT) | instid1(SALU_CYCLE_1)
	s_ashr_i32 s2, s2, 5
	v_cmp_gt_u32_e32 vcc_lo, s2, v0
	s_and_saveexec_b32 s2, vcc_lo
	s_cbranch_execz .LBB39_5
; %bb.4:
	s_load_b64 s[10:11], s[0:1], 0x10
	s_mov_b32 s5, 0
	v_lshlrev_b32_e32 v1, 6, v0
	s_lshl_b64 s[12:13], s[4:5], 1
	s_mov_b32 s15, -1
	s_waitcnt lgkmcnt(0)
	s_add_u32 s12, s10, s12
	s_addc_u32 s3, s11, s13
	s_add_i32 s5, s8, 1
	s_and_b32 s13, s3, 0xffff
	s_lshr_b32 s7, s5, 31
	s_delay_alu instid0(SALU_CYCLE_1) | instskip(NEXT) | instid1(SALU_CYCLE_1)
	s_add_i32 s5, s5, s7
	s_lshl_b32 s5, s5, 1
	s_delay_alu instid0(SALU_CYCLE_1)
	s_and_b32 s14, s5, -4
	s_clause 0x3
	buffer_load_b128 v[13:16], v1, s[12:15], 0 offen
	buffer_load_b128 v[9:12], v1, s[12:15], 16 offen
	;; [unrolled: 1-line block ×4, first 2 shown]
	s_waitcnt vmcnt(3)
	v_and_b32_e32 v17, 0xffff, v13
	v_lshrrev_b32_e32 v18, 16, v13
	v_and_b32_e32 v19, 0xffff, v14
	v_lshrrev_b32_e32 v20, 16, v14
	v_and_b32_e32 v21, 0xffff, v15
	v_cvt_f32_u32_e32 v17, v17
	v_cvt_f32_u32_e32 v18, v18
	v_lshrrev_b32_e32 v22, 16, v15
	v_cvt_f32_u32_e32 v19, v19
	v_cvt_f32_u32_e32 v20, v20
	v_lshrrev_b32_e32 v23, 16, v16
	v_max3_f32 v17, v17, 0, v18
	v_and_b32_e32 v18, 0xffff, v16
	v_cvt_f32_u32_e32 v21, v21
	v_cvt_f32_u32_e32 v22, v22
	v_cvt_f32_u32_e32 v23, v23
	v_max3_f32 v17, v17, v19, v20
	s_waitcnt vmcnt(2)
	v_and_b32_e32 v19, 0xffff, v9
	v_lshrrev_b32_e32 v20, 16, v9
	v_cvt_f32_u32_e32 v18, v18
	v_max3_f32 v17, v17, v21, v22
	v_and_b32_e32 v21, 0xffff, v10
	v_lshrrev_b32_e32 v22, 16, v10
	v_cvt_f32_u32_e32 v19, v19
	v_cvt_f32_u32_e32 v20, v20
	v_max3_f32 v17, v17, v18, v23
	v_and_b32_e32 v18, 0xffff, v11
	v_lshrrev_b32_e32 v23, 16, v11
	v_cvt_f32_u32_e32 v21, v21
	;; [unrolled: 5-line block ×3, first 2 shown]
	v_cvt_f32_u32_e32 v23, v23
	v_max3_f32 v17, v17, v21, v22
	s_waitcnt vmcnt(1)
	v_and_b32_e32 v21, 0xffff, v5
	v_lshrrev_b32_e32 v22, 16, v5
	v_cvt_f32_u32_e32 v19, v19
	v_cvt_f32_u32_e32 v20, v20
	v_max3_f32 v17, v17, v18, v23
	v_and_b32_e32 v18, 0xffff, v6
	v_lshrrev_b32_e32 v23, 16, v6
	v_cvt_f32_u32_e32 v21, v21
	v_cvt_f32_u32_e32 v22, v22
	v_max3_f32 v17, v17, v19, v20
	;; [unrolled: 5-line block ×4, first 2 shown]
	s_waitcnt vmcnt(0)
	v_and_b32_e32 v18, 0xffff, v1
	v_lshrrev_b32_e32 v23, 16, v1
	v_cvt_f32_u32_e32 v21, v21
	v_cvt_f32_u32_e32 v22, v22
	v_max3_f32 v17, v17, v19, v20
	v_and_b32_e32 v19, 0xffff, v2
	v_lshrrev_b32_e32 v20, 16, v2
	v_cvt_f32_u32_e32 v18, v18
	v_cvt_f32_u32_e32 v23, v23
	v_max3_f32 v17, v17, v21, v22
	;; [unrolled: 5-line block ×3, first 2 shown]
	v_and_b32_e32 v18, 0xffff, v4
	v_cvt_f32_u32_e32 v21, v21
	v_cvt_f32_u32_e32 v22, v22
	s_delay_alu instid0(VALU_DEP_4) | instskip(SKIP_2) | instid1(VALU_DEP_3)
	v_max3_f32 v17, v17, v19, v20
	v_lshrrev_b32_e32 v19, 16, v4
	v_cvt_f32_u32_e32 v18, v18
	v_max3_f32 v17, v17, v21, v22
	s_delay_alu instid0(VALU_DEP_3) | instskip(NEXT) | instid1(VALU_DEP_1)
	v_cvt_f32_u32_e32 v19, v19
	v_max3_f32 v17, v17, v18, v19
.LBB39_5:
	s_or_b32 exec_lo, exec_lo, s2
	s_delay_alu instid0(VALU_DEP_1) | instskip(SKIP_2) | instid1(VALU_DEP_2)
	v_mov_b32_dpp v18, v17 quad_perm:[1,0,3,2] row_mask:0xf bank_mask:0xf
	v_and_b32_e32 v19, 31, v0
	s_mov_b32 s5, exec_lo
	v_cmp_gt_f32_e64 s2, v17, v18
	s_delay_alu instid0(VALU_DEP_1) | instskip(NEXT) | instid1(VALU_DEP_1)
	v_cndmask_b32_e64 v17, v18, v17, s2
	v_mov_b32_dpp v18, v17 quad_perm:[2,3,0,1] row_mask:0xf bank_mask:0xf
	s_delay_alu instid0(VALU_DEP_1) | instskip(NEXT) | instid1(VALU_DEP_1)
	v_cmp_gt_f32_e64 s2, v17, v18
	v_cndmask_b32_e64 v17, v18, v17, s2
	s_delay_alu instid0(VALU_DEP_1) | instskip(NEXT) | instid1(VALU_DEP_1)
	v_mov_b32_dpp v18, v17 row_xmask:7 row_mask:0xf bank_mask:0xf
	v_cmp_gt_f32_e64 s2, v17, v18
	s_delay_alu instid0(VALU_DEP_1) | instskip(NEXT) | instid1(VALU_DEP_1)
	v_cndmask_b32_e64 v17, v18, v17, s2
	v_mov_b32_dpp v18, v17 row_xmask:15 row_mask:0xf bank_mask:0xf
	s_delay_alu instid0(VALU_DEP_1)
	v_cmp_gt_f32_e64 s2, v17, v18
	v_cmpx_eq_u32_e32 31, v19
	s_cbranch_execz .LBB39_7
; %bb.6:
	s_delay_alu instid0(VALU_DEP_2) | instskip(SKIP_2) | instid1(VALU_DEP_2)
	v_cndmask_b32_e64 v17, v18, v17, s2
	s_mov_b32 s2, 0x76543210
	v_lshrrev_b32_e32 v18, 3, v0
	v_permlanex16_b32 v19, v17, s2, 0xfedcba98 op_sel:[1,1]
	s_delay_alu instid0(VALU_DEP_2) | instskip(NEXT) | instid1(VALU_DEP_2)
	v_and_b32_e32 v18, 0x7c, v18
	v_cmp_gt_f32_e64 s2, v17, v19
	s_delay_alu instid0(VALU_DEP_1)
	v_cndmask_b32_e64 v17, v19, v17, s2
	ds_store_b32 v18, v17
.LBB39_7:
	s_or_b32 exec_lo, exec_lo, s5
	v_and_b32_e32 v17, 7, v0
	s_waitcnt lgkmcnt(0)
	s_barrier
	buffer_gl0_inv
	s_mov_b32 s3, exec_lo
	v_lshlrev_b32_e32 v17, 2, v17
	ds_load_b32 v17, v17
	s_waitcnt lgkmcnt(0)
	v_mov_b32_dpp v18, v17 quad_perm:[1,0,3,2] row_mask:0xf bank_mask:0xf
	s_delay_alu instid0(VALU_DEP_1) | instskip(NEXT) | instid1(VALU_DEP_1)
	v_cmp_gt_f32_e64 s2, v17, v18
	v_cndmask_b32_e64 v17, v18, v17, s2
	s_delay_alu instid0(VALU_DEP_1) | instskip(NEXT) | instid1(VALU_DEP_1)
	v_mov_b32_dpp v18, v17 quad_perm:[2,3,0,1] row_mask:0xf bank_mask:0xf
	v_cmp_gt_f32_e64 s2, v17, v18
	s_delay_alu instid0(VALU_DEP_1) | instskip(NEXT) | instid1(VALU_DEP_1)
	v_cndmask_b32_e64 v17, v18, v17, s2
	v_mov_b32_dpp v18, v17 row_xmask:7 row_mask:0xf bank_mask:0xf
	s_delay_alu instid0(VALU_DEP_1) | instskip(NEXT) | instid1(VALU_DEP_1)
	v_cmp_gt_f32_e64 s2, v17, v18
	v_cndmask_b32_e64 v17, v18, v17, s2
	s_delay_alu instid0(VALU_DEP_1)
	v_mul_f32_e32 v17, 0x3b124925, v17
	v_cmpx_eq_u32_e32 0, v0
	s_cbranch_execz .LBB39_9
; %bb.8:
	s_load_b64 s[10:11], s[0:1], 0x8
	s_ashr_i32 s7, s6, 31
	v_mov_b32_e32 v18, 0
	s_lshl_b64 s[6:7], s[6:7], 2
	s_waitcnt lgkmcnt(0)
	s_add_u32 s6, s10, s6
	s_addc_u32 s7, s11, s7
	global_store_b32 v18, v17, s[6:7]
.LBB39_9:
	s_or_b32 exec_lo, exec_lo, s3
	s_and_saveexec_b32 s2, vcc_lo
	s_cbranch_execz .LBB39_11
; %bb.10:
	v_rcp_f32_e32 v17, v17
	v_and_b32_e32 v19, 0xffff, v14
	v_lshlrev_b32_e32 v18, 5, v0
	v_and_b32_e32 v23, 0xffff, v10
	v_lshrrev_b32_e32 v10, 16, v10
	v_and_b32_e32 v22, 0xffff, v9
	v_cvt_f32_u32_e32 v19, v19
	v_and_b32_e32 v0, 0xffff, v13
	v_lshrrev_b32_e32 v13, 16, v13
	v_lshrrev_b32_e32 v9, 16, v9
	;; [unrolled: 1-line block ×3, first 2 shown]
	v_cvt_f32_u32_e32 v26, v10
	s_load_b64 s[0:1], s[0:1], 0x0
	v_cvt_f32_u32_e32 v13, v13
	v_and_b32_e32 v21, 0xffff, v16
	v_cvt_f32_u32_e32 v25, v9
	v_and_b32_e32 v24, 0xffff, v11
	v_lshrrev_b32_e32 v9, 16, v11
	v_mul_f32_e32 v10, v17, v13
	v_cvt_f32_u32_e32 v21, v21
	v_and_b32_e32 v20, 0xffff, v15
	v_lshrrev_b32_e32 v15, 16, v15
	v_mul_f32_e32 v11, v17, v19
	v_cvt_f32_u32_e32 v0, v0
	v_cvt_f32_u32_e32 v14, v14
	v_mov_b32_e32 v13, 0xc3e00000
	v_cvt_f32_u32_e32 v15, v15
	s_delay_alu instid0(VALU_DEP_4) | instskip(NEXT) | instid1(VALU_DEP_4)
	v_dual_mov_b32 v27, 0x43e00000 :: v_dual_mul_f32 v0, v17, v0
	v_mul_f32_e32 v14, v17, v14
	;;#ASMSTART
	v_med3_f32 v0, v0, v13, v27
v_med3_f32 v10, v10, v13, v27
v_cvt_pk_fp8_f32 v28, v0, v10
	;;#ASMEND
	;;#ASMSTART
	v_med3_f32 v11, v11, v13, v27
v_med3_f32 v14, v14, v13, v27
v_cvt_pk_fp8_f32 v0, v11, v14
	;;#ASMEND
	v_mul_f32_e32 v14, v17, v15
	v_mul_f32_e32 v15, v17, v21
	v_cvt_f32_u32_e32 v20, v20
	v_lshrrev_b32_e32 v16, 16, v16
	v_cvt_f32_u32_e32 v19, v9
	v_perm_b32 v10, v0, v28, 0x5040100
	v_cvt_f32_u32_e32 v23, v23
	v_mul_f32_e32 v11, v17, v20
	v_cvt_f32_u32_e32 v22, v22
	v_and_b32_e32 v9, 0xffff, v12
	v_lshrrev_b32_e32 v12, 16, v12
	v_cvt_f32_u32_e32 v16, v16
	s_waitcnt lgkmcnt(0)
	s_add_u32 s0, s0, s4
	s_addc_u32 s1, s1, 0
	v_cvt_f32_u32_e32 v20, v9
	v_perm_b32 v9, v10, v0, 0x1060504
	;;#ASMSTART
	v_med3_f32 v11, v11, v13, v27
v_med3_f32 v14, v14, v13, v27
v_cvt_pk_fp8_f32 v0, v11, v14
	;;#ASMEND
	v_cvt_f32_u32_e32 v12, v12
	v_mul_f32_e32 v11, v17, v25
	v_cvt_f32_u32_e32 v24, v24
	v_mul_f32_e32 v16, v17, v16
	s_add_i32 s2, s8, 3
	;;#ASMSTART
	v_med3_f32 v15, v15, v13, v27
v_med3_f32 v16, v16, v13, v27
v_cvt_pk_fp8_f32 v10, v15, v16
	;;#ASMEND
	v_perm_b32 v10, v0, v10, 0x1000504
	v_mul_f32_e32 v0, v17, v22
	s_ashr_i32 s3, s2, 31
	v_mul_f32_e32 v14, v17, v23
	v_mul_f32_e32 v15, v17, v26
	;;#ASMSTART
	v_med3_f32 v0, v0, v13, v27
v_med3_f32 v11, v11, v13, v27
v_cvt_pk_fp8_f32 v21, v0, v11
	;;#ASMEND
	v_mul_f32_e32 v16, v17, v24
	v_mul_f32_e32 v19, v17, v19
	;; [unrolled: 1-line block ×4, first 2 shown]
	;;#ASMSTART
	v_med3_f32 v14, v14, v13, v27
v_med3_f32 v15, v15, v13, v27
v_cvt_pk_fp8_f32 v0, v14, v15
	;;#ASMEND
	s_lshr_b32 s3, s3, 30
	v_perm_b32 v11, v21, v0, 0x1000504
	;;#ASMSTART
	v_med3_f32 v16, v16, v13, v27
v_med3_f32 v19, v19, v13, v27
v_cvt_pk_fp8_f32 v0, v16, v19
	;;#ASMEND
	;;#ASMSTART
	v_med3_f32 v20, v20, v13, v27
v_med3_f32 v12, v12, v13, v27
v_cvt_pk_fp8_f32 v14, v20, v12
	;;#ASMEND
	v_perm_b32 v12, v0, v14, 0x1000504
	v_and_b32_e32 v14, 0xffff, v6
	s_add_i32 s2, s2, s3
	s_and_b32 s1, s1, 0xffff
	s_and_b32 s2, s2, -4
	s_mov_b32 s3, -1
	v_and_b32_e32 v0, 0xffff, v5
	v_lshrrev_b32_e32 v5, 16, v5
	buffer_store_b128 v[9:12], v18, s[0:3], 0 offen
	v_lshrrev_b32_e32 v6, 16, v6
	v_and_b32_e32 v12, 0xffff, v1
	v_lshrrev_b32_e32 v1, 16, v1
	v_cvt_f32_u32_e32 v5, v5
	v_and_b32_e32 v10, 0xffff, v7
	v_cvt_f32_u32_e32 v9, v14
	v_cvt_f32_u32_e32 v6, v6
	;; [unrolled: 1-line block ×3, first 2 shown]
	v_lshrrev_b32_e32 v1, 16, v3
	v_cvt_f32_u32_e32 v0, v0
	v_lshrrev_b32_e32 v7, 16, v7
	v_and_b32_e32 v11, 0xffff, v8
	v_lshrrev_b32_e32 v8, 16, v8
	v_and_b32_e32 v15, 0xffff, v3
	v_mul_f32_e32 v3, v17, v5
	v_cvt_f32_u32_e32 v10, v10
	v_dual_mul_f32 v5, v17, v9 :: v_dual_and_b32 v14, 0xffff, v2
	v_lshrrev_b32_e32 v2, 16, v2
	v_mul_f32_e32 v6, v17, v6
	v_cvt_f32_u32_e32 v9, v1
	v_and_b32_e32 v1, 0xffff, v4
	v_mul_f32_e32 v0, v17, v0
	;;#ASMSTART
	s_nop 0
	;;#ASMEND
	v_cvt_f32_u32_e32 v7, v7
	v_cvt_f32_u32_e32 v11, v11
	;; [unrolled: 1-line block ×3, first 2 shown]
	v_lshrrev_b32_e32 v4, 16, v4
	;;#ASMSTART
	v_med3_f32 v0, v0, v13, v27
v_med3_f32 v3, v3, v13, v27
v_cvt_pk_fp8_f32 v19, v0, v3
	;;#ASMEND
	;;#ASMSTART
	v_med3_f32 v5, v5, v13, v27
v_med3_f32 v6, v6, v13, v27
v_cvt_pk_fp8_f32 v0, v5, v6
	;;#ASMEND
	v_perm_b32 v3, v0, v19, 0x5040100
	v_mul_f32_e32 v5, v17, v10
	v_cvt_f32_u32_e32 v12, v12
	v_cvt_f32_u32_e32 v14, v14
	;; [unrolled: 1-line block ×5, first 2 shown]
	v_mul_f32_e32 v6, v17, v7
	v_mul_f32_e32 v7, v17, v11
	;; [unrolled: 1-line block ×3, first 2 shown]
	v_cvt_f32_u32_e32 v4, v4
	v_perm_b32 v0, v3, v0, 0x1060504
	;;#ASMSTART
	v_med3_f32 v5, v5, v13, v27
v_med3_f32 v6, v6, v13, v27
v_cvt_pk_fp8_f32 v1, v5, v6
	;;#ASMEND
	;;#ASMSTART
	v_med3_f32 v7, v7, v13, v27
v_med3_f32 v8, v8, v13, v27
v_cvt_pk_fp8_f32 v3, v7, v8
	;;#ASMEND
	v_perm_b32 v1, v1, v3, 0x1000504
	v_mul_f32_e32 v3, v17, v12
	v_mul_f32_e32 v5, v17, v16
	;; [unrolled: 1-line block ×6, first 2 shown]
	;;#ASMSTART
	v_med3_f32 v3, v3, v13, v27
v_med3_f32 v5, v5, v13, v27
v_cvt_pk_fp8_f32 v10, v3, v5
	;;#ASMEND
	v_mul_f32_e32 v7, v17, v15
	;;#ASMSTART
	v_med3_f32 v6, v6, v13, v27
v_med3_f32 v2, v2, v13, v27
v_cvt_pk_fp8_f32 v3, v6, v2
	;;#ASMEND
	v_mul_f32_e32 v4, v17, v4
	v_perm_b32 v2, v10, v3, 0x1000504
	;;#ASMSTART
	v_med3_f32 v7, v7, v13, v27
v_med3_f32 v8, v8, v13, v27
v_cvt_pk_fp8_f32 v3, v7, v8
	;;#ASMEND
	;;#ASMSTART
	v_med3_f32 v9, v9, v13, v27
v_med3_f32 v4, v4, v13, v27
v_cvt_pk_fp8_f32 v5, v9, v4
	;;#ASMEND
	v_perm_b32 v3, v3, v5, 0x1000504
	buffer_store_b128 v[0:3], v18, s[0:3], 16 offen
	;;#ASMSTART
	s_nop 0
	;;#ASMEND
.LBB39_11:
	s_nop 0
	s_sendmsg sendmsg(MSG_DEALLOC_VGPRS)
	s_endpgm
	.section	.rodata,"a",@progbits
	.p2align	6, 0x0
	.amdhsa_kernel _ZN5aiter37dynamic_per_token_scaled_quant_kernelItDB8_Li32EEEvPT0_PfPT_PKfiPKii
		.amdhsa_group_segment_fixed_size 32
		.amdhsa_private_segment_fixed_size 0
		.amdhsa_kernarg_size 52
		.amdhsa_user_sgpr_count 15
		.amdhsa_user_sgpr_dispatch_ptr 0
		.amdhsa_user_sgpr_queue_ptr 0
		.amdhsa_user_sgpr_kernarg_segment_ptr 1
		.amdhsa_user_sgpr_dispatch_id 0
		.amdhsa_user_sgpr_private_segment_size 0
		.amdhsa_wavefront_size32 1
		.amdhsa_uses_dynamic_stack 0
		.amdhsa_enable_private_segment 0
		.amdhsa_system_sgpr_workgroup_id_x 1
		.amdhsa_system_sgpr_workgroup_id_y 0
		.amdhsa_system_sgpr_workgroup_id_z 0
		.amdhsa_system_sgpr_workgroup_info 0
		.amdhsa_system_vgpr_workitem_id 0
		.amdhsa_next_free_vgpr 29
		.amdhsa_next_free_sgpr 16
		.amdhsa_reserve_vcc 1
		.amdhsa_float_round_mode_32 0
		.amdhsa_float_round_mode_16_64 0
		.amdhsa_float_denorm_mode_32 3
		.amdhsa_float_denorm_mode_16_64 3
		.amdhsa_dx10_clamp 1
		.amdhsa_ieee_mode 1
		.amdhsa_fp16_overflow 0
		.amdhsa_workgroup_processor_mode 1
		.amdhsa_memory_ordered 1
		.amdhsa_forward_progress 0
		.amdhsa_shared_vgpr_count 0
		.amdhsa_exception_fp_ieee_invalid_op 0
		.amdhsa_exception_fp_denorm_src 0
		.amdhsa_exception_fp_ieee_div_zero 0
		.amdhsa_exception_fp_ieee_overflow 0
		.amdhsa_exception_fp_ieee_underflow 0
		.amdhsa_exception_fp_ieee_inexact 0
		.amdhsa_exception_int_div_zero 0
	.end_amdhsa_kernel
	.section	.text._ZN5aiter37dynamic_per_token_scaled_quant_kernelItDB8_Li32EEEvPT0_PfPT_PKfiPKii,"axG",@progbits,_ZN5aiter37dynamic_per_token_scaled_quant_kernelItDB8_Li32EEEvPT0_PfPT_PKfiPKii,comdat
.Lfunc_end39:
	.size	_ZN5aiter37dynamic_per_token_scaled_quant_kernelItDB8_Li32EEEvPT0_PfPT_PKfiPKii, .Lfunc_end39-_ZN5aiter37dynamic_per_token_scaled_quant_kernelItDB8_Li32EEEvPT0_PfPT_PKfiPKii
                                        ; -- End function
	.section	.AMDGPU.csdata,"",@progbits
; Kernel info:
; codeLenInByte = 2812
; NumSgprs: 18
; NumVgprs: 29
; ScratchSize: 0
; MemoryBound: 0
; FloatMode: 240
; IeeeMode: 1
; LDSByteSize: 32 bytes/workgroup (compile time only)
; SGPRBlocks: 2
; VGPRBlocks: 3
; NumSGPRsForWavesPerEU: 18
; NumVGPRsForWavesPerEU: 29
; Occupancy: 16
; WaveLimiterHint : 0
; COMPUTE_PGM_RSRC2:SCRATCH_EN: 0
; COMPUTE_PGM_RSRC2:USER_SGPR: 15
; COMPUTE_PGM_RSRC2:TRAP_HANDLER: 0
; COMPUTE_PGM_RSRC2:TGID_X_EN: 1
; COMPUTE_PGM_RSRC2:TGID_Y_EN: 0
; COMPUTE_PGM_RSRC2:TGID_Z_EN: 0
; COMPUTE_PGM_RSRC2:TIDIG_COMP_CNT: 0
	.section	.text._ZN5aiter37dynamic_per_token_scaled_quant_kernelIDF16_DB8_Li0EEEvPT0_PfPT_PKfiPKii,"axG",@progbits,_ZN5aiter37dynamic_per_token_scaled_quant_kernelIDF16_DB8_Li0EEEvPT0_PfPT_PKfiPKii,comdat
	.protected	_ZN5aiter37dynamic_per_token_scaled_quant_kernelIDF16_DB8_Li0EEEvPT0_PfPT_PKfiPKii ; -- Begin function _ZN5aiter37dynamic_per_token_scaled_quant_kernelIDF16_DB8_Li0EEEvPT0_PfPT_PKfiPKii
	.globl	_ZN5aiter37dynamic_per_token_scaled_quant_kernelIDF16_DB8_Li0EEEvPT0_PfPT_PKfiPKii
	.p2align	8
	.type	_ZN5aiter37dynamic_per_token_scaled_quant_kernelIDF16_DB8_Li0EEEvPT0_PfPT_PKfiPKii,@function
_ZN5aiter37dynamic_per_token_scaled_quant_kernelIDF16_DB8_Li0EEEvPT0_PfPT_PKfiPKii: ; @_ZN5aiter37dynamic_per_token_scaled_quant_kernelIDF16_DB8_Li0EEEvPT0_PfPT_PKfiPKii
; %bb.0:
	s_load_b64 s[2:3], s[0:1], 0x28
	s_mov_b32 s16, s15
	s_waitcnt lgkmcnt(0)
	s_cmp_eq_u64 s[2:3], 0
	s_cselect_b32 s4, -1, 0
	s_delay_alu instid0(SALU_CYCLE_1)
	s_and_b32 vcc_lo, exec_lo, s4
	s_cbranch_vccnz .LBB40_2
; %bb.1:
	s_load_b32 s4, s[0:1], 0x30
	s_load_b32 s2, s[2:3], 0x0
	s_waitcnt lgkmcnt(0)
	s_mul_i32 s2, s2, s4
	s_delay_alu instid0(SALU_CYCLE_1)
	s_cmp_lt_i32 s16, s2
	s_cselect_b32 s4, -1, 0
.LBB40_2:
	s_delay_alu instid0(SALU_CYCLE_1)
	s_and_not1_b32 vcc_lo, exec_lo, s4
	s_cbranch_vccnz .LBB40_23
; %bb.3:
	s_clause 0x1
	s_load_b32 s3, s[0:1], 0x20
	s_load_b64 s[4:5], s[0:1], 0x10
	s_mov_b32 s15, 0
	v_lshlrev_b32_e32 v22, 5, v0
                                        ; implicit-def: $vgpr1_vgpr2_vgpr3_vgpr4_vgpr5_vgpr6_vgpr7_vgpr8
	s_waitcnt lgkmcnt(0)
	s_mul_i32 s14, s16, s3
	s_delay_alu instid0(SALU_CYCLE_1) | instskip(NEXT) | instid1(SALU_CYCLE_1)
	s_lshl_b64 s[6:7], s[14:15], 1
	s_add_u32 s4, s4, s6
	s_addc_u32 s2, s5, s7
	s_add_i32 s5, s3, 15
	s_add_i32 s7, s3, 1
	s_ashr_i32 s6, s5, 31
	s_lshr_b32 s8, s7, 31
	s_lshr_b32 s6, s6, 28
	s_add_i32 s7, s7, s8
	s_add_i32 s5, s5, s6
	s_delay_alu instid0(SALU_CYCLE_1)
	s_ashr_i32 s12, s5, 4
	s_lshl_b32 s5, s7, 1
	v_cmp_gt_u32_e32 vcc_lo, s12, v0
	s_and_b32 s6, s5, -4
	s_and_b32 s5, s2, 0xffff
	s_and_saveexec_b32 s2, vcc_lo
; %bb.4:
	s_mov_b32 s7, -1
	s_clause 0x1
	buffer_load_b128 v[1:4], v22, s[4:7], 0 offen
	buffer_load_b128 v[5:8], v22, s[4:7], 16 offen
; %bb.5:
	s_or_b32 exec_lo, exec_lo, s2
	s_load_b128 s[8:11], s[0:1], 0x0
	v_dual_mov_b32 v18, 0 :: v_dual_add_nc_u32 v17, 0x100, v0
	v_lshl_add_u32 v21, v0, 5, 0x2000
	s_ashr_i32 s13, s12, 31
	s_delay_alu instid0(VALU_DEP_2) | instskip(NEXT) | instid1(VALU_DEP_3)
	v_cmp_gt_u32_e64 s0, s12, v17
	v_dual_mov_b32 v20, v18 :: v_dual_mov_b32 v19, v17
	v_mov_b32_e32 v23, v18
	s_delay_alu instid0(VALU_DEP_3)
	s_and_saveexec_b32 s2, s0
	s_cbranch_execz .LBB40_9
; %bb.6:
	v_dual_mov_b32 v23, 0 :: v_dual_mov_b32 v20, v18
	v_lshl_add_u32 v24, v0, 5, 0x2000
	v_mov_b32_e32 v19, v17
	s_mov_b32 s7, -1
.LBB40_7:                               ; =>This Inner Loop Header: Depth=1
	s_clause 0x1
	buffer_load_b128 v[9:12], v24, s[4:7], 0 offen
	buffer_load_b128 v[13:16], v24, s[4:7], 16 offen
	s_waitcnt vmcnt(3)
	v_lshrrev_b32_e32 v25, 16, v1
	v_cvt_f32_f16_e64 v1, |v1|
	v_cvt_f32_f16_e64 v26, |v2|
	v_lshrrev_b32_e32 v2, 16, v2
	v_cvt_f32_f16_e64 v27, |v3|
	v_cvt_f32_f16_e64 v25, |v25|
	;; [unrolled: 3-line block ×3, first 2 shown]
	v_lshrrev_b32_e32 v4, 16, v4
	v_max3_f32 v1, v23, v1, v25
	v_cvt_f32_f16_e64 v3, |v3|
	s_waitcnt vmcnt(2)
	v_cvt_f32_f16_e64 v23, |v5|
	v_add_co_u32 v19, s1, 0x100, v19
	v_max3_f32 v1, v1, v26, v2
	v_lshrrev_b32_e32 v2, 16, v5
	v_cvt_f32_f16_e64 v4, |v4|
	v_cvt_f32_f16_e64 v5, |v6|
	v_add_co_ci_u32_e64 v20, s1, 0, v20, s1
	v_max3_f32 v1, v1, v27, v3
	v_lshrrev_b32_e32 v3, 16, v6
	v_cvt_f32_f16_e64 v2, |v2|
	v_cvt_f32_f16_e64 v6, |v7|
	v_cmp_le_u64_e64 s1, s[12:13], v[19:20]
	v_max3_f32 v1, v1, v28, v4
	v_lshrrev_b32_e32 v4, 16, v7
	v_cvt_f32_f16_e64 v3, |v3|
	v_lshrrev_b32_e32 v7, 16, v8
	v_add_nc_u32_e32 v24, 0x2000, v24
	v_max3_f32 v1, v1, v23, v2
	v_cvt_f32_f16_e64 v2, |v4|
	s_or_b32 s15, s1, s15
	v_cvt_f32_f16_e64 v4, |v7|
	s_delay_alu instid0(VALU_DEP_3) | instskip(SKIP_1) | instid1(VALU_DEP_2)
	v_max3_f32 v1, v1, v5, v3
	v_cvt_f32_f16_e64 v3, |v8|
	v_max3_f32 v1, v1, v6, v2
	s_delay_alu instid0(VALU_DEP_1)
	v_max3_f32 v23, v1, v3, v4
	s_waitcnt vmcnt(0)
	v_dual_mov_b32 v1, v9 :: v_dual_mov_b32 v2, v10
	v_dual_mov_b32 v3, v11 :: v_dual_mov_b32 v4, v12
	;; [unrolled: 1-line block ×4, first 2 shown]
	s_and_not1_b32 exec_lo, exec_lo, s15
	s_cbranch_execnz .LBB40_7
; %bb.8:
	s_or_b32 exec_lo, exec_lo, s15
	v_dual_mov_b32 v1, v9 :: v_dual_mov_b32 v2, v10
	v_dual_mov_b32 v3, v11 :: v_dual_mov_b32 v4, v12
	;; [unrolled: 1-line block ×4, first 2 shown]
.LBB40_9:
	s_or_b32 exec_lo, exec_lo, s2
	v_add_co_u32 v9, s1, 0xffffff00, v19
	s_delay_alu instid0(VALU_DEP_1) | instskip(SKIP_1) | instid1(VALU_DEP_1)
	v_add_co_ci_u32_e64 v10, s1, -1, v20, s1
	s_mov_b32 s2, exec_lo
	v_cmpx_gt_u64_e64 s[12:13], v[9:10]
	s_cbranch_execz .LBB40_11
; %bb.10:
	s_waitcnt vmcnt(1)
	v_lshrrev_b32_e32 v9, 16, v1
	v_cvt_f32_f16_e64 v1, |v1|
	v_lshrrev_b32_e32 v10, 16, v2
	v_cvt_f32_f16_e64 v2, |v2|
	;; [unrolled: 2-line block ×3, first 2 shown]
	v_cvt_f32_f16_e64 v3, |v3|
	v_cvt_f32_f16_e64 v10, |v10|
	s_delay_alu instid0(VALU_DEP_4) | instskip(NEXT) | instid1(VALU_DEP_4)
	v_cvt_f32_f16_e64 v11, |v11|
	v_max3_f32 v1, v23, v1, v9
	v_lshrrev_b32_e32 v9, 16, v4
	s_delay_alu instid0(VALU_DEP_2)
	v_max3_f32 v1, v1, v2, v10
	v_cvt_f32_f16_e64 v2, |v4|
	s_waitcnt vmcnt(0)
	v_lshrrev_b32_e32 v4, 16, v5
	v_cvt_f32_f16_e64 v9, |v9|
	v_max3_f32 v1, v1, v3, v11
	v_cvt_f32_f16_e64 v3, |v5|
	v_lshrrev_b32_e32 v5, 16, v6
	v_cvt_f32_f16_e64 v4, |v4|
	s_delay_alu instid0(VALU_DEP_4) | instskip(SKIP_3) | instid1(VALU_DEP_4)
	v_max3_f32 v1, v1, v2, v9
	v_cvt_f32_f16_e64 v2, |v6|
	v_lshrrev_b32_e32 v6, 16, v7
	v_cvt_f32_f16_e64 v5, |v5|
	v_max3_f32 v1, v1, v3, v4
	v_cvt_f32_f16_e64 v3, |v7|
	s_delay_alu instid0(VALU_DEP_4) | instskip(NEXT) | instid1(VALU_DEP_3)
	v_cvt_f32_f16_e64 v4, |v6|
	v_max3_f32 v1, v1, v2, v5
	v_lshrrev_b32_e32 v2, 16, v8
	v_cvt_f32_f16_e64 v5, |v8|
	s_delay_alu instid0(VALU_DEP_3) | instskip(NEXT) | instid1(VALU_DEP_3)
	v_max3_f32 v1, v1, v3, v4
	v_cvt_f32_f16_e64 v2, |v2|
	s_delay_alu instid0(VALU_DEP_1)
	v_max3_f32 v23, v1, v5, v2
.LBB40_11:
	s_or_b32 exec_lo, exec_lo, s2
	s_waitcnt vmcnt(1)
	s_delay_alu instid0(VALU_DEP_1) | instskip(SKIP_2) | instid1(VALU_DEP_2)
	v_mov_b32_dpp v1, v23 quad_perm:[1,0,3,2] row_mask:0xf bank_mask:0xf
	v_and_b32_e32 v3, 31, v0
	s_mov_b32 s7, exec_lo
	v_cmp_gt_f32_e64 s1, v23, v1
	s_delay_alu instid0(VALU_DEP_1) | instskip(NEXT) | instid1(VALU_DEP_1)
	v_cndmask_b32_e64 v1, v1, v23, s1
	v_mov_b32_dpp v2, v1 quad_perm:[2,3,0,1] row_mask:0xf bank_mask:0xf
	s_delay_alu instid0(VALU_DEP_1) | instskip(NEXT) | instid1(VALU_DEP_1)
	v_cmp_gt_f32_e64 s1, v1, v2
	v_cndmask_b32_e64 v1, v2, v1, s1
	s_delay_alu instid0(VALU_DEP_1) | instskip(NEXT) | instid1(VALU_DEP_1)
	v_mov_b32_dpp v2, v1 row_xmask:7 row_mask:0xf bank_mask:0xf
	v_cmp_gt_f32_e64 s1, v1, v2
	s_delay_alu instid0(VALU_DEP_1) | instskip(NEXT) | instid1(VALU_DEP_1)
	v_cndmask_b32_e64 v1, v2, v1, s1
	v_mov_b32_dpp v2, v1 row_xmask:15 row_mask:0xf bank_mask:0xf
	s_delay_alu instid0(VALU_DEP_1)
	v_cmp_gt_f32_e64 s1, v1, v2
	v_cmpx_eq_u32_e32 31, v3
	s_cbranch_execz .LBB40_13
; %bb.12:
	s_delay_alu instid0(VALU_DEP_2) | instskip(SKIP_2) | instid1(VALU_DEP_2)
	v_cndmask_b32_e64 v1, v2, v1, s1
	s_mov_b32 s1, 0x76543210
	v_lshrrev_b32_e32 v2, 3, v0
	v_permlanex16_b32 v3, v1, s1, 0xfedcba98 op_sel:[1,1]
	s_delay_alu instid0(VALU_DEP_2) | instskip(NEXT) | instid1(VALU_DEP_2)
	v_and_b32_e32 v2, 0x7c, v2
	v_cmp_gt_f32_e64 s1, v1, v3
	s_delay_alu instid0(VALU_DEP_1)
	v_cndmask_b32_e64 v1, v3, v1, s1
	ds_store_b32 v2, v1
.LBB40_13:
	s_or_b32 exec_lo, exec_lo, s7
	v_and_b32_e32 v1, 7, v0
	s_waitcnt vmcnt(0) lgkmcnt(0)
	s_barrier
	buffer_gl0_inv
	s_mov_b32 s2, exec_lo
	v_lshlrev_b32_e32 v1, 2, v1
	ds_load_b32 v1, v1
	s_waitcnt lgkmcnt(0)
	v_mov_b32_dpp v2, v1 quad_perm:[1,0,3,2] row_mask:0xf bank_mask:0xf
	s_delay_alu instid0(VALU_DEP_1) | instskip(NEXT) | instid1(VALU_DEP_1)
	v_cmp_gt_f32_e64 s1, v1, v2
	v_cndmask_b32_e64 v1, v2, v1, s1
	s_delay_alu instid0(VALU_DEP_1) | instskip(NEXT) | instid1(VALU_DEP_1)
	v_mov_b32_dpp v2, v1 quad_perm:[2,3,0,1] row_mask:0xf bank_mask:0xf
	v_cmp_gt_f32_e64 s1, v1, v2
	s_delay_alu instid0(VALU_DEP_1) | instskip(NEXT) | instid1(VALU_DEP_1)
	v_cndmask_b32_e64 v1, v2, v1, s1
	v_mov_b32_dpp v2, v1 row_xmask:7 row_mask:0xf bank_mask:0xf
	s_delay_alu instid0(VALU_DEP_1) | instskip(NEXT) | instid1(VALU_DEP_1)
	v_cmp_gt_f32_e64 s1, v1, v2
	v_cndmask_b32_e64 v1, v2, v1, s1
	s_delay_alu instid0(VALU_DEP_1)
	v_mul_f32_e32 v9, 0x3b124925, v1
	v_cmpx_eq_u32_e32 0, v0
	s_cbranch_execz .LBB40_15
; %bb.14:
	s_ashr_i32 s17, s16, 31
	v_mov_b32_e32 v1, 0
	s_lshl_b64 s[16:17], s[16:17], 2
	s_delay_alu instid0(SALU_CYCLE_1)
	s_add_u32 s10, s10, s16
	s_addc_u32 s11, s11, s17
	global_store_b32 v1, v9, s[10:11]
.LBB40_15:
	s_or_b32 exec_lo, exec_lo, s2
                                        ; implicit-def: $vgpr1_vgpr2_vgpr3_vgpr4_vgpr5_vgpr6_vgpr7_vgpr8
	s_and_saveexec_b32 s1, vcc_lo
; %bb.16:
	s_mov_b32 s7, -1
	s_clause 0x1
	buffer_load_b128 v[1:4], v22, s[4:7], 0 offen
	buffer_load_b128 v[5:8], v22, s[4:7], 16 offen
; %bb.17:
	s_or_b32 exec_lo, exec_lo, s1
	s_add_u32 s8, s8, s14
	s_addc_u32 s1, s9, 0
	s_add_i32 s2, s3, 3
	v_rcp_f32_e32 v19, v9
	s_ashr_i32 s3, s2, 31
	s_and_b32 s9, s1, 0xffff
	s_lshr_b32 s3, s3, 30
	s_delay_alu instid0(SALU_CYCLE_1) | instskip(NEXT) | instid1(SALU_CYCLE_1)
	s_add_i32 s2, s2, s3
	s_and_b32 s10, s2, -4
	s_and_saveexec_b32 s1, s0
	s_cbranch_execz .LBB40_21
; %bb.18:
	v_lshlrev_b32_e32 v0, 4, v0
	v_mov_b32_e32 v20, 0xc3e00000
	v_mov_b32_e32 v22, 0x43e00000
	s_mov_b32 s7, -1
	s_mov_b32 s0, 0
	s_mov_b32 s11, s7
.LBB40_19:                              ; =>This Inner Loop Header: Depth=1
	s_clause 0x1
	buffer_load_b128 v[9:12], v21, s[4:7], 0 offen
	buffer_load_b128 v[13:16], v21, s[4:7], 16 offen
	s_waitcnt vmcnt(3)
	v_cvt_f32_f16_e32 v23, v1
	v_lshrrev_b32_e32 v1, 16, v1
	v_cvt_f32_f16_e32 v24, v2
	v_lshrrev_b32_e32 v2, 16, v2
	;; [unrolled: 2-line block ×4, first 2 shown]
	s_waitcnt vmcnt(2)
	v_cvt_f32_f16_e32 v27, v5
	v_lshrrev_b32_e32 v5, 16, v5
	v_cvt_f32_f16_e32 v28, v6
	v_lshrrev_b32_e32 v6, 16, v6
	v_cvt_f32_f16_e32 v1, v1
	v_cvt_f32_f16_e32 v29, v7
	v_lshrrev_b32_e32 v7, 16, v7
	v_cvt_f32_f16_e32 v2, v2
	v_cvt_f32_f16_e32 v30, v8
	v_lshrrev_b32_e32 v8, 16, v8
	v_cvt_f32_f16_e32 v3, v3
	v_cvt_f32_f16_e32 v4, v4
	v_cvt_f32_f16_e32 v5, v5
	;; [unrolled: 1-line block ×3, first 2 shown]
	v_mul_f32_e32 v23, v19, v23
	v_mul_f32_e32 v1, v19, v1
	v_cvt_f32_f16_e32 v7, v7
	v_dual_mul_f32 v24, v19, v24 :: v_dual_add_nc_u32 v21, 0x2000, v21
	v_mul_f32_e32 v2, v19, v2
	;;#ASMSTART
	v_med3_f32 v23, v23, v20, v22
v_med3_f32 v1, v1, v20, v22
v_cvt_pk_fp8_f32 v31, v23, v1
	;;#ASMEND
	v_cvt_f32_f16_e32 v8, v8
	v_mul_f32_e32 v25, v19, v25
	v_mul_f32_e32 v3, v19, v3
	;;#ASMSTART
	v_med3_f32 v24, v24, v20, v22
v_med3_f32 v2, v2, v20, v22
v_cvt_pk_fp8_f32 v1, v24, v2
	;;#ASMEND
	v_mul_f32_e32 v26, v19, v26
	v_mul_f32_e32 v4, v19, v4
	;;#ASMSTART
	v_med3_f32 v25, v25, v20, v22
v_med3_f32 v3, v3, v20, v22
v_cvt_pk_fp8_f32 v2, v25, v3
	;;#ASMEND
	;; [unrolled: 7-line block ×6, first 2 shown]
	;;#ASMSTART
	v_med3_f32 v30, v30, v20, v22
v_med3_f32 v8, v8, v20, v22
v_cvt_pk_fp8_f32 v7, v30, v8
	;;#ASMEND
	v_perm_b32 v8, v1, v31, 0x5040100
	v_add_co_u32 v17, vcc_lo, 0x100, v17
	v_add_co_ci_u32_e32 v18, vcc_lo, 0, v18, vcc_lo
	v_perm_b32 v2, v2, v3, 0x1000504
	v_perm_b32 v3, v4, v5, 0x1000504
	;; [unrolled: 1-line block ×4, first 2 shown]
	v_cmp_le_u64_e32 vcc_lo, s[12:13], v[17:18]
	buffer_store_b128 v[1:4], v0, s[8:11], 0 offen
	v_add_nc_u32_e32 v0, 0x1000, v0
	s_or_b32 s0, vcc_lo, s0
	;;#ASMSTART
	s_nop 0
	;;#ASMEND
	s_waitcnt vmcnt(0)
	v_dual_mov_b32 v1, v9 :: v_dual_mov_b32 v6, v14
	v_dual_mov_b32 v2, v10 :: v_dual_mov_b32 v3, v11
	;; [unrolled: 1-line block ×4, first 2 shown]
	s_and_not1_b32 exec_lo, exec_lo, s0
	s_cbranch_execnz .LBB40_19
; %bb.20:
	s_or_b32 exec_lo, exec_lo, s0
	v_dual_mov_b32 v1, v9 :: v_dual_mov_b32 v2, v10
	v_dual_mov_b32 v3, v11 :: v_dual_mov_b32 v4, v12
	;; [unrolled: 1-line block ×4, first 2 shown]
.LBB40_21:
	s_or_b32 exec_lo, exec_lo, s1
	v_add_co_u32 v9, vcc_lo, 0xffffff00, v17
	v_add_co_ci_u32_e32 v10, vcc_lo, -1, v18, vcc_lo
	s_mov_b32 s0, exec_lo
	s_delay_alu instid0(VALU_DEP_1)
	v_cmpx_gt_u64_e64 s[12:13], v[9:10]
	s_cbranch_execz .LBB40_23
; %bb.22:
	s_waitcnt vmcnt(1)
	v_lshrrev_b32_e32 v0, 16, v1
	v_lshrrev_b32_e32 v10, 16, v2
	v_cvt_f32_f16_e32 v1, v1
	v_lshrrev_b32_e32 v11, 16, v3
	v_cvt_f32_f16_e32 v2, v2
	v_cvt_f32_f16_e32 v0, v0
	;; [unrolled: 1-line block ×3, first 2 shown]
	v_lshrrev_b32_e32 v12, 16, v4
	s_waitcnt vmcnt(0)
	v_lshrrev_b32_e32 v13, 16, v5
	v_dual_mul_f32 v0, v19, v0 :: v_dual_lshlrev_b32 v9, 4, v9
	v_cvt_f32_f16_e32 v3, v3
	v_cvt_f32_f16_e32 v11, v11
	v_lshrrev_b32_e32 v14, 16, v6
	v_lshrrev_b32_e32 v15, 16, v7
	v_dual_mul_f32 v1, v19, v1 :: v_dual_mov_b32 v16, 0xc3e00000
	v_lshrrev_b32_e32 v18, 16, v8
	v_dual_mov_b32 v17, 0x43e00000 :: v_dual_mul_f32 v2, v19, v2
	v_mul_f32_e32 v10, v19, v10
	;;#ASMSTART
	v_med3_f32 v1, v1, v16, v17
v_med3_f32 v0, v0, v16, v17
v_cvt_pk_fp8_f32 v20, v1, v0
	;;#ASMEND
	v_cvt_f32_f16_e32 v4, v4
	v_cvt_f32_f16_e32 v12, v12
	;;#ASMSTART
	v_med3_f32 v2, v2, v16, v17
v_med3_f32 v10, v10, v16, v17
v_cvt_pk_fp8_f32 v0, v2, v10
	;;#ASMEND
	v_perm_b32 v1, v0, v20, 0x5040100
	v_cvt_f32_f16_e32 v5, v5
	v_cvt_f32_f16_e32 v13, v13
	;; [unrolled: 1-line block ×6, first 2 shown]
	v_mul_f32_e32 v2, v19, v3
	v_mul_f32_e32 v3, v19, v11
	v_cvt_f32_f16_e32 v11, v18
	v_cvt_f32_f16_e32 v8, v8
	v_mul_f32_e32 v4, v19, v4
	v_mul_f32_e32 v10, v19, v12
	v_perm_b32 v0, v1, v0, 0x1060504
	;;#ASMSTART
	v_med3_f32 v2, v2, v16, v17
v_med3_f32 v3, v3, v16, v17
v_cvt_pk_fp8_f32 v1, v2, v3
	;;#ASMEND
	;;#ASMSTART
	v_med3_f32 v4, v4, v16, v17
v_med3_f32 v10, v10, v16, v17
v_cvt_pk_fp8_f32 v2, v4, v10
	;;#ASMEND
	v_perm_b32 v1, v1, v2, 0x1000504
	v_mul_f32_e32 v2, v19, v5
	v_mul_f32_e32 v3, v19, v13
	;; [unrolled: 1-line block ×7, first 2 shown]
	;;#ASMSTART
	v_med3_f32 v2, v2, v16, v17
v_med3_f32 v3, v3, v16, v17
v_cvt_pk_fp8_f32 v11, v2, v3
	;;#ASMEND
	v_mul_f32_e32 v8, v19, v8
	;;#ASMSTART
	v_med3_f32 v4, v4, v16, v17
v_med3_f32 v5, v5, v16, v17
v_cvt_pk_fp8_f32 v2, v4, v5
	;;#ASMEND
	;;#ASMSTART
	v_med3_f32 v6, v6, v16, v17
v_med3_f32 v7, v7, v16, v17
v_cvt_pk_fp8_f32 v3, v6, v7
	;;#ASMEND
	v_perm_b32 v2, v11, v2, 0x1000504
	;;#ASMSTART
	v_med3_f32 v8, v8, v16, v17
v_med3_f32 v10, v10, v16, v17
v_cvt_pk_fp8_f32 v4, v8, v10
	;;#ASMEND
	v_perm_b32 v3, v3, v4, 0x1000504
	s_mov_b32 s11, -1
	buffer_store_b128 v[0:3], v9, s[8:11], 0 offen
	;;#ASMSTART
	s_nop 0
	;;#ASMEND
.LBB40_23:
	s_nop 0
	s_sendmsg sendmsg(MSG_DEALLOC_VGPRS)
	s_endpgm
	.section	.rodata,"a",@progbits
	.p2align	6, 0x0
	.amdhsa_kernel _ZN5aiter37dynamic_per_token_scaled_quant_kernelIDF16_DB8_Li0EEEvPT0_PfPT_PKfiPKii
		.amdhsa_group_segment_fixed_size 32
		.amdhsa_private_segment_fixed_size 0
		.amdhsa_kernarg_size 52
		.amdhsa_user_sgpr_count 15
		.amdhsa_user_sgpr_dispatch_ptr 0
		.amdhsa_user_sgpr_queue_ptr 0
		.amdhsa_user_sgpr_kernarg_segment_ptr 1
		.amdhsa_user_sgpr_dispatch_id 0
		.amdhsa_user_sgpr_private_segment_size 0
		.amdhsa_wavefront_size32 1
		.amdhsa_uses_dynamic_stack 0
		.amdhsa_enable_private_segment 0
		.amdhsa_system_sgpr_workgroup_id_x 1
		.amdhsa_system_sgpr_workgroup_id_y 0
		.amdhsa_system_sgpr_workgroup_id_z 0
		.amdhsa_system_sgpr_workgroup_info 0
		.amdhsa_system_vgpr_workitem_id 0
		.amdhsa_next_free_vgpr 32
		.amdhsa_next_free_sgpr 18
		.amdhsa_reserve_vcc 1
		.amdhsa_float_round_mode_32 0
		.amdhsa_float_round_mode_16_64 0
		.amdhsa_float_denorm_mode_32 3
		.amdhsa_float_denorm_mode_16_64 3
		.amdhsa_dx10_clamp 1
		.amdhsa_ieee_mode 1
		.amdhsa_fp16_overflow 0
		.amdhsa_workgroup_processor_mode 1
		.amdhsa_memory_ordered 1
		.amdhsa_forward_progress 0
		.amdhsa_shared_vgpr_count 0
		.amdhsa_exception_fp_ieee_invalid_op 0
		.amdhsa_exception_fp_denorm_src 0
		.amdhsa_exception_fp_ieee_div_zero 0
		.amdhsa_exception_fp_ieee_overflow 0
		.amdhsa_exception_fp_ieee_underflow 0
		.amdhsa_exception_fp_ieee_inexact 0
		.amdhsa_exception_int_div_zero 0
	.end_amdhsa_kernel
	.section	.text._ZN5aiter37dynamic_per_token_scaled_quant_kernelIDF16_DB8_Li0EEEvPT0_PfPT_PKfiPKii,"axG",@progbits,_ZN5aiter37dynamic_per_token_scaled_quant_kernelIDF16_DB8_Li0EEEvPT0_PfPT_PKfiPKii,comdat
.Lfunc_end40:
	.size	_ZN5aiter37dynamic_per_token_scaled_quant_kernelIDF16_DB8_Li0EEEvPT0_PfPT_PKfiPKii, .Lfunc_end40-_ZN5aiter37dynamic_per_token_scaled_quant_kernelIDF16_DB8_Li0EEEvPT0_PfPT_PKfiPKii
                                        ; -- End function
	.section	.AMDGPU.csdata,"",@progbits
; Kernel info:
; codeLenInByte = 3208
; NumSgprs: 20
; NumVgprs: 32
; ScratchSize: 0
; MemoryBound: 0
; FloatMode: 240
; IeeeMode: 1
; LDSByteSize: 32 bytes/workgroup (compile time only)
; SGPRBlocks: 2
; VGPRBlocks: 3
; NumSGPRsForWavesPerEU: 20
; NumVGPRsForWavesPerEU: 32
; Occupancy: 16
; WaveLimiterHint : 0
; COMPUTE_PGM_RSRC2:SCRATCH_EN: 0
; COMPUTE_PGM_RSRC2:USER_SGPR: 15
; COMPUTE_PGM_RSRC2:TRAP_HANDLER: 0
; COMPUTE_PGM_RSRC2:TGID_X_EN: 1
; COMPUTE_PGM_RSRC2:TGID_Y_EN: 0
; COMPUTE_PGM_RSRC2:TGID_Z_EN: 0
; COMPUTE_PGM_RSRC2:TIDIG_COMP_CNT: 0
	.section	.text._ZN5aiter37dynamic_per_token_scaled_quant_kernelItDB8_Li0EEEvPT0_PfPT_PKfiPKii,"axG",@progbits,_ZN5aiter37dynamic_per_token_scaled_quant_kernelItDB8_Li0EEEvPT0_PfPT_PKfiPKii,comdat
	.protected	_ZN5aiter37dynamic_per_token_scaled_quant_kernelItDB8_Li0EEEvPT0_PfPT_PKfiPKii ; -- Begin function _ZN5aiter37dynamic_per_token_scaled_quant_kernelItDB8_Li0EEEvPT0_PfPT_PKfiPKii
	.globl	_ZN5aiter37dynamic_per_token_scaled_quant_kernelItDB8_Li0EEEvPT0_PfPT_PKfiPKii
	.p2align	8
	.type	_ZN5aiter37dynamic_per_token_scaled_quant_kernelItDB8_Li0EEEvPT0_PfPT_PKfiPKii,@function
_ZN5aiter37dynamic_per_token_scaled_quant_kernelItDB8_Li0EEEvPT0_PfPT_PKfiPKii: ; @_ZN5aiter37dynamic_per_token_scaled_quant_kernelItDB8_Li0EEEvPT0_PfPT_PKfiPKii
; %bb.0:
	s_load_b64 s[2:3], s[0:1], 0x28
	s_mov_b32 s16, s15
	s_waitcnt lgkmcnt(0)
	s_cmp_eq_u64 s[2:3], 0
	s_cselect_b32 s4, -1, 0
	s_delay_alu instid0(SALU_CYCLE_1)
	s_and_b32 vcc_lo, exec_lo, s4
	s_cbranch_vccnz .LBB41_2
; %bb.1:
	s_load_b32 s4, s[0:1], 0x30
	s_load_b32 s2, s[2:3], 0x0
	s_waitcnt lgkmcnt(0)
	s_mul_i32 s2, s2, s4
	s_delay_alu instid0(SALU_CYCLE_1)
	s_cmp_lt_i32 s16, s2
	s_cselect_b32 s4, -1, 0
.LBB41_2:
	s_delay_alu instid0(SALU_CYCLE_1)
	s_and_not1_b32 vcc_lo, exec_lo, s4
	s_cbranch_vccnz .LBB41_23
; %bb.3:
	s_clause 0x1
	s_load_b32 s3, s[0:1], 0x20
	s_load_b64 s[4:5], s[0:1], 0x10
	s_mov_b32 s15, 0
	v_lshlrev_b32_e32 v22, 5, v0
                                        ; implicit-def: $vgpr1_vgpr2_vgpr3_vgpr4_vgpr5_vgpr6_vgpr7_vgpr8
	s_waitcnt lgkmcnt(0)
	s_mul_i32 s14, s16, s3
	s_delay_alu instid0(SALU_CYCLE_1) | instskip(NEXT) | instid1(SALU_CYCLE_1)
	s_lshl_b64 s[6:7], s[14:15], 1
	s_add_u32 s4, s4, s6
	s_addc_u32 s2, s5, s7
	s_add_i32 s5, s3, 15
	s_add_i32 s7, s3, 1
	s_ashr_i32 s6, s5, 31
	s_lshr_b32 s8, s7, 31
	s_lshr_b32 s6, s6, 28
	s_add_i32 s7, s7, s8
	s_add_i32 s5, s5, s6
	s_delay_alu instid0(SALU_CYCLE_1)
	s_ashr_i32 s12, s5, 4
	s_lshl_b32 s5, s7, 1
	v_cmp_gt_u32_e32 vcc_lo, s12, v0
	s_and_b32 s6, s5, -4
	s_and_b32 s5, s2, 0xffff
	s_and_saveexec_b32 s2, vcc_lo
; %bb.4:
	s_mov_b32 s7, -1
	s_clause 0x1
	buffer_load_b128 v[1:4], v22, s[4:7], 0 offen
	buffer_load_b128 v[5:8], v22, s[4:7], 16 offen
; %bb.5:
	s_or_b32 exec_lo, exec_lo, s2
	s_load_b128 s[8:11], s[0:1], 0x0
	v_dual_mov_b32 v18, 0 :: v_dual_add_nc_u32 v17, 0x100, v0
	v_lshl_add_u32 v21, v0, 5, 0x2000
	s_ashr_i32 s13, s12, 31
	s_delay_alu instid0(VALU_DEP_2) | instskip(NEXT) | instid1(VALU_DEP_3)
	v_cmp_gt_u32_e64 s0, s12, v17
	v_dual_mov_b32 v20, v18 :: v_dual_mov_b32 v19, v17
	v_mov_b32_e32 v23, v18
	s_delay_alu instid0(VALU_DEP_3)
	s_and_saveexec_b32 s2, s0
	s_cbranch_execz .LBB41_9
; %bb.6:
	v_dual_mov_b32 v23, 0 :: v_dual_mov_b32 v20, v18
	v_lshl_add_u32 v24, v0, 5, 0x2000
	v_mov_b32_e32 v19, v17
	s_mov_b32 s7, -1
.LBB41_7:                               ; =>This Inner Loop Header: Depth=1
	s_clause 0x1
	buffer_load_b128 v[9:12], v24, s[4:7], 0 offen
	buffer_load_b128 v[13:16], v24, s[4:7], 16 offen
	s_waitcnt vmcnt(3)
	v_and_b32_e32 v25, 0xffff, v1
	v_lshrrev_b32_e32 v1, 16, v1
	v_and_b32_e32 v26, 0xffff, v2
	v_lshrrev_b32_e32 v2, 16, v2
	v_and_b32_e32 v27, 0xffff, v3
	v_cvt_f32_u32_e32 v25, v25
	v_cvt_f32_u32_e32 v1, v1
	v_lshrrev_b32_e32 v3, 16, v3
	v_cvt_f32_u32_e32 v26, v26
	v_cvt_f32_u32_e32 v2, v2
	v_and_b32_e32 v28, 0xffff, v4
	v_max3_f32 v1, v23, v25, v1
	v_lshrrev_b32_e32 v4, 16, v4
	v_cvt_f32_u32_e32 v25, v27
	v_cvt_f32_u32_e32 v3, v3
	s_waitcnt vmcnt(2)
	v_and_b32_e32 v29, 0xffff, v5
	v_max3_f32 v1, v1, v26, v2
	v_lshrrev_b32_e32 v5, 16, v5
	v_and_b32_e32 v23, 0xffff, v7
	v_lshrrev_b32_e32 v2, 16, v7
	v_cvt_f32_u32_e32 v7, v28
	v_cvt_f32_u32_e32 v4, v4
	v_max3_f32 v1, v1, v25, v3
	v_and_b32_e32 v30, 0xffff, v6
	v_lshrrev_b32_e32 v6, 16, v6
	v_cvt_f32_u32_e32 v25, v29
	v_cvt_f32_u32_e32 v5, v5
	v_max3_f32 v1, v1, v7, v4
	v_cvt_f32_u32_e32 v7, v30
	v_cvt_f32_u32_e32 v6, v6
	v_and_b32_e32 v3, 0xffff, v8
	v_lshrrev_b32_e32 v4, 16, v8
	v_max3_f32 v1, v1, v25, v5
	v_cvt_f32_u32_e32 v5, v23
	v_cvt_f32_u32_e32 v2, v2
	v_add_co_u32 v19, s1, 0x100, v19
	s_delay_alu instid0(VALU_DEP_4) | instskip(SKIP_3) | instid1(VALU_DEP_4)
	v_max3_f32 v1, v1, v7, v6
	v_add_co_ci_u32_e64 v20, s1, 0, v20, s1
	v_cvt_f32_u32_e32 v3, v3
	v_cvt_f32_u32_e32 v4, v4
	v_max3_f32 v1, v1, v5, v2
	s_delay_alu instid0(VALU_DEP_4) | instskip(SKIP_1) | instid1(VALU_DEP_3)
	v_cmp_le_u64_e64 s1, s[12:13], v[19:20]
	v_add_nc_u32_e32 v24, 0x2000, v24
	v_max3_f32 v23, v1, v3, v4
	s_delay_alu instid0(VALU_DEP_3)
	s_or_b32 s15, s1, s15
	s_waitcnt vmcnt(0)
	v_mov_b32_e32 v1, v9
	v_dual_mov_b32 v7, v15 :: v_dual_mov_b32 v2, v10
	v_dual_mov_b32 v3, v11 :: v_dual_mov_b32 v4, v12
	;; [unrolled: 1-line block ×3, first 2 shown]
	v_mov_b32_e32 v8, v16
	s_and_not1_b32 exec_lo, exec_lo, s15
	s_cbranch_execnz .LBB41_7
; %bb.8:
	s_or_b32 exec_lo, exec_lo, s15
	v_dual_mov_b32 v1, v9 :: v_dual_mov_b32 v2, v10
	v_dual_mov_b32 v3, v11 :: v_dual_mov_b32 v4, v12
	;; [unrolled: 1-line block ×4, first 2 shown]
.LBB41_9:
	s_or_b32 exec_lo, exec_lo, s2
	v_add_co_u32 v9, s1, 0xffffff00, v19
	s_delay_alu instid0(VALU_DEP_1) | instskip(SKIP_1) | instid1(VALU_DEP_1)
	v_add_co_ci_u32_e64 v10, s1, -1, v20, s1
	s_mov_b32 s2, exec_lo
	v_cmpx_gt_u64_e64 s[12:13], v[9:10]
	s_cbranch_execz .LBB41_11
; %bb.10:
	s_waitcnt vmcnt(1)
	v_and_b32_e32 v9, 0xffff, v1
	v_lshrrev_b32_e32 v1, 16, v1
	v_and_b32_e32 v10, 0xffff, v2
	v_lshrrev_b32_e32 v2, 16, v2
	v_and_b32_e32 v11, 0xffff, v3
	v_cvt_f32_u32_e32 v9, v9
	v_cvt_f32_u32_e32 v1, v1
	v_lshrrev_b32_e32 v3, 16, v3
	v_cvt_f32_u32_e32 v10, v10
	v_cvt_f32_u32_e32 v2, v2
	;; [unrolled: 1-line block ×3, first 2 shown]
	v_max3_f32 v1, v23, v9, v1
	v_and_b32_e32 v9, 0xffff, v4
	v_lshrrev_b32_e32 v4, 16, v4
	v_cvt_f32_u32_e32 v3, v3
	s_delay_alu instid0(VALU_DEP_4)
	v_max3_f32 v1, v1, v10, v2
	s_waitcnt vmcnt(0)
	v_and_b32_e32 v2, 0xffff, v5
	v_lshrrev_b32_e32 v5, 16, v5
	v_cvt_f32_u32_e32 v9, v9
	v_cvt_f32_u32_e32 v4, v4
	v_max3_f32 v1, v1, v11, v3
	v_and_b32_e32 v3, 0xffff, v6
	v_lshrrev_b32_e32 v6, 16, v6
	v_cvt_f32_u32_e32 v2, v2
	v_cvt_f32_u32_e32 v5, v5
	v_max3_f32 v1, v1, v9, v4
	;; [unrolled: 5-line block ×3, first 2 shown]
	v_and_b32_e32 v2, 0xffff, v8
	v_cvt_f32_u32_e32 v4, v4
	v_cvt_f32_u32_e32 v5, v7
	s_delay_alu instid0(VALU_DEP_4) | instskip(SKIP_2) | instid1(VALU_DEP_3)
	v_max3_f32 v1, v1, v3, v6
	v_lshrrev_b32_e32 v3, 16, v8
	v_cvt_f32_u32_e32 v2, v2
	v_max3_f32 v1, v1, v4, v5
	s_delay_alu instid0(VALU_DEP_3) | instskip(NEXT) | instid1(VALU_DEP_1)
	v_cvt_f32_u32_e32 v3, v3
	v_max3_f32 v23, v1, v2, v3
.LBB41_11:
	s_or_b32 exec_lo, exec_lo, s2
	s_waitcnt vmcnt(1)
	s_delay_alu instid0(VALU_DEP_1) | instskip(SKIP_2) | instid1(VALU_DEP_2)
	v_mov_b32_dpp v1, v23 quad_perm:[1,0,3,2] row_mask:0xf bank_mask:0xf
	v_and_b32_e32 v3, 31, v0
	s_mov_b32 s7, exec_lo
	v_cmp_gt_f32_e64 s1, v23, v1
	s_delay_alu instid0(VALU_DEP_1) | instskip(NEXT) | instid1(VALU_DEP_1)
	v_cndmask_b32_e64 v1, v1, v23, s1
	v_mov_b32_dpp v2, v1 quad_perm:[2,3,0,1] row_mask:0xf bank_mask:0xf
	s_delay_alu instid0(VALU_DEP_1) | instskip(NEXT) | instid1(VALU_DEP_1)
	v_cmp_gt_f32_e64 s1, v1, v2
	v_cndmask_b32_e64 v1, v2, v1, s1
	s_delay_alu instid0(VALU_DEP_1) | instskip(NEXT) | instid1(VALU_DEP_1)
	v_mov_b32_dpp v2, v1 row_xmask:7 row_mask:0xf bank_mask:0xf
	v_cmp_gt_f32_e64 s1, v1, v2
	s_delay_alu instid0(VALU_DEP_1) | instskip(NEXT) | instid1(VALU_DEP_1)
	v_cndmask_b32_e64 v1, v2, v1, s1
	v_mov_b32_dpp v2, v1 row_xmask:15 row_mask:0xf bank_mask:0xf
	s_delay_alu instid0(VALU_DEP_1)
	v_cmp_gt_f32_e64 s1, v1, v2
	v_cmpx_eq_u32_e32 31, v3
	s_cbranch_execz .LBB41_13
; %bb.12:
	s_delay_alu instid0(VALU_DEP_2) | instskip(SKIP_2) | instid1(VALU_DEP_2)
	v_cndmask_b32_e64 v1, v2, v1, s1
	s_mov_b32 s1, 0x76543210
	v_lshrrev_b32_e32 v2, 3, v0
	v_permlanex16_b32 v3, v1, s1, 0xfedcba98 op_sel:[1,1]
	s_delay_alu instid0(VALU_DEP_2) | instskip(NEXT) | instid1(VALU_DEP_2)
	v_and_b32_e32 v2, 0x7c, v2
	v_cmp_gt_f32_e64 s1, v1, v3
	s_delay_alu instid0(VALU_DEP_1)
	v_cndmask_b32_e64 v1, v3, v1, s1
	ds_store_b32 v2, v1
.LBB41_13:
	s_or_b32 exec_lo, exec_lo, s7
	v_and_b32_e32 v1, 7, v0
	s_waitcnt vmcnt(0) lgkmcnt(0)
	s_barrier
	buffer_gl0_inv
	s_mov_b32 s2, exec_lo
	v_lshlrev_b32_e32 v1, 2, v1
	ds_load_b32 v1, v1
	s_waitcnt lgkmcnt(0)
	v_mov_b32_dpp v2, v1 quad_perm:[1,0,3,2] row_mask:0xf bank_mask:0xf
	s_delay_alu instid0(VALU_DEP_1) | instskip(NEXT) | instid1(VALU_DEP_1)
	v_cmp_gt_f32_e64 s1, v1, v2
	v_cndmask_b32_e64 v1, v2, v1, s1
	s_delay_alu instid0(VALU_DEP_1) | instskip(NEXT) | instid1(VALU_DEP_1)
	v_mov_b32_dpp v2, v1 quad_perm:[2,3,0,1] row_mask:0xf bank_mask:0xf
	v_cmp_gt_f32_e64 s1, v1, v2
	s_delay_alu instid0(VALU_DEP_1) | instskip(NEXT) | instid1(VALU_DEP_1)
	v_cndmask_b32_e64 v1, v2, v1, s1
	v_mov_b32_dpp v2, v1 row_xmask:7 row_mask:0xf bank_mask:0xf
	s_delay_alu instid0(VALU_DEP_1) | instskip(NEXT) | instid1(VALU_DEP_1)
	v_cmp_gt_f32_e64 s1, v1, v2
	v_cndmask_b32_e64 v1, v2, v1, s1
	s_delay_alu instid0(VALU_DEP_1)
	v_mul_f32_e32 v9, 0x3b124925, v1
	v_cmpx_eq_u32_e32 0, v0
	s_cbranch_execz .LBB41_15
; %bb.14:
	s_ashr_i32 s17, s16, 31
	v_mov_b32_e32 v1, 0
	s_lshl_b64 s[16:17], s[16:17], 2
	s_delay_alu instid0(SALU_CYCLE_1)
	s_add_u32 s10, s10, s16
	s_addc_u32 s11, s11, s17
	global_store_b32 v1, v9, s[10:11]
.LBB41_15:
	s_or_b32 exec_lo, exec_lo, s2
                                        ; implicit-def: $vgpr1_vgpr2_vgpr3_vgpr4_vgpr5_vgpr6_vgpr7_vgpr8
	s_and_saveexec_b32 s1, vcc_lo
; %bb.16:
	s_mov_b32 s7, -1
	s_clause 0x1
	buffer_load_b128 v[1:4], v22, s[4:7], 0 offen
	buffer_load_b128 v[5:8], v22, s[4:7], 16 offen
; %bb.17:
	s_or_b32 exec_lo, exec_lo, s1
	s_add_u32 s8, s8, s14
	s_addc_u32 s1, s9, 0
	s_add_i32 s2, s3, 3
	v_rcp_f32_e32 v19, v9
	s_ashr_i32 s3, s2, 31
	s_and_b32 s9, s1, 0xffff
	s_lshr_b32 s3, s3, 30
	s_delay_alu instid0(SALU_CYCLE_1) | instskip(NEXT) | instid1(SALU_CYCLE_1)
	s_add_i32 s2, s2, s3
	s_and_b32 s10, s2, -4
	s_and_saveexec_b32 s1, s0
	s_cbranch_execz .LBB41_21
; %bb.18:
	v_lshlrev_b32_e32 v0, 4, v0
	v_mov_b32_e32 v20, 0xc3e00000
	v_mov_b32_e32 v22, 0x43e00000
	s_mov_b32 s7, -1
	s_mov_b32 s0, 0
	s_mov_b32 s11, s7
.LBB41_19:                              ; =>This Inner Loop Header: Depth=1
	s_clause 0x1
	buffer_load_b128 v[9:12], v21, s[4:7], 0 offen
	buffer_load_b128 v[13:16], v21, s[4:7], 16 offen
	s_waitcnt vmcnt(3)
	v_and_b32_e32 v24, 0xffff, v2
	v_lshrrev_b32_e32 v2, 16, v2
	v_add_co_u32 v17, vcc_lo, 0x100, v17
	v_add_co_ci_u32_e32 v18, vcc_lo, 0, v18, vcc_lo
	s_delay_alu instid0(VALU_DEP_4)
	v_cvt_f32_u32_e32 v24, v24
	v_and_b32_e32 v23, 0xffff, v1
	v_lshrrev_b32_e32 v1, 16, v1
	v_cvt_f32_u32_e32 v2, v2
	v_and_b32_e32 v25, 0xffff, v3
	v_lshrrev_b32_e32 v3, 16, v3
	v_mul_f32_e32 v24, v19, v24
	v_cvt_f32_u32_e32 v1, v1
	v_mul_f32_e32 v2, v19, v2
	v_and_b32_e32 v26, 0xffff, v4
	v_lshrrev_b32_e32 v4, 16, v4
	v_cvt_f32_u32_e32 v23, v23
	v_mul_f32_e32 v1, v19, v1
	v_cvt_f32_u32_e32 v25, v25
	v_cvt_f32_u32_e32 v26, v26
	s_waitcnt vmcnt(2)
	v_and_b32_e32 v27, 0xffff, v5
	v_lshrrev_b32_e32 v5, 16, v5
	v_dual_mul_f32 v25, v19, v25 :: v_dual_and_b32 v28, 0xffff, v6
	v_lshrrev_b32_e32 v6, 16, v6
	v_cvt_f32_u32_e32 v4, v4
	v_and_b32_e32 v29, 0xffff, v7
	v_lshrrev_b32_e32 v7, 16, v7
	v_cvt_f32_u32_e32 v3, v3
	v_and_b32_e32 v30, 0xffff, v8
	v_lshrrev_b32_e32 v8, 16, v8
	v_cvt_f32_u32_e32 v5, v5
	v_mul_f32_e32 v26, v19, v26
	v_mul_f32_e32 v3, v19, v3
	v_cvt_f32_u32_e32 v27, v27
	v_cvt_f32_u32_e32 v28, v28
	;; [unrolled: 1-line block ×3, first 2 shown]
	v_mul_f32_e32 v23, v19, v23
	v_cvt_f32_u32_e32 v7, v7
	v_mul_f32_e32 v4, v19, v4
	v_cvt_f32_u32_e32 v29, v29
	;;#ASMSTART
	v_med3_f32 v23, v23, v20, v22
v_med3_f32 v1, v1, v20, v22
v_cvt_pk_fp8_f32 v31, v23, v1
	;;#ASMEND
	v_cvt_f32_u32_e32 v30, v30
	v_cvt_f32_u32_e32 v8, v8
	;;#ASMSTART
	v_med3_f32 v24, v24, v20, v22
v_med3_f32 v2, v2, v20, v22
v_cvt_pk_fp8_f32 v1, v24, v2
	;;#ASMEND
	;;#ASMSTART
	v_med3_f32 v25, v25, v20, v22
v_med3_f32 v3, v3, v20, v22
v_cvt_pk_fp8_f32 v2, v25, v3
	;;#ASMEND
	v_mul_f32_e32 v27, v19, v27
	v_mul_f32_e32 v5, v19, v5
	;;#ASMSTART
	v_med3_f32 v26, v26, v20, v22
v_med3_f32 v4, v4, v20, v22
v_cvt_pk_fp8_f32 v3, v26, v4
	;;#ASMEND
	v_dual_mul_f32 v28, v19, v28 :: v_dual_add_nc_u32 v21, 0x2000, v21
	v_mul_f32_e32 v6, v19, v6
	;;#ASMSTART
	v_med3_f32 v27, v27, v20, v22
v_med3_f32 v5, v5, v20, v22
v_cvt_pk_fp8_f32 v4, v27, v5
	;;#ASMEND
	v_mul_f32_e32 v29, v19, v29
	v_mul_f32_e32 v7, v19, v7
	;;#ASMSTART
	v_med3_f32 v28, v28, v20, v22
v_med3_f32 v6, v6, v20, v22
v_cvt_pk_fp8_f32 v5, v28, v6
	;;#ASMEND
	v_mul_f32_e32 v30, v19, v30
	v_mul_f32_e32 v8, v19, v8
	;;#ASMSTART
	v_med3_f32 v29, v29, v20, v22
v_med3_f32 v7, v7, v20, v22
v_cvt_pk_fp8_f32 v6, v29, v7
	;;#ASMEND
	;;#ASMSTART
	v_med3_f32 v30, v30, v20, v22
v_med3_f32 v8, v8, v20, v22
v_cvt_pk_fp8_f32 v7, v30, v8
	;;#ASMEND
	v_perm_b32 v8, v1, v31, 0x5040100
	v_perm_b32 v2, v2, v3, 0x1000504
	v_perm_b32 v3, v4, v5, 0x1000504
	v_perm_b32 v4, v6, v7, 0x1000504
	v_cmp_le_u64_e32 vcc_lo, s[12:13], v[17:18]
	v_perm_b32 v1, v8, v1, 0x1060504
	buffer_store_b128 v[1:4], v0, s[8:11], 0 offen
	v_add_nc_u32_e32 v0, 0x1000, v0
	s_or_b32 s0, vcc_lo, s0
	;;#ASMSTART
	s_nop 0
	;;#ASMEND
	s_waitcnt vmcnt(0)
	v_dual_mov_b32 v1, v9 :: v_dual_mov_b32 v2, v10
	v_dual_mov_b32 v3, v11 :: v_dual_mov_b32 v8, v16
	;; [unrolled: 1-line block ×4, first 2 shown]
	s_and_not1_b32 exec_lo, exec_lo, s0
	s_cbranch_execnz .LBB41_19
; %bb.20:
	s_or_b32 exec_lo, exec_lo, s0
	v_dual_mov_b32 v1, v9 :: v_dual_mov_b32 v2, v10
	v_dual_mov_b32 v3, v11 :: v_dual_mov_b32 v4, v12
	;; [unrolled: 1-line block ×4, first 2 shown]
.LBB41_21:
	s_or_b32 exec_lo, exec_lo, s1
	v_add_co_u32 v9, vcc_lo, 0xffffff00, v17
	v_add_co_ci_u32_e32 v10, vcc_lo, -1, v18, vcc_lo
	s_mov_b32 s0, exec_lo
	s_delay_alu instid0(VALU_DEP_1)
	v_cmpx_gt_u64_e64 s[12:13], v[9:10]
	s_cbranch_execz .LBB41_23
; %bb.22:
	s_waitcnt vmcnt(1)
	v_and_b32_e32 v11, 0xffff, v3
	v_lshrrev_b32_e32 v3, 16, v3
	v_mov_b32_e32 v16, 0xc3e00000
	s_waitcnt vmcnt(0)
	v_and_b32_e32 v18, 0xffff, v8
	v_lshrrev_b32_e32 v8, 16, v8
	s_mov_b32 s11, -1
	v_cvt_f32_u32_e32 v3, v3
	v_and_b32_e32 v0, 0xffff, v1
	v_lshrrev_b32_e32 v1, 16, v1
	v_cvt_f32_u32_e32 v8, v8
	s_delay_alu instid0(VALU_DEP_4) | instskip(NEXT) | instid1(VALU_DEP_4)
	v_mul_f32_e32 v3, v19, v3
	v_cvt_f32_u32_e32 v0, v0
	s_delay_alu instid0(VALU_DEP_4) | instskip(SKIP_2) | instid1(VALU_DEP_4)
	v_cvt_f32_u32_e32 v1, v1
	v_and_b32_e32 v10, 0xffff, v2
	v_lshrrev_b32_e32 v2, 16, v2
	v_dual_mul_f32 v0, v19, v0 :: v_dual_lshlrev_b32 v9, 4, v9
	s_delay_alu instid0(VALU_DEP_4) | instskip(NEXT) | instid1(VALU_DEP_4)
	v_mul_f32_e32 v1, v19, v1
	v_cvt_f32_u32_e32 v10, v10
	s_delay_alu instid0(VALU_DEP_4)
	v_cvt_f32_u32_e32 v2, v2
	v_and_b32_e32 v13, 0xffff, v5
	v_lshrrev_b32_e32 v5, 16, v5
	v_mul_f32_e32 v8, v19, v8
	v_mul_f32_e32 v10, v19, v10
	;; [unrolled: 1-line block ×3, first 2 shown]
	v_cvt_f32_u32_e32 v11, v11
	v_mov_b32_e32 v17, 0x43e00000
	;;#ASMSTART
	v_med3_f32 v0, v0, v16, v17
v_med3_f32 v1, v1, v16, v17
v_cvt_pk_fp8_f32 v20, v0, v1
	;;#ASMEND
	;;#ASMSTART
	v_med3_f32 v10, v10, v16, v17
v_med3_f32 v2, v2, v16, v17
v_cvt_pk_fp8_f32 v0, v10, v2
	;;#ASMEND
	v_perm_b32 v1, v0, v20, 0x5040100
	v_mul_f32_e32 v2, v19, v11
	v_cvt_f32_u32_e32 v5, v5
	v_and_b32_e32 v12, 0xffff, v4
	v_lshrrev_b32_e32 v4, 16, v4
	v_perm_b32 v0, v1, v0, 0x1060504
	;;#ASMSTART
	v_med3_f32 v2, v2, v16, v17
v_med3_f32 v3, v3, v16, v17
v_cvt_pk_fp8_f32 v1, v2, v3
	;;#ASMEND
	v_mul_f32_e32 v3, v19, v5
	v_cvt_f32_u32_e32 v12, v12
	v_and_b32_e32 v15, 0xffff, v7
	v_lshrrev_b32_e32 v7, 16, v7
	v_cvt_f32_u32_e32 v4, v4
	v_cvt_f32_u32_e32 v13, v13
	v_mul_f32_e32 v10, v19, v12
	v_cvt_f32_u32_e32 v15, v15
	v_cvt_f32_u32_e32 v7, v7
	v_and_b32_e32 v14, 0xffff, v6
	v_lshrrev_b32_e32 v6, 16, v6
	v_cvt_f32_u32_e32 v11, v18
	v_mul_f32_e32 v4, v19, v4
	v_mul_f32_e32 v7, v19, v7
	v_cvt_f32_u32_e32 v14, v14
	v_cvt_f32_u32_e32 v6, v6
	s_delay_alu instid0(VALU_DEP_1)
	v_mul_f32_e32 v5, v19, v6
	;;#ASMSTART
	v_med3_f32 v10, v10, v16, v17
v_med3_f32 v4, v4, v16, v17
v_cvt_pk_fp8_f32 v2, v10, v4
	;;#ASMEND
	v_perm_b32 v1, v1, v2, 0x1000504
	v_mul_f32_e32 v2, v19, v13
	v_mul_f32_e32 v4, v19, v14
	;; [unrolled: 1-line block ×4, first 2 shown]
	;;#ASMSTART
	v_med3_f32 v2, v2, v16, v17
v_med3_f32 v3, v3, v16, v17
v_cvt_pk_fp8_f32 v11, v2, v3
	;;#ASMEND
	;;#ASMSTART
	v_med3_f32 v4, v4, v16, v17
v_med3_f32 v5, v5, v16, v17
v_cvt_pk_fp8_f32 v2, v4, v5
	;;#ASMEND
	;; [unrolled: 5-line block ×3, first 2 shown]
	v_perm_b32 v2, v11, v2, 0x1000504
	;;#ASMSTART
	v_med3_f32 v10, v10, v16, v17
v_med3_f32 v8, v8, v16, v17
v_cvt_pk_fp8_f32 v4, v10, v8
	;;#ASMEND
	v_perm_b32 v3, v3, v4, 0x1000504
	buffer_store_b128 v[0:3], v9, s[8:11], 0 offen
	;;#ASMSTART
	s_nop 0
	;;#ASMEND
.LBB41_23:
	s_nop 0
	s_sendmsg sendmsg(MSG_DEALLOC_VGPRS)
	s_endpgm
	.section	.rodata,"a",@progbits
	.p2align	6, 0x0
	.amdhsa_kernel _ZN5aiter37dynamic_per_token_scaled_quant_kernelItDB8_Li0EEEvPT0_PfPT_PKfiPKii
		.amdhsa_group_segment_fixed_size 32
		.amdhsa_private_segment_fixed_size 0
		.amdhsa_kernarg_size 52
		.amdhsa_user_sgpr_count 15
		.amdhsa_user_sgpr_dispatch_ptr 0
		.amdhsa_user_sgpr_queue_ptr 0
		.amdhsa_user_sgpr_kernarg_segment_ptr 1
		.amdhsa_user_sgpr_dispatch_id 0
		.amdhsa_user_sgpr_private_segment_size 0
		.amdhsa_wavefront_size32 1
		.amdhsa_uses_dynamic_stack 0
		.amdhsa_enable_private_segment 0
		.amdhsa_system_sgpr_workgroup_id_x 1
		.amdhsa_system_sgpr_workgroup_id_y 0
		.amdhsa_system_sgpr_workgroup_id_z 0
		.amdhsa_system_sgpr_workgroup_info 0
		.amdhsa_system_vgpr_workitem_id 0
		.amdhsa_next_free_vgpr 32
		.amdhsa_next_free_sgpr 18
		.amdhsa_reserve_vcc 1
		.amdhsa_float_round_mode_32 0
		.amdhsa_float_round_mode_16_64 0
		.amdhsa_float_denorm_mode_32 3
		.amdhsa_float_denorm_mode_16_64 3
		.amdhsa_dx10_clamp 1
		.amdhsa_ieee_mode 1
		.amdhsa_fp16_overflow 0
		.amdhsa_workgroup_processor_mode 1
		.amdhsa_memory_ordered 1
		.amdhsa_forward_progress 0
		.amdhsa_shared_vgpr_count 0
		.amdhsa_exception_fp_ieee_invalid_op 0
		.amdhsa_exception_fp_denorm_src 0
		.amdhsa_exception_fp_ieee_div_zero 0
		.amdhsa_exception_fp_ieee_overflow 0
		.amdhsa_exception_fp_ieee_underflow 0
		.amdhsa_exception_fp_ieee_inexact 0
		.amdhsa_exception_int_div_zero 0
	.end_amdhsa_kernel
	.section	.text._ZN5aiter37dynamic_per_token_scaled_quant_kernelItDB8_Li0EEEvPT0_PfPT_PKfiPKii,"axG",@progbits,_ZN5aiter37dynamic_per_token_scaled_quant_kernelItDB8_Li0EEEvPT0_PfPT_PKfiPKii,comdat
.Lfunc_end41:
	.size	_ZN5aiter37dynamic_per_token_scaled_quant_kernelItDB8_Li0EEEvPT0_PfPT_PKfiPKii, .Lfunc_end41-_ZN5aiter37dynamic_per_token_scaled_quant_kernelItDB8_Li0EEEvPT0_PfPT_PKfiPKii
                                        ; -- End function
	.section	.AMDGPU.csdata,"",@progbits
; Kernel info:
; codeLenInByte = 3352
; NumSgprs: 20
; NumVgprs: 32
; ScratchSize: 0
; MemoryBound: 0
; FloatMode: 240
; IeeeMode: 1
; LDSByteSize: 32 bytes/workgroup (compile time only)
; SGPRBlocks: 2
; VGPRBlocks: 3
; NumSGPRsForWavesPerEU: 20
; NumVGPRsForWavesPerEU: 32
; Occupancy: 16
; WaveLimiterHint : 0
; COMPUTE_PGM_RSRC2:SCRATCH_EN: 0
; COMPUTE_PGM_RSRC2:USER_SGPR: 15
; COMPUTE_PGM_RSRC2:TRAP_HANDLER: 0
; COMPUTE_PGM_RSRC2:TGID_X_EN: 1
; COMPUTE_PGM_RSRC2:TGID_Y_EN: 0
; COMPUTE_PGM_RSRC2:TGID_Z_EN: 0
; COMPUTE_PGM_RSRC2:TIDIG_COMP_CNT: 0
	.section	.text._ZN5aiter37dynamic_per_token_scaled_quant_kernelIDF16_aLi8EEEvPT0_PfPT_PKfiPKii,"axG",@progbits,_ZN5aiter37dynamic_per_token_scaled_quant_kernelIDF16_aLi8EEEvPT0_PfPT_PKfiPKii,comdat
	.protected	_ZN5aiter37dynamic_per_token_scaled_quant_kernelIDF16_aLi8EEEvPT0_PfPT_PKfiPKii ; -- Begin function _ZN5aiter37dynamic_per_token_scaled_quant_kernelIDF16_aLi8EEEvPT0_PfPT_PKfiPKii
	.globl	_ZN5aiter37dynamic_per_token_scaled_quant_kernelIDF16_aLi8EEEvPT0_PfPT_PKfiPKii
	.p2align	8
	.type	_ZN5aiter37dynamic_per_token_scaled_quant_kernelIDF16_aLi8EEEvPT0_PfPT_PKfiPKii,@function
_ZN5aiter37dynamic_per_token_scaled_quant_kernelIDF16_aLi8EEEvPT0_PfPT_PKfiPKii: ; @_ZN5aiter37dynamic_per_token_scaled_quant_kernelIDF16_aLi8EEEvPT0_PfPT_PKfiPKii
; %bb.0:
	s_load_b64 s[2:3], s[0:1], 0x28
	s_mov_b32 s6, s15
	s_waitcnt lgkmcnt(0)
	s_cmp_eq_u64 s[2:3], 0
	s_cselect_b32 s4, -1, 0
	s_delay_alu instid0(SALU_CYCLE_1)
	s_and_b32 vcc_lo, exec_lo, s4
	s_cbranch_vccnz .LBB42_2
; %bb.1:
	s_load_b32 s4, s[0:1], 0x30
	s_load_b32 s2, s[2:3], 0x0
	s_waitcnt lgkmcnt(0)
	s_mul_i32 s2, s2, s4
	s_delay_alu instid0(SALU_CYCLE_1)
	s_cmp_lt_i32 s6, s2
	s_cselect_b32 s4, -1, 0
.LBB42_2:
	s_delay_alu instid0(SALU_CYCLE_1)
	s_and_not1_b32 vcc_lo, exec_lo, s4
	s_cbranch_vccnz .LBB42_11
; %bb.3:
	s_load_b32 s8, s[0:1], 0x20
	v_mov_b32_e32 v5, 0
                                        ; implicit-def: $vgpr1
	s_waitcnt lgkmcnt(0)
	s_add_i32 s2, s8, 7
	s_mul_i32 s4, s6, s8
	s_ashr_i32 s3, s2, 31
	s_delay_alu instid0(SALU_CYCLE_1) | instskip(NEXT) | instid1(SALU_CYCLE_1)
	s_lshr_b32 s3, s3, 29
	s_add_i32 s2, s2, s3
	s_delay_alu instid0(SALU_CYCLE_1) | instskip(NEXT) | instid1(SALU_CYCLE_1)
	s_ashr_i32 s2, s2, 3
	v_cmp_gt_u32_e32 vcc_lo, s2, v0
	s_and_saveexec_b32 s2, vcc_lo
	s_cbranch_execz .LBB42_5
; %bb.4:
	s_load_b64 s[10:11], s[0:1], 0x10
	s_mov_b32 s5, 0
	v_lshlrev_b32_e32 v1, 4, v0
	s_lshl_b64 s[12:13], s[4:5], 1
	s_mov_b32 s15, -1
	s_waitcnt lgkmcnt(0)
	s_add_u32 s12, s10, s12
	s_addc_u32 s3, s11, s13
	s_add_i32 s5, s8, 1
	s_and_b32 s13, s3, 0xffff
	s_lshr_b32 s7, s5, 31
	s_delay_alu instid0(SALU_CYCLE_1) | instskip(NEXT) | instid1(SALU_CYCLE_1)
	s_add_i32 s5, s5, s7
	s_lshl_b32 s5, s5, 1
	s_delay_alu instid0(SALU_CYCLE_1)
	s_and_b32 s14, s5, -4
	buffer_load_b128 v[1:4], v1, s[12:15], 0 offen
	s_waitcnt vmcnt(0)
	v_lshrrev_b32_e32 v5, 16, v1
	v_cvt_f32_f16_e64 v6, |v1|
	v_lshrrev_b32_e32 v7, 16, v2
	v_cvt_f32_f16_e64 v8, |v2|
	;; [unrolled: 2-line block ×3, first 2 shown]
	s_delay_alu instid0(VALU_DEP_4) | instskip(NEXT) | instid1(VALU_DEP_3)
	v_cvt_f32_f16_e64 v7, |v7|
	v_cvt_f32_f16_e64 v9, |v9|
	s_delay_alu instid0(VALU_DEP_3) | instskip(SKIP_1) | instid1(VALU_DEP_2)
	v_max3_f32 v5, v6, 0, v5
	v_cvt_f32_f16_e64 v6, |v3|
	v_max3_f32 v5, v5, v8, v7
	v_lshrrev_b32_e32 v7, 16, v4
	v_cvt_f32_f16_e64 v8, |v4|
	s_delay_alu instid0(VALU_DEP_3) | instskip(NEXT) | instid1(VALU_DEP_3)
	v_max3_f32 v5, v5, v6, v9
	v_cvt_f32_f16_e64 v6, |v7|
	s_delay_alu instid0(VALU_DEP_1)
	v_max3_f32 v5, v5, v8, v6
.LBB42_5:
	s_or_b32 exec_lo, exec_lo, s2
	s_delay_alu instid0(VALU_DEP_1) | instskip(SKIP_2) | instid1(VALU_DEP_2)
	v_mov_b32_dpp v6, v5 quad_perm:[1,0,3,2] row_mask:0xf bank_mask:0xf
	v_and_b32_e32 v7, 31, v0
	s_mov_b32 s5, exec_lo
	v_cmp_gt_f32_e64 s2, v5, v6
	s_delay_alu instid0(VALU_DEP_1) | instskip(NEXT) | instid1(VALU_DEP_1)
	v_cndmask_b32_e64 v5, v6, v5, s2
	v_mov_b32_dpp v6, v5 quad_perm:[2,3,0,1] row_mask:0xf bank_mask:0xf
	s_delay_alu instid0(VALU_DEP_1) | instskip(NEXT) | instid1(VALU_DEP_1)
	v_cmp_gt_f32_e64 s2, v5, v6
	v_cndmask_b32_e64 v5, v6, v5, s2
	s_delay_alu instid0(VALU_DEP_1) | instskip(NEXT) | instid1(VALU_DEP_1)
	v_mov_b32_dpp v6, v5 row_xmask:7 row_mask:0xf bank_mask:0xf
	v_cmp_gt_f32_e64 s2, v5, v6
	s_delay_alu instid0(VALU_DEP_1) | instskip(NEXT) | instid1(VALU_DEP_1)
	v_cndmask_b32_e64 v5, v6, v5, s2
	v_mov_b32_dpp v6, v5 row_xmask:15 row_mask:0xf bank_mask:0xf
	s_delay_alu instid0(VALU_DEP_1)
	v_cmp_gt_f32_e64 s2, v5, v6
	v_cmpx_eq_u32_e32 31, v7
	s_cbranch_execz .LBB42_7
; %bb.6:
	s_delay_alu instid0(VALU_DEP_2) | instskip(SKIP_2) | instid1(VALU_DEP_2)
	v_cndmask_b32_e64 v5, v6, v5, s2
	s_mov_b32 s2, 0x76543210
	v_lshrrev_b32_e32 v6, 3, v0
	v_permlanex16_b32 v7, v5, s2, 0xfedcba98 op_sel:[1,1]
	s_delay_alu instid0(VALU_DEP_2) | instskip(NEXT) | instid1(VALU_DEP_2)
	v_and_b32_e32 v6, 0x7c, v6
	v_cmp_gt_f32_e64 s2, v5, v7
	s_delay_alu instid0(VALU_DEP_1)
	v_cndmask_b32_e64 v5, v7, v5, s2
	ds_store_b32 v6, v5
.LBB42_7:
	s_or_b32 exec_lo, exec_lo, s5
	v_and_b32_e32 v5, 7, v0
	s_waitcnt lgkmcnt(0)
	s_barrier
	buffer_gl0_inv
	s_mov_b32 s3, exec_lo
	v_lshlrev_b32_e32 v5, 2, v5
	ds_load_b32 v5, v5
	s_waitcnt lgkmcnt(0)
	v_mov_b32_dpp v6, v5 quad_perm:[1,0,3,2] row_mask:0xf bank_mask:0xf
	s_delay_alu instid0(VALU_DEP_1) | instskip(NEXT) | instid1(VALU_DEP_1)
	v_cmp_gt_f32_e64 s2, v5, v6
	v_cndmask_b32_e64 v5, v6, v5, s2
	s_delay_alu instid0(VALU_DEP_1) | instskip(NEXT) | instid1(VALU_DEP_1)
	v_mov_b32_dpp v6, v5 quad_perm:[2,3,0,1] row_mask:0xf bank_mask:0xf
	v_cmp_gt_f32_e64 s2, v5, v6
	s_delay_alu instid0(VALU_DEP_1) | instskip(NEXT) | instid1(VALU_DEP_1)
	v_cndmask_b32_e64 v5, v6, v5, s2
	v_mov_b32_dpp v6, v5 row_xmask:7 row_mask:0xf bank_mask:0xf
	s_delay_alu instid0(VALU_DEP_1) | instskip(NEXT) | instid1(VALU_DEP_1)
	v_cmp_gt_f32_e64 s2, v5, v6
	v_cndmask_b32_e64 v5, v6, v5, s2
	s_delay_alu instid0(VALU_DEP_1)
	v_mul_f32_e32 v5, 0x3c010204, v5
	v_cmpx_eq_u32_e32 0, v0
	s_cbranch_execz .LBB42_9
; %bb.8:
	s_load_b64 s[10:11], s[0:1], 0x8
	s_ashr_i32 s7, s6, 31
	v_mov_b32_e32 v6, 0
	s_lshl_b64 s[6:7], s[6:7], 2
	s_waitcnt lgkmcnt(0)
	s_add_u32 s6, s10, s6
	s_addc_u32 s7, s11, s7
	global_store_b32 v6, v5, s[6:7]
.LBB42_9:
	s_or_b32 exec_lo, exec_lo, s3
	s_and_saveexec_b32 s2, vcc_lo
	s_cbranch_execz .LBB42_11
; %bb.10:
	v_rcp_f32_e32 v5, v5
	v_cvt_f32_f16_e32 v6, v1
	v_lshrrev_b32_e32 v1, 16, v1
	v_cvt_f32_f16_e32 v7, v2
	v_lshrrev_b32_e32 v2, 16, v2
	;; [unrolled: 2-line block ×4, first 2 shown]
	v_cvt_f32_f16_e32 v1, v1
	v_cvt_f32_f16_e32 v2, v2
	;; [unrolled: 1-line block ×3, first 2 shown]
	v_mul_f32_e32 v7, v5, v7
	v_cvt_f32_f16_e32 v4, v4
	v_mul_f32_e32 v6, v5, v6
	v_mul_f32_e32 v1, v5, v1
	;; [unrolled: 1-line block ×7, first 2 shown]
	v_cvt_i32_f32_e32 v5, v7
	v_cvt_i32_f32_e32 v7, v8
	s_load_b64 s[0:1], s[0:1], 0x0
	s_delay_alu instid0(VALU_DEP_2) | instskip(SKIP_1) | instid1(VALU_DEP_3)
	v_and_b32_e32 v5, 0xff, v5
	v_cvt_i32_f32_e32 v2, v2
	v_and_b32_e32 v7, 0xff, v7
	v_cvt_i32_f32_e32 v6, v6
	s_delay_alu instid0(VALU_DEP_3) | instskip(NEXT) | instid1(VALU_DEP_2)
	v_lshlrev_b16 v2, 8, v2
	v_and_b32_e32 v6, 0xff, v6
	s_delay_alu instid0(VALU_DEP_2) | instskip(NEXT) | instid1(VALU_DEP_1)
	v_or_b32_e32 v2, v5, v2
	v_lshlrev_b32_e32 v2, 16, v2
	v_cvt_i32_f32_e32 v8, v9
	s_waitcnt lgkmcnt(0)
	s_add_u32 s0, s0, s4
	s_addc_u32 s1, s1, 0
	s_add_i32 s2, s8, 3
	s_and_b32 s1, s1, 0xffff
	v_and_b32_e32 v8, 0xff, v8
	v_cvt_i32_f32_e32 v1, v1
	s_ashr_i32 s3, s2, 31
	s_delay_alu instid0(SALU_CYCLE_1) | instskip(NEXT) | instid1(VALU_DEP_1)
	s_lshr_b32 s3, s3, 30
	v_lshlrev_b16 v1, 8, v1
	s_add_i32 s2, s2, s3
	s_mov_b32 s3, -1
	s_and_b32 s2, s2, -4
	s_delay_alu instid0(VALU_DEP_1) | instskip(SKIP_1) | instid1(VALU_DEP_2)
	v_or_b32_e32 v1, v6, v1
	v_lshlrev_b32_e32 v6, 3, v0
	v_and_b32_e32 v5, 0xffff, v1
	v_cvt_i32_f32_e32 v4, v4
	s_delay_alu instid0(VALU_DEP_2) | instskip(NEXT) | instid1(VALU_DEP_2)
	v_or_b32_e32 v0, v5, v2
	v_lshlrev_b16 v4, 8, v4
	s_delay_alu instid0(VALU_DEP_1) | instskip(NEXT) | instid1(VALU_DEP_1)
	v_or_b32_e32 v4, v8, v4
	v_lshlrev_b32_e32 v4, 16, v4
	v_cvt_i32_f32_e32 v3, v3
	s_delay_alu instid0(VALU_DEP_1) | instskip(NEXT) | instid1(VALU_DEP_1)
	v_lshlrev_b16 v3, 8, v3
	v_or_b32_e32 v3, v7, v3
	s_delay_alu instid0(VALU_DEP_1) | instskip(NEXT) | instid1(VALU_DEP_1)
	v_and_b32_e32 v3, 0xffff, v3
	v_or_b32_e32 v1, v3, v4
	buffer_store_b64 v[0:1], v6, s[0:3], 0 offen
	;;#ASMSTART
	s_nop 0
	;;#ASMEND
.LBB42_11:
	s_nop 0
	s_sendmsg sendmsg(MSG_DEALLOC_VGPRS)
	s_endpgm
	.section	.rodata,"a",@progbits
	.p2align	6, 0x0
	.amdhsa_kernel _ZN5aiter37dynamic_per_token_scaled_quant_kernelIDF16_aLi8EEEvPT0_PfPT_PKfiPKii
		.amdhsa_group_segment_fixed_size 32
		.amdhsa_private_segment_fixed_size 0
		.amdhsa_kernarg_size 52
		.amdhsa_user_sgpr_count 15
		.amdhsa_user_sgpr_dispatch_ptr 0
		.amdhsa_user_sgpr_queue_ptr 0
		.amdhsa_user_sgpr_kernarg_segment_ptr 1
		.amdhsa_user_sgpr_dispatch_id 0
		.amdhsa_user_sgpr_private_segment_size 0
		.amdhsa_wavefront_size32 1
		.amdhsa_uses_dynamic_stack 0
		.amdhsa_enable_private_segment 0
		.amdhsa_system_sgpr_workgroup_id_x 1
		.amdhsa_system_sgpr_workgroup_id_y 0
		.amdhsa_system_sgpr_workgroup_id_z 0
		.amdhsa_system_sgpr_workgroup_info 0
		.amdhsa_system_vgpr_workitem_id 0
		.amdhsa_next_free_vgpr 10
		.amdhsa_next_free_sgpr 16
		.amdhsa_reserve_vcc 1
		.amdhsa_float_round_mode_32 0
		.amdhsa_float_round_mode_16_64 0
		.amdhsa_float_denorm_mode_32 3
		.amdhsa_float_denorm_mode_16_64 3
		.amdhsa_dx10_clamp 1
		.amdhsa_ieee_mode 1
		.amdhsa_fp16_overflow 0
		.amdhsa_workgroup_processor_mode 1
		.amdhsa_memory_ordered 1
		.amdhsa_forward_progress 0
		.amdhsa_shared_vgpr_count 0
		.amdhsa_exception_fp_ieee_invalid_op 0
		.amdhsa_exception_fp_denorm_src 0
		.amdhsa_exception_fp_ieee_div_zero 0
		.amdhsa_exception_fp_ieee_overflow 0
		.amdhsa_exception_fp_ieee_underflow 0
		.amdhsa_exception_fp_ieee_inexact 0
		.amdhsa_exception_int_div_zero 0
	.end_amdhsa_kernel
	.section	.text._ZN5aiter37dynamic_per_token_scaled_quant_kernelIDF16_aLi8EEEvPT0_PfPT_PKfiPKii,"axG",@progbits,_ZN5aiter37dynamic_per_token_scaled_quant_kernelIDF16_aLi8EEEvPT0_PfPT_PKfiPKii,comdat
.Lfunc_end42:
	.size	_ZN5aiter37dynamic_per_token_scaled_quant_kernelIDF16_aLi8EEEvPT0_PfPT_PKfiPKii, .Lfunc_end42-_ZN5aiter37dynamic_per_token_scaled_quant_kernelIDF16_aLi8EEEvPT0_PfPT_PKfiPKii
                                        ; -- End function
	.section	.AMDGPU.csdata,"",@progbits
; Kernel info:
; codeLenInByte = 1128
; NumSgprs: 18
; NumVgprs: 10
; ScratchSize: 0
; MemoryBound: 0
; FloatMode: 240
; IeeeMode: 1
; LDSByteSize: 32 bytes/workgroup (compile time only)
; SGPRBlocks: 2
; VGPRBlocks: 1
; NumSGPRsForWavesPerEU: 18
; NumVGPRsForWavesPerEU: 10
; Occupancy: 16
; WaveLimiterHint : 0
; COMPUTE_PGM_RSRC2:SCRATCH_EN: 0
; COMPUTE_PGM_RSRC2:USER_SGPR: 15
; COMPUTE_PGM_RSRC2:TRAP_HANDLER: 0
; COMPUTE_PGM_RSRC2:TGID_X_EN: 1
; COMPUTE_PGM_RSRC2:TGID_Y_EN: 0
; COMPUTE_PGM_RSRC2:TGID_Z_EN: 0
; COMPUTE_PGM_RSRC2:TIDIG_COMP_CNT: 0
	.section	.text._ZN5aiter37dynamic_per_token_scaled_quant_kernelItaLi8EEEvPT0_PfPT_PKfiPKii,"axG",@progbits,_ZN5aiter37dynamic_per_token_scaled_quant_kernelItaLi8EEEvPT0_PfPT_PKfiPKii,comdat
	.protected	_ZN5aiter37dynamic_per_token_scaled_quant_kernelItaLi8EEEvPT0_PfPT_PKfiPKii ; -- Begin function _ZN5aiter37dynamic_per_token_scaled_quant_kernelItaLi8EEEvPT0_PfPT_PKfiPKii
	.globl	_ZN5aiter37dynamic_per_token_scaled_quant_kernelItaLi8EEEvPT0_PfPT_PKfiPKii
	.p2align	8
	.type	_ZN5aiter37dynamic_per_token_scaled_quant_kernelItaLi8EEEvPT0_PfPT_PKfiPKii,@function
_ZN5aiter37dynamic_per_token_scaled_quant_kernelItaLi8EEEvPT0_PfPT_PKfiPKii: ; @_ZN5aiter37dynamic_per_token_scaled_quant_kernelItaLi8EEEvPT0_PfPT_PKfiPKii
; %bb.0:
	s_load_b64 s[2:3], s[0:1], 0x28
	s_mov_b32 s6, s15
	s_waitcnt lgkmcnt(0)
	s_cmp_eq_u64 s[2:3], 0
	s_cselect_b32 s4, -1, 0
	s_delay_alu instid0(SALU_CYCLE_1)
	s_and_b32 vcc_lo, exec_lo, s4
	s_cbranch_vccnz .LBB43_2
; %bb.1:
	s_load_b32 s4, s[0:1], 0x30
	s_load_b32 s2, s[2:3], 0x0
	s_waitcnt lgkmcnt(0)
	s_mul_i32 s2, s2, s4
	s_delay_alu instid0(SALU_CYCLE_1)
	s_cmp_lt_i32 s6, s2
	s_cselect_b32 s4, -1, 0
.LBB43_2:
	s_delay_alu instid0(SALU_CYCLE_1)
	s_and_not1_b32 vcc_lo, exec_lo, s4
	s_cbranch_vccnz .LBB43_11
; %bb.3:
	s_load_b32 s8, s[0:1], 0x20
	v_mov_b32_e32 v5, 0
                                        ; implicit-def: $vgpr1
	s_waitcnt lgkmcnt(0)
	s_add_i32 s2, s8, 7
	s_mul_i32 s4, s6, s8
	s_ashr_i32 s3, s2, 31
	s_delay_alu instid0(SALU_CYCLE_1) | instskip(NEXT) | instid1(SALU_CYCLE_1)
	s_lshr_b32 s3, s3, 29
	s_add_i32 s2, s2, s3
	s_delay_alu instid0(SALU_CYCLE_1) | instskip(NEXT) | instid1(SALU_CYCLE_1)
	s_ashr_i32 s2, s2, 3
	v_cmp_gt_u32_e32 vcc_lo, s2, v0
	s_and_saveexec_b32 s2, vcc_lo
	s_cbranch_execz .LBB43_5
; %bb.4:
	s_load_b64 s[10:11], s[0:1], 0x10
	s_mov_b32 s5, 0
	v_lshlrev_b32_e32 v1, 4, v0
	s_lshl_b64 s[12:13], s[4:5], 1
	s_mov_b32 s15, -1
	s_waitcnt lgkmcnt(0)
	s_add_u32 s12, s10, s12
	s_addc_u32 s3, s11, s13
	s_add_i32 s5, s8, 1
	s_and_b32 s13, s3, 0xffff
	s_lshr_b32 s7, s5, 31
	s_delay_alu instid0(SALU_CYCLE_1) | instskip(NEXT) | instid1(SALU_CYCLE_1)
	s_add_i32 s5, s5, s7
	s_lshl_b32 s5, s5, 1
	s_delay_alu instid0(SALU_CYCLE_1)
	s_and_b32 s14, s5, -4
	buffer_load_b128 v[1:4], v1, s[12:15], 0 offen
	s_waitcnt vmcnt(0)
	v_and_b32_e32 v5, 0xffff, v1
	v_lshrrev_b32_e32 v6, 16, v1
	v_and_b32_e32 v7, 0xffff, v2
	v_lshrrev_b32_e32 v8, 16, v2
	v_and_b32_e32 v9, 0xffff, v3
	v_cvt_f32_u32_e32 v5, v5
	v_cvt_f32_u32_e32 v6, v6
	v_lshrrev_b32_e32 v10, 16, v3
	v_cvt_f32_u32_e32 v7, v7
	v_cvt_f32_u32_e32 v8, v8
	;; [unrolled: 1-line block ×3, first 2 shown]
	v_max3_f32 v5, v5, 0, v6
	v_and_b32_e32 v6, 0xffff, v4
	v_cvt_f32_u32_e32 v10, v10
	s_delay_alu instid0(VALU_DEP_3) | instskip(SKIP_1) | instid1(VALU_DEP_4)
	v_max3_f32 v5, v5, v7, v8
	v_lshrrev_b32_e32 v7, 16, v4
	v_cvt_f32_u32_e32 v6, v6
	s_delay_alu instid0(VALU_DEP_3) | instskip(NEXT) | instid1(VALU_DEP_3)
	v_max3_f32 v5, v5, v9, v10
	v_cvt_f32_u32_e32 v7, v7
	s_delay_alu instid0(VALU_DEP_1)
	v_max3_f32 v5, v5, v6, v7
.LBB43_5:
	s_or_b32 exec_lo, exec_lo, s2
	s_delay_alu instid0(VALU_DEP_1) | instskip(SKIP_2) | instid1(VALU_DEP_2)
	v_mov_b32_dpp v6, v5 quad_perm:[1,0,3,2] row_mask:0xf bank_mask:0xf
	v_and_b32_e32 v7, 31, v0
	s_mov_b32 s5, exec_lo
	v_cmp_gt_f32_e64 s2, v5, v6
	s_delay_alu instid0(VALU_DEP_1) | instskip(NEXT) | instid1(VALU_DEP_1)
	v_cndmask_b32_e64 v5, v6, v5, s2
	v_mov_b32_dpp v6, v5 quad_perm:[2,3,0,1] row_mask:0xf bank_mask:0xf
	s_delay_alu instid0(VALU_DEP_1) | instskip(NEXT) | instid1(VALU_DEP_1)
	v_cmp_gt_f32_e64 s2, v5, v6
	v_cndmask_b32_e64 v5, v6, v5, s2
	s_delay_alu instid0(VALU_DEP_1) | instskip(NEXT) | instid1(VALU_DEP_1)
	v_mov_b32_dpp v6, v5 row_xmask:7 row_mask:0xf bank_mask:0xf
	v_cmp_gt_f32_e64 s2, v5, v6
	s_delay_alu instid0(VALU_DEP_1) | instskip(NEXT) | instid1(VALU_DEP_1)
	v_cndmask_b32_e64 v5, v6, v5, s2
	v_mov_b32_dpp v6, v5 row_xmask:15 row_mask:0xf bank_mask:0xf
	s_delay_alu instid0(VALU_DEP_1)
	v_cmp_gt_f32_e64 s2, v5, v6
	v_cmpx_eq_u32_e32 31, v7
	s_cbranch_execz .LBB43_7
; %bb.6:
	s_delay_alu instid0(VALU_DEP_2) | instskip(SKIP_2) | instid1(VALU_DEP_2)
	v_cndmask_b32_e64 v5, v6, v5, s2
	s_mov_b32 s2, 0x76543210
	v_lshrrev_b32_e32 v6, 3, v0
	v_permlanex16_b32 v7, v5, s2, 0xfedcba98 op_sel:[1,1]
	s_delay_alu instid0(VALU_DEP_2) | instskip(NEXT) | instid1(VALU_DEP_2)
	v_and_b32_e32 v6, 0x7c, v6
	v_cmp_gt_f32_e64 s2, v5, v7
	s_delay_alu instid0(VALU_DEP_1)
	v_cndmask_b32_e64 v5, v7, v5, s2
	ds_store_b32 v6, v5
.LBB43_7:
	s_or_b32 exec_lo, exec_lo, s5
	v_and_b32_e32 v5, 7, v0
	s_waitcnt lgkmcnt(0)
	s_barrier
	buffer_gl0_inv
	s_mov_b32 s3, exec_lo
	v_lshlrev_b32_e32 v5, 2, v5
	ds_load_b32 v5, v5
	s_waitcnt lgkmcnt(0)
	v_mov_b32_dpp v6, v5 quad_perm:[1,0,3,2] row_mask:0xf bank_mask:0xf
	s_delay_alu instid0(VALU_DEP_1) | instskip(NEXT) | instid1(VALU_DEP_1)
	v_cmp_gt_f32_e64 s2, v5, v6
	v_cndmask_b32_e64 v5, v6, v5, s2
	s_delay_alu instid0(VALU_DEP_1) | instskip(NEXT) | instid1(VALU_DEP_1)
	v_mov_b32_dpp v6, v5 quad_perm:[2,3,0,1] row_mask:0xf bank_mask:0xf
	v_cmp_gt_f32_e64 s2, v5, v6
	s_delay_alu instid0(VALU_DEP_1) | instskip(NEXT) | instid1(VALU_DEP_1)
	v_cndmask_b32_e64 v5, v6, v5, s2
	v_mov_b32_dpp v6, v5 row_xmask:7 row_mask:0xf bank_mask:0xf
	s_delay_alu instid0(VALU_DEP_1) | instskip(NEXT) | instid1(VALU_DEP_1)
	v_cmp_gt_f32_e64 s2, v5, v6
	v_cndmask_b32_e64 v5, v6, v5, s2
	s_delay_alu instid0(VALU_DEP_1)
	v_mul_f32_e32 v5, 0x3c010204, v5
	v_cmpx_eq_u32_e32 0, v0
	s_cbranch_execz .LBB43_9
; %bb.8:
	s_load_b64 s[10:11], s[0:1], 0x8
	s_ashr_i32 s7, s6, 31
	v_mov_b32_e32 v6, 0
	s_lshl_b64 s[6:7], s[6:7], 2
	s_waitcnt lgkmcnt(0)
	s_add_u32 s6, s10, s6
	s_addc_u32 s7, s11, s7
	global_store_b32 v6, v5, s[6:7]
.LBB43_9:
	s_or_b32 exec_lo, exec_lo, s3
	s_and_saveexec_b32 s2, vcc_lo
	s_cbranch_execz .LBB43_11
; %bb.10:
	v_rcp_f32_e32 v5, v5
	v_and_b32_e32 v8, 0xffff, v3
	v_lshrrev_b32_e32 v3, 16, v3
	s_load_b64 s[0:1], s[0:1], 0x0
	s_delay_alu instid0(VALU_DEP_2)
	v_cvt_f32_u32_e32 v8, v8
	v_and_b32_e32 v7, 0xffff, v2
	v_lshrrev_b32_e32 v2, 16, v2
	v_cvt_f32_u32_e32 v3, v3
	s_delay_alu instid0(TRANS32_DEP_1) | instid1(VALU_DEP_4)
	v_mul_f32_e32 v8, v5, v8
	s_delay_alu instid0(VALU_DEP_4)
	v_cvt_f32_u32_e32 v7, v7
	v_and_b32_e32 v6, 0xffff, v1
	v_lshrrev_b32_e32 v1, 16, v1
	v_cvt_f32_u32_e32 v2, v2
	v_cvt_i32_f32_e32 v8, v8
	v_mul_f32_e32 v7, v5, v7
	v_cvt_f32_u32_e32 v6, v6
	v_and_b32_e32 v9, 0xffff, v4
	v_lshrrev_b32_e32 v4, 16, v4
	v_cvt_f32_u32_e32 v1, v1
	v_mul_f32_e32 v2, v5, v2
	v_mul_f32_e32 v6, v5, v6
	v_cvt_f32_u32_e32 v9, v9
	v_cvt_f32_u32_e32 v4, v4
	v_mul_f32_e32 v1, v5, v1
	v_dual_mul_f32 v3, v5, v3 :: v_dual_and_b32 v8, 0xff, v8
	v_cvt_i32_f32_e32 v6, v6
	v_cvt_i32_f32_e32 v7, v7
	v_mul_f32_e32 v4, v5, v4
	v_mul_f32_e32 v5, v5, v9
	v_cvt_i32_f32_e32 v1, v1
	v_and_b32_e32 v6, 0xff, v6
	v_cvt_i32_f32_e32 v3, v3
	v_and_b32_e32 v7, 0xff, v7
	v_cvt_i32_f32_e32 v5, v5
	v_cvt_i32_f32_e32 v4, v4
	v_lshlrev_b16 v1, 8, v1
	v_lshlrev_b16 v3, 8, v3
	s_waitcnt lgkmcnt(0)
	s_add_u32 s0, s0, s4
	v_and_b32_e32 v5, 0xff, v5
	v_cvt_i32_f32_e32 v2, v2
	v_lshlrev_b16 v4, 8, v4
	v_or_b32_e32 v3, v8, v3
	v_or_b32_e32 v1, v6, v1
	s_addc_u32 s1, s1, 0
	v_lshlrev_b16 v2, 8, v2
	v_or_b32_e32 v4, v5, v4
	s_add_i32 s2, s8, 3
	v_and_b32_e32 v3, 0xffff, v3
	v_and_b32_e32 v5, 0xffff, v1
	v_or_b32_e32 v2, v7, v2
	v_lshlrev_b32_e32 v4, 16, v4
	s_ashr_i32 s3, s2, 31
	v_lshlrev_b32_e32 v6, 3, v0
	s_lshr_b32 s3, s3, 30
	v_lshlrev_b32_e32 v2, 16, v2
	v_or_b32_e32 v1, v3, v4
	s_add_i32 s2, s2, s3
	s_and_b32 s1, s1, 0xffff
	s_and_b32 s2, s2, -4
	v_or_b32_e32 v0, v5, v2
	s_mov_b32 s3, -1
	buffer_store_b64 v[0:1], v6, s[0:3], 0 offen
	;;#ASMSTART
	s_nop 0
	;;#ASMEND
.LBB43_11:
	s_nop 0
	s_sendmsg sendmsg(MSG_DEALLOC_VGPRS)
	s_endpgm
	.section	.rodata,"a",@progbits
	.p2align	6, 0x0
	.amdhsa_kernel _ZN5aiter37dynamic_per_token_scaled_quant_kernelItaLi8EEEvPT0_PfPT_PKfiPKii
		.amdhsa_group_segment_fixed_size 32
		.amdhsa_private_segment_fixed_size 0
		.amdhsa_kernarg_size 52
		.amdhsa_user_sgpr_count 15
		.amdhsa_user_sgpr_dispatch_ptr 0
		.amdhsa_user_sgpr_queue_ptr 0
		.amdhsa_user_sgpr_kernarg_segment_ptr 1
		.amdhsa_user_sgpr_dispatch_id 0
		.amdhsa_user_sgpr_private_segment_size 0
		.amdhsa_wavefront_size32 1
		.amdhsa_uses_dynamic_stack 0
		.amdhsa_enable_private_segment 0
		.amdhsa_system_sgpr_workgroup_id_x 1
		.amdhsa_system_sgpr_workgroup_id_y 0
		.amdhsa_system_sgpr_workgroup_id_z 0
		.amdhsa_system_sgpr_workgroup_info 0
		.amdhsa_system_vgpr_workitem_id 0
		.amdhsa_next_free_vgpr 11
		.amdhsa_next_free_sgpr 16
		.amdhsa_reserve_vcc 1
		.amdhsa_float_round_mode_32 0
		.amdhsa_float_round_mode_16_64 0
		.amdhsa_float_denorm_mode_32 3
		.amdhsa_float_denorm_mode_16_64 3
		.amdhsa_dx10_clamp 1
		.amdhsa_ieee_mode 1
		.amdhsa_fp16_overflow 0
		.amdhsa_workgroup_processor_mode 1
		.amdhsa_memory_ordered 1
		.amdhsa_forward_progress 0
		.amdhsa_shared_vgpr_count 0
		.amdhsa_exception_fp_ieee_invalid_op 0
		.amdhsa_exception_fp_denorm_src 0
		.amdhsa_exception_fp_ieee_div_zero 0
		.amdhsa_exception_fp_ieee_overflow 0
		.amdhsa_exception_fp_ieee_underflow 0
		.amdhsa_exception_fp_ieee_inexact 0
		.amdhsa_exception_int_div_zero 0
	.end_amdhsa_kernel
	.section	.text._ZN5aiter37dynamic_per_token_scaled_quant_kernelItaLi8EEEvPT0_PfPT_PKfiPKii,"axG",@progbits,_ZN5aiter37dynamic_per_token_scaled_quant_kernelItaLi8EEEvPT0_PfPT_PKfiPKii,comdat
.Lfunc_end43:
	.size	_ZN5aiter37dynamic_per_token_scaled_quant_kernelItaLi8EEEvPT0_PfPT_PKfiPKii, .Lfunc_end43-_ZN5aiter37dynamic_per_token_scaled_quant_kernelItaLi8EEEvPT0_PfPT_PKfiPKii
                                        ; -- End function
	.section	.AMDGPU.csdata,"",@progbits
; Kernel info:
; codeLenInByte = 1132
; NumSgprs: 18
; NumVgprs: 11
; ScratchSize: 0
; MemoryBound: 0
; FloatMode: 240
; IeeeMode: 1
; LDSByteSize: 32 bytes/workgroup (compile time only)
; SGPRBlocks: 2
; VGPRBlocks: 1
; NumSGPRsForWavesPerEU: 18
; NumVGPRsForWavesPerEU: 11
; Occupancy: 16
; WaveLimiterHint : 0
; COMPUTE_PGM_RSRC2:SCRATCH_EN: 0
; COMPUTE_PGM_RSRC2:USER_SGPR: 15
; COMPUTE_PGM_RSRC2:TRAP_HANDLER: 0
; COMPUTE_PGM_RSRC2:TGID_X_EN: 1
; COMPUTE_PGM_RSRC2:TGID_Y_EN: 0
; COMPUTE_PGM_RSRC2:TGID_Z_EN: 0
; COMPUTE_PGM_RSRC2:TIDIG_COMP_CNT: 0
	.section	.text._ZN5aiter37dynamic_per_token_scaled_quant_kernelIDF16_aLi16EEEvPT0_PfPT_PKfiPKii,"axG",@progbits,_ZN5aiter37dynamic_per_token_scaled_quant_kernelIDF16_aLi16EEEvPT0_PfPT_PKfiPKii,comdat
	.protected	_ZN5aiter37dynamic_per_token_scaled_quant_kernelIDF16_aLi16EEEvPT0_PfPT_PKfiPKii ; -- Begin function _ZN5aiter37dynamic_per_token_scaled_quant_kernelIDF16_aLi16EEEvPT0_PfPT_PKfiPKii
	.globl	_ZN5aiter37dynamic_per_token_scaled_quant_kernelIDF16_aLi16EEEvPT0_PfPT_PKfiPKii
	.p2align	8
	.type	_ZN5aiter37dynamic_per_token_scaled_quant_kernelIDF16_aLi16EEEvPT0_PfPT_PKfiPKii,@function
_ZN5aiter37dynamic_per_token_scaled_quant_kernelIDF16_aLi16EEEvPT0_PfPT_PKfiPKii: ; @_ZN5aiter37dynamic_per_token_scaled_quant_kernelIDF16_aLi16EEEvPT0_PfPT_PKfiPKii
; %bb.0:
	s_load_b64 s[2:3], s[0:1], 0x28
	s_mov_b32 s6, s15
	s_waitcnt lgkmcnt(0)
	s_cmp_eq_u64 s[2:3], 0
	s_cselect_b32 s4, -1, 0
	s_delay_alu instid0(SALU_CYCLE_1)
	s_and_b32 vcc_lo, exec_lo, s4
	s_cbranch_vccnz .LBB44_2
; %bb.1:
	s_load_b32 s4, s[0:1], 0x30
	s_load_b32 s2, s[2:3], 0x0
	s_waitcnt lgkmcnt(0)
	s_mul_i32 s2, s2, s4
	s_delay_alu instid0(SALU_CYCLE_1)
	s_cmp_lt_i32 s6, s2
	s_cselect_b32 s4, -1, 0
.LBB44_2:
	s_delay_alu instid0(SALU_CYCLE_1)
	s_and_not1_b32 vcc_lo, exec_lo, s4
	s_cbranch_vccnz .LBB44_11
; %bb.3:
	s_load_b32 s8, s[0:1], 0x20
	v_mov_b32_e32 v9, 0
                                        ; implicit-def: $vgpr5
                                        ; implicit-def: $vgpr1
	s_waitcnt lgkmcnt(0)
	s_add_i32 s2, s8, 15
	s_mul_i32 s4, s6, s8
	s_ashr_i32 s3, s2, 31
	s_delay_alu instid0(SALU_CYCLE_1) | instskip(NEXT) | instid1(SALU_CYCLE_1)
	s_lshr_b32 s3, s3, 28
	s_add_i32 s2, s2, s3
	s_delay_alu instid0(SALU_CYCLE_1) | instskip(NEXT) | instid1(SALU_CYCLE_1)
	s_ashr_i32 s2, s2, 4
	v_cmp_gt_u32_e32 vcc_lo, s2, v0
	s_and_saveexec_b32 s2, vcc_lo
	s_cbranch_execz .LBB44_5
; %bb.4:
	s_load_b64 s[10:11], s[0:1], 0x10
	s_mov_b32 s5, 0
	v_lshlrev_b32_e32 v1, 5, v0
	s_lshl_b64 s[12:13], s[4:5], 1
	s_mov_b32 s15, -1
	s_waitcnt lgkmcnt(0)
	s_add_u32 s12, s10, s12
	s_addc_u32 s3, s11, s13
	s_add_i32 s5, s8, 1
	s_and_b32 s13, s3, 0xffff
	s_lshr_b32 s7, s5, 31
	s_delay_alu instid0(SALU_CYCLE_1) | instskip(NEXT) | instid1(SALU_CYCLE_1)
	s_add_i32 s5, s5, s7
	s_lshl_b32 s5, s5, 1
	s_delay_alu instid0(SALU_CYCLE_1)
	s_and_b32 s14, s5, -4
	s_clause 0x1
	buffer_load_b128 v[5:8], v1, s[12:15], 0 offen
	buffer_load_b128 v[1:4], v1, s[12:15], 16 offen
	s_waitcnt vmcnt(1)
	v_lshrrev_b32_e32 v9, 16, v5
	v_cvt_f32_f16_e64 v10, |v5|
	v_lshrrev_b32_e32 v11, 16, v6
	v_cvt_f32_f16_e64 v12, |v6|
	;; [unrolled: 2-line block ×4, first 2 shown]
	s_delay_alu instid0(VALU_DEP_4) | instskip(NEXT) | instid1(VALU_DEP_4)
	v_cvt_f32_f16_e64 v13, |v13|
	v_max3_f32 v9, v10, 0, v9
	v_cvt_f32_f16_e64 v10, |v7|
	v_cvt_f32_f16_e64 v14, |v14|
	s_delay_alu instid0(VALU_DEP_3) | instskip(SKIP_3) | instid1(VALU_DEP_3)
	v_max3_f32 v9, v9, v12, v11
	v_cvt_f32_f16_e64 v11, |v8|
	s_waitcnt vmcnt(0)
	v_lshrrev_b32_e32 v12, 16, v1
	v_max3_f32 v9, v9, v10, v13
	v_cvt_f32_f16_e64 v10, |v1|
	v_lshrrev_b32_e32 v13, 16, v2
	s_delay_alu instid0(VALU_DEP_4) | instskip(NEXT) | instid1(VALU_DEP_4)
	v_cvt_f32_f16_e64 v12, |v12|
	v_max3_f32 v9, v9, v11, v14
	v_cvt_f32_f16_e64 v11, |v2|
	v_lshrrev_b32_e32 v14, 16, v3
	v_cvt_f32_f16_e64 v13, |v13|
	s_delay_alu instid0(VALU_DEP_4) | instskip(SKIP_1) | instid1(VALU_DEP_4)
	v_max3_f32 v9, v9, v10, v12
	v_cvt_f32_f16_e64 v10, |v3|
	v_cvt_f32_f16_e64 v12, |v14|
	s_delay_alu instid0(VALU_DEP_3) | instskip(SKIP_2) | instid1(VALU_DEP_3)
	v_max3_f32 v9, v9, v11, v13
	v_lshrrev_b32_e32 v11, 16, v4
	v_cvt_f32_f16_e64 v13, |v4|
	v_max3_f32 v9, v9, v10, v12
	s_delay_alu instid0(VALU_DEP_3) | instskip(NEXT) | instid1(VALU_DEP_1)
	v_cvt_f32_f16_e64 v10, |v11|
	v_max3_f32 v9, v9, v13, v10
.LBB44_5:
	s_or_b32 exec_lo, exec_lo, s2
	s_delay_alu instid0(VALU_DEP_1) | instskip(SKIP_2) | instid1(VALU_DEP_2)
	v_mov_b32_dpp v10, v9 quad_perm:[1,0,3,2] row_mask:0xf bank_mask:0xf
	v_and_b32_e32 v11, 31, v0
	s_mov_b32 s5, exec_lo
	v_cmp_gt_f32_e64 s2, v9, v10
	s_delay_alu instid0(VALU_DEP_1) | instskip(NEXT) | instid1(VALU_DEP_1)
	v_cndmask_b32_e64 v9, v10, v9, s2
	v_mov_b32_dpp v10, v9 quad_perm:[2,3,0,1] row_mask:0xf bank_mask:0xf
	s_delay_alu instid0(VALU_DEP_1) | instskip(NEXT) | instid1(VALU_DEP_1)
	v_cmp_gt_f32_e64 s2, v9, v10
	v_cndmask_b32_e64 v9, v10, v9, s2
	s_delay_alu instid0(VALU_DEP_1) | instskip(NEXT) | instid1(VALU_DEP_1)
	v_mov_b32_dpp v10, v9 row_xmask:7 row_mask:0xf bank_mask:0xf
	v_cmp_gt_f32_e64 s2, v9, v10
	s_delay_alu instid0(VALU_DEP_1) | instskip(NEXT) | instid1(VALU_DEP_1)
	v_cndmask_b32_e64 v9, v10, v9, s2
	v_mov_b32_dpp v10, v9 row_xmask:15 row_mask:0xf bank_mask:0xf
	s_delay_alu instid0(VALU_DEP_1)
	v_cmp_gt_f32_e64 s2, v9, v10
	v_cmpx_eq_u32_e32 31, v11
	s_cbranch_execz .LBB44_7
; %bb.6:
	s_delay_alu instid0(VALU_DEP_2) | instskip(SKIP_2) | instid1(VALU_DEP_2)
	v_cndmask_b32_e64 v9, v10, v9, s2
	s_mov_b32 s2, 0x76543210
	v_lshrrev_b32_e32 v10, 3, v0
	v_permlanex16_b32 v11, v9, s2, 0xfedcba98 op_sel:[1,1]
	s_delay_alu instid0(VALU_DEP_2) | instskip(NEXT) | instid1(VALU_DEP_2)
	v_and_b32_e32 v10, 0x7c, v10
	v_cmp_gt_f32_e64 s2, v9, v11
	s_delay_alu instid0(VALU_DEP_1)
	v_cndmask_b32_e64 v9, v11, v9, s2
	ds_store_b32 v10, v9
.LBB44_7:
	s_or_b32 exec_lo, exec_lo, s5
	v_and_b32_e32 v9, 7, v0
	s_waitcnt lgkmcnt(0)
	s_barrier
	buffer_gl0_inv
	s_mov_b32 s3, exec_lo
	v_lshlrev_b32_e32 v9, 2, v9
	ds_load_b32 v9, v9
	s_waitcnt lgkmcnt(0)
	v_mov_b32_dpp v10, v9 quad_perm:[1,0,3,2] row_mask:0xf bank_mask:0xf
	s_delay_alu instid0(VALU_DEP_1) | instskip(NEXT) | instid1(VALU_DEP_1)
	v_cmp_gt_f32_e64 s2, v9, v10
	v_cndmask_b32_e64 v9, v10, v9, s2
	s_delay_alu instid0(VALU_DEP_1) | instskip(NEXT) | instid1(VALU_DEP_1)
	v_mov_b32_dpp v10, v9 quad_perm:[2,3,0,1] row_mask:0xf bank_mask:0xf
	v_cmp_gt_f32_e64 s2, v9, v10
	s_delay_alu instid0(VALU_DEP_1) | instskip(NEXT) | instid1(VALU_DEP_1)
	v_cndmask_b32_e64 v9, v10, v9, s2
	v_mov_b32_dpp v10, v9 row_xmask:7 row_mask:0xf bank_mask:0xf
	s_delay_alu instid0(VALU_DEP_1) | instskip(NEXT) | instid1(VALU_DEP_1)
	v_cmp_gt_f32_e64 s2, v9, v10
	v_cndmask_b32_e64 v9, v10, v9, s2
	s_delay_alu instid0(VALU_DEP_1)
	v_mul_f32_e32 v9, 0x3c010204, v9
	v_cmpx_eq_u32_e32 0, v0
	s_cbranch_execz .LBB44_9
; %bb.8:
	s_load_b64 s[10:11], s[0:1], 0x8
	s_ashr_i32 s7, s6, 31
	v_mov_b32_e32 v10, 0
	s_lshl_b64 s[6:7], s[6:7], 2
	s_waitcnt lgkmcnt(0)
	s_add_u32 s6, s10, s6
	s_addc_u32 s7, s11, s7
	global_store_b32 v10, v9, s[6:7]
.LBB44_9:
	s_or_b32 exec_lo, exec_lo, s3
	s_and_saveexec_b32 s2, vcc_lo
	s_cbranch_execz .LBB44_11
; %bb.10:
	v_rcp_f32_e32 v9, v9
	v_cvt_f32_f16_e32 v16, v3
	v_lshrrev_b32_e32 v3, 16, v3
	v_cvt_f32_f16_e32 v10, v5
	v_lshrrev_b32_e32 v5, 16, v5
	v_lshrrev_b32_e32 v17, 16, v4
	v_cvt_f32_f16_e32 v4, v4
	v_cvt_f32_f16_e32 v3, v3
	;; [unrolled: 1-line block ×4, first 2 shown]
	v_mul_f32_e32 v16, v9, v16
	v_cvt_f32_f16_e32 v17, v17
	v_mul_f32_e32 v3, v9, v3
	v_cvt_f32_f16_e32 v13, v8
	v_lshrrev_b32_e32 v8, 16, v8
	v_cvt_i32_f32_e32 v16, v16
	v_mul_f32_e32 v5, v9, v5
	v_cvt_i32_f32_e32 v3, v3
	v_mul_f32_e32 v17, v9, v17
	v_cvt_f32_f16_e32 v14, v1
	v_and_b32_e32 v16, 0xff, v16
	v_cvt_i32_f32_e32 v5, v5
	v_lshlrev_b16 v3, 8, v3
	v_cvt_i32_f32_e32 v17, v17
	v_lshrrev_b32_e32 v1, 16, v1
	v_cvt_f32_f16_e32 v8, v8
	v_lshlrev_b16 v5, 8, v5
	v_or_b32_e32 v3, v16, v3
	v_mul_f32_e32 v10, v9, v10
	v_lshlrev_b16 v17, 8, v17
	v_cvt_f32_f16_e32 v1, v1
	v_cvt_f32_f16_e32 v12, v7
	v_and_b32_e32 v3, 0xffff, v3
	v_cvt_i32_f32_e32 v10, v10
	v_lshrrev_b32_e32 v7, 16, v7
	v_mul_f32_e32 v1, v9, v1
	v_lshrrev_b32_e32 v6, 16, v6
	v_cvt_f32_f16_e32 v15, v2
	v_and_b32_e32 v10, 0xff, v10
	v_lshrrev_b32_e32 v2, 16, v2
	v_cvt_f32_f16_e32 v7, v7
	v_cvt_i32_f32_e32 v1, v1
	v_cvt_f32_f16_e32 v6, v6
	v_or_b32_e32 v5, v10, v5
	v_mul_f32_e32 v4, v9, v4
	v_cvt_f32_f16_e32 v2, v2
	v_lshlrev_b16 v1, 8, v1
	s_load_b64 s[0:1], s[0:1], 0x0
	v_and_b32_e32 v5, 0xffff, v5
	v_cvt_i32_f32_e32 v4, v4
	v_mul_f32_e32 v11, v9, v11
	v_mul_f32_e32 v12, v9, v12
	;; [unrolled: 1-line block ×3, first 2 shown]
	s_delay_alu instid0(VALU_DEP_4) | instskip(NEXT) | instid1(VALU_DEP_4)
	v_and_b32_e32 v4, 0xff, v4
	v_cvt_i32_f32_e32 v11, v11
	v_mul_f32_e32 v14, v9, v14
	s_delay_alu instid0(VALU_DEP_4) | instskip(NEXT) | instid1(VALU_DEP_4)
	v_cvt_i32_f32_e32 v2, v2
	v_or_b32_e32 v4, v4, v17
	s_delay_alu instid0(VALU_DEP_4) | instskip(SKIP_2) | instid1(VALU_DEP_4)
	v_and_b32_e32 v11, 0xff, v11
	v_mul_f32_e32 v13, v9, v13
	v_cvt_i32_f32_e32 v14, v14
	v_dual_mul_f32 v7, v9, v7 :: v_dual_lshlrev_b32 v4, 16, v4
	v_lshlrev_b16 v2, 8, v2
	s_delay_alu instid0(VALU_DEP_4) | instskip(NEXT) | instid1(VALU_DEP_4)
	v_cvt_i32_f32_e32 v13, v13
	v_and_b32_e32 v14, 0xff, v14
	v_mul_f32_e32 v8, v9, v8
	v_cvt_i32_f32_e32 v7, v7
	s_waitcnt lgkmcnt(0)
	s_add_u32 s0, s0, s4
	v_and_b32_e32 v13, 0xff, v13
	v_or_b32_e32 v1, v14, v1
	v_cvt_i32_f32_e32 v8, v8
	v_mul_f32_e32 v6, v9, v6
	v_lshlrev_b16 v7, 8, v7
	s_addc_u32 s1, s1, 0
	v_and_b32_e32 v1, 0xffff, v1
	v_lshlrev_b16 v8, 8, v8
	v_cvt_i32_f32_e32 v6, v6
	s_add_i32 s2, s8, 3
	v_or_b32_e32 v3, v3, v4
	s_ashr_i32 s3, s2, 31
	v_or_b32_e32 v8, v13, v8
	v_mul_f32_e32 v15, v9, v15
	v_lshlrev_b16 v6, 8, v6
	s_lshr_b32 s3, s3, 30
	s_and_b32 s1, s1, 0xffff
	v_lshlrev_b32_e32 v8, 16, v8
	v_cvt_i32_f32_e32 v9, v15
	v_or_b32_e32 v6, v11, v6
	s_add_i32 s2, s2, s3
	s_mov_b32 s3, -1
	s_and_b32 s2, s2, -4
	v_and_b32_e32 v9, 0xff, v9
	v_cvt_i32_f32_e32 v12, v12
	v_lshlrev_b32_e32 v6, 16, v6
	s_delay_alu instid0(VALU_DEP_3) | instskip(NEXT) | instid1(VALU_DEP_3)
	v_or_b32_e32 v2, v9, v2
	v_and_b32_e32 v12, 0xff, v12
	v_lshlrev_b32_e32 v9, 4, v0
	s_delay_alu instid0(VALU_DEP_4) | instskip(NEXT) | instid1(VALU_DEP_4)
	v_or_b32_e32 v0, v5, v6
	v_lshlrev_b32_e32 v2, 16, v2
	s_delay_alu instid0(VALU_DEP_4) | instskip(NEXT) | instid1(VALU_DEP_2)
	v_or_b32_e32 v7, v12, v7
	v_or_b32_e32 v2, v1, v2
	s_delay_alu instid0(VALU_DEP_2) | instskip(NEXT) | instid1(VALU_DEP_1)
	v_and_b32_e32 v7, 0xffff, v7
	v_or_b32_e32 v1, v7, v8
	buffer_store_b128 v[0:3], v9, s[0:3], 0 offen
	;;#ASMSTART
	s_nop 0
	;;#ASMEND
.LBB44_11:
	s_nop 0
	s_sendmsg sendmsg(MSG_DEALLOC_VGPRS)
	s_endpgm
	.section	.rodata,"a",@progbits
	.p2align	6, 0x0
	.amdhsa_kernel _ZN5aiter37dynamic_per_token_scaled_quant_kernelIDF16_aLi16EEEvPT0_PfPT_PKfiPKii
		.amdhsa_group_segment_fixed_size 32
		.amdhsa_private_segment_fixed_size 0
		.amdhsa_kernarg_size 52
		.amdhsa_user_sgpr_count 15
		.amdhsa_user_sgpr_dispatch_ptr 0
		.amdhsa_user_sgpr_queue_ptr 0
		.amdhsa_user_sgpr_kernarg_segment_ptr 1
		.amdhsa_user_sgpr_dispatch_id 0
		.amdhsa_user_sgpr_private_segment_size 0
		.amdhsa_wavefront_size32 1
		.amdhsa_uses_dynamic_stack 0
		.amdhsa_enable_private_segment 0
		.amdhsa_system_sgpr_workgroup_id_x 1
		.amdhsa_system_sgpr_workgroup_id_y 0
		.amdhsa_system_sgpr_workgroup_id_z 0
		.amdhsa_system_sgpr_workgroup_info 0
		.amdhsa_system_vgpr_workitem_id 0
		.amdhsa_next_free_vgpr 18
		.amdhsa_next_free_sgpr 16
		.amdhsa_reserve_vcc 1
		.amdhsa_float_round_mode_32 0
		.amdhsa_float_round_mode_16_64 0
		.amdhsa_float_denorm_mode_32 3
		.amdhsa_float_denorm_mode_16_64 3
		.amdhsa_dx10_clamp 1
		.amdhsa_ieee_mode 1
		.amdhsa_fp16_overflow 0
		.amdhsa_workgroup_processor_mode 1
		.amdhsa_memory_ordered 1
		.amdhsa_forward_progress 0
		.amdhsa_shared_vgpr_count 0
		.amdhsa_exception_fp_ieee_invalid_op 0
		.amdhsa_exception_fp_denorm_src 0
		.amdhsa_exception_fp_ieee_div_zero 0
		.amdhsa_exception_fp_ieee_overflow 0
		.amdhsa_exception_fp_ieee_underflow 0
		.amdhsa_exception_fp_ieee_inexact 0
		.amdhsa_exception_int_div_zero 0
	.end_amdhsa_kernel
	.section	.text._ZN5aiter37dynamic_per_token_scaled_quant_kernelIDF16_aLi16EEEvPT0_PfPT_PKfiPKii,"axG",@progbits,_ZN5aiter37dynamic_per_token_scaled_quant_kernelIDF16_aLi16EEEvPT0_PfPT_PKfiPKii,comdat
.Lfunc_end44:
	.size	_ZN5aiter37dynamic_per_token_scaled_quant_kernelIDF16_aLi16EEEvPT0_PfPT_PKfiPKii, .Lfunc_end44-_ZN5aiter37dynamic_per_token_scaled_quant_kernelIDF16_aLi16EEEvPT0_PfPT_PKfiPKii
                                        ; -- End function
	.section	.AMDGPU.csdata,"",@progbits
; Kernel info:
; codeLenInByte = 1484
; NumSgprs: 18
; NumVgprs: 18
; ScratchSize: 0
; MemoryBound: 0
; FloatMode: 240
; IeeeMode: 1
; LDSByteSize: 32 bytes/workgroup (compile time only)
; SGPRBlocks: 2
; VGPRBlocks: 2
; NumSGPRsForWavesPerEU: 18
; NumVGPRsForWavesPerEU: 18
; Occupancy: 16
; WaveLimiterHint : 0
; COMPUTE_PGM_RSRC2:SCRATCH_EN: 0
; COMPUTE_PGM_RSRC2:USER_SGPR: 15
; COMPUTE_PGM_RSRC2:TRAP_HANDLER: 0
; COMPUTE_PGM_RSRC2:TGID_X_EN: 1
; COMPUTE_PGM_RSRC2:TGID_Y_EN: 0
; COMPUTE_PGM_RSRC2:TGID_Z_EN: 0
; COMPUTE_PGM_RSRC2:TIDIG_COMP_CNT: 0
	.section	.text._ZN5aiter37dynamic_per_token_scaled_quant_kernelItaLi16EEEvPT0_PfPT_PKfiPKii,"axG",@progbits,_ZN5aiter37dynamic_per_token_scaled_quant_kernelItaLi16EEEvPT0_PfPT_PKfiPKii,comdat
	.protected	_ZN5aiter37dynamic_per_token_scaled_quant_kernelItaLi16EEEvPT0_PfPT_PKfiPKii ; -- Begin function _ZN5aiter37dynamic_per_token_scaled_quant_kernelItaLi16EEEvPT0_PfPT_PKfiPKii
	.globl	_ZN5aiter37dynamic_per_token_scaled_quant_kernelItaLi16EEEvPT0_PfPT_PKfiPKii
	.p2align	8
	.type	_ZN5aiter37dynamic_per_token_scaled_quant_kernelItaLi16EEEvPT0_PfPT_PKfiPKii,@function
_ZN5aiter37dynamic_per_token_scaled_quant_kernelItaLi16EEEvPT0_PfPT_PKfiPKii: ; @_ZN5aiter37dynamic_per_token_scaled_quant_kernelItaLi16EEEvPT0_PfPT_PKfiPKii
; %bb.0:
	s_load_b64 s[2:3], s[0:1], 0x28
	s_mov_b32 s6, s15
	s_waitcnt lgkmcnt(0)
	s_cmp_eq_u64 s[2:3], 0
	s_cselect_b32 s4, -1, 0
	s_delay_alu instid0(SALU_CYCLE_1)
	s_and_b32 vcc_lo, exec_lo, s4
	s_cbranch_vccnz .LBB45_2
; %bb.1:
	s_load_b32 s4, s[0:1], 0x30
	s_load_b32 s2, s[2:3], 0x0
	s_waitcnt lgkmcnt(0)
	s_mul_i32 s2, s2, s4
	s_delay_alu instid0(SALU_CYCLE_1)
	s_cmp_lt_i32 s6, s2
	s_cselect_b32 s4, -1, 0
.LBB45_2:
	s_delay_alu instid0(SALU_CYCLE_1)
	s_and_not1_b32 vcc_lo, exec_lo, s4
	s_cbranch_vccnz .LBB45_11
; %bb.3:
	s_load_b32 s8, s[0:1], 0x20
	v_mov_b32_e32 v9, 0
                                        ; implicit-def: $vgpr5
                                        ; implicit-def: $vgpr1
	s_waitcnt lgkmcnt(0)
	s_add_i32 s2, s8, 15
	s_mul_i32 s4, s6, s8
	s_ashr_i32 s3, s2, 31
	s_delay_alu instid0(SALU_CYCLE_1) | instskip(NEXT) | instid1(SALU_CYCLE_1)
	s_lshr_b32 s3, s3, 28
	s_add_i32 s2, s2, s3
	s_delay_alu instid0(SALU_CYCLE_1) | instskip(NEXT) | instid1(SALU_CYCLE_1)
	s_ashr_i32 s2, s2, 4
	v_cmp_gt_u32_e32 vcc_lo, s2, v0
	s_and_saveexec_b32 s2, vcc_lo
	s_cbranch_execz .LBB45_5
; %bb.4:
	s_load_b64 s[10:11], s[0:1], 0x10
	s_mov_b32 s5, 0
	v_lshlrev_b32_e32 v1, 5, v0
	s_lshl_b64 s[12:13], s[4:5], 1
	s_mov_b32 s15, -1
	s_waitcnt lgkmcnt(0)
	s_add_u32 s12, s10, s12
	s_addc_u32 s3, s11, s13
	s_add_i32 s5, s8, 1
	s_and_b32 s13, s3, 0xffff
	s_lshr_b32 s7, s5, 31
	s_delay_alu instid0(SALU_CYCLE_1) | instskip(NEXT) | instid1(SALU_CYCLE_1)
	s_add_i32 s5, s5, s7
	s_lshl_b32 s5, s5, 1
	s_delay_alu instid0(SALU_CYCLE_1)
	s_and_b32 s14, s5, -4
	s_clause 0x1
	buffer_load_b128 v[5:8], v1, s[12:15], 0 offen
	buffer_load_b128 v[1:4], v1, s[12:15], 16 offen
	s_waitcnt vmcnt(1)
	v_and_b32_e32 v9, 0xffff, v5
	v_lshrrev_b32_e32 v10, 16, v5
	v_and_b32_e32 v11, 0xffff, v6
	v_lshrrev_b32_e32 v12, 16, v6
	v_and_b32_e32 v13, 0xffff, v7
	v_cvt_f32_u32_e32 v9, v9
	v_cvt_f32_u32_e32 v10, v10
	v_lshrrev_b32_e32 v14, 16, v7
	v_cvt_f32_u32_e32 v11, v11
	v_cvt_f32_u32_e32 v12, v12
	v_lshrrev_b32_e32 v15, 16, v8
	v_max3_f32 v9, v9, 0, v10
	v_and_b32_e32 v10, 0xffff, v8
	v_cvt_f32_u32_e32 v13, v13
	v_cvt_f32_u32_e32 v14, v14
	;; [unrolled: 1-line block ×3, first 2 shown]
	v_max3_f32 v9, v9, v11, v12
	s_waitcnt vmcnt(0)
	v_and_b32_e32 v11, 0xffff, v1
	v_lshrrev_b32_e32 v12, 16, v1
	v_cvt_f32_u32_e32 v10, v10
	v_max3_f32 v9, v9, v13, v14
	v_and_b32_e32 v13, 0xffff, v2
	v_lshrrev_b32_e32 v14, 16, v2
	v_cvt_f32_u32_e32 v11, v11
	v_cvt_f32_u32_e32 v12, v12
	v_max3_f32 v9, v9, v10, v15
	v_and_b32_e32 v10, 0xffff, v3
	v_lshrrev_b32_e32 v15, 16, v3
	v_cvt_f32_u32_e32 v13, v13
	v_cvt_f32_u32_e32 v14, v14
	v_max3_f32 v9, v9, v11, v12
	v_and_b32_e32 v11, 0xffff, v4
	v_cvt_f32_u32_e32 v10, v10
	v_cvt_f32_u32_e32 v12, v15
	s_delay_alu instid0(VALU_DEP_4) | instskip(SKIP_2) | instid1(VALU_DEP_3)
	v_max3_f32 v9, v9, v13, v14
	v_lshrrev_b32_e32 v13, 16, v4
	v_cvt_f32_u32_e32 v11, v11
	v_max3_f32 v9, v9, v10, v12
	s_delay_alu instid0(VALU_DEP_3) | instskip(NEXT) | instid1(VALU_DEP_1)
	v_cvt_f32_u32_e32 v10, v13
	v_max3_f32 v9, v9, v11, v10
.LBB45_5:
	s_or_b32 exec_lo, exec_lo, s2
	s_delay_alu instid0(VALU_DEP_1) | instskip(SKIP_2) | instid1(VALU_DEP_2)
	v_mov_b32_dpp v10, v9 quad_perm:[1,0,3,2] row_mask:0xf bank_mask:0xf
	v_and_b32_e32 v11, 31, v0
	s_mov_b32 s5, exec_lo
	v_cmp_gt_f32_e64 s2, v9, v10
	s_delay_alu instid0(VALU_DEP_1) | instskip(NEXT) | instid1(VALU_DEP_1)
	v_cndmask_b32_e64 v9, v10, v9, s2
	v_mov_b32_dpp v10, v9 quad_perm:[2,3,0,1] row_mask:0xf bank_mask:0xf
	s_delay_alu instid0(VALU_DEP_1) | instskip(NEXT) | instid1(VALU_DEP_1)
	v_cmp_gt_f32_e64 s2, v9, v10
	v_cndmask_b32_e64 v9, v10, v9, s2
	s_delay_alu instid0(VALU_DEP_1) | instskip(NEXT) | instid1(VALU_DEP_1)
	v_mov_b32_dpp v10, v9 row_xmask:7 row_mask:0xf bank_mask:0xf
	v_cmp_gt_f32_e64 s2, v9, v10
	s_delay_alu instid0(VALU_DEP_1) | instskip(NEXT) | instid1(VALU_DEP_1)
	v_cndmask_b32_e64 v9, v10, v9, s2
	v_mov_b32_dpp v10, v9 row_xmask:15 row_mask:0xf bank_mask:0xf
	s_delay_alu instid0(VALU_DEP_1)
	v_cmp_gt_f32_e64 s2, v9, v10
	v_cmpx_eq_u32_e32 31, v11
	s_cbranch_execz .LBB45_7
; %bb.6:
	s_delay_alu instid0(VALU_DEP_2) | instskip(SKIP_2) | instid1(VALU_DEP_2)
	v_cndmask_b32_e64 v9, v10, v9, s2
	s_mov_b32 s2, 0x76543210
	v_lshrrev_b32_e32 v10, 3, v0
	v_permlanex16_b32 v11, v9, s2, 0xfedcba98 op_sel:[1,1]
	s_delay_alu instid0(VALU_DEP_2) | instskip(NEXT) | instid1(VALU_DEP_2)
	v_and_b32_e32 v10, 0x7c, v10
	v_cmp_gt_f32_e64 s2, v9, v11
	s_delay_alu instid0(VALU_DEP_1)
	v_cndmask_b32_e64 v9, v11, v9, s2
	ds_store_b32 v10, v9
.LBB45_7:
	s_or_b32 exec_lo, exec_lo, s5
	v_and_b32_e32 v9, 7, v0
	s_waitcnt lgkmcnt(0)
	s_barrier
	buffer_gl0_inv
	s_mov_b32 s3, exec_lo
	v_lshlrev_b32_e32 v9, 2, v9
	ds_load_b32 v9, v9
	s_waitcnt lgkmcnt(0)
	v_mov_b32_dpp v10, v9 quad_perm:[1,0,3,2] row_mask:0xf bank_mask:0xf
	s_delay_alu instid0(VALU_DEP_1) | instskip(NEXT) | instid1(VALU_DEP_1)
	v_cmp_gt_f32_e64 s2, v9, v10
	v_cndmask_b32_e64 v9, v10, v9, s2
	s_delay_alu instid0(VALU_DEP_1) | instskip(NEXT) | instid1(VALU_DEP_1)
	v_mov_b32_dpp v10, v9 quad_perm:[2,3,0,1] row_mask:0xf bank_mask:0xf
	v_cmp_gt_f32_e64 s2, v9, v10
	s_delay_alu instid0(VALU_DEP_1) | instskip(NEXT) | instid1(VALU_DEP_1)
	v_cndmask_b32_e64 v9, v10, v9, s2
	v_mov_b32_dpp v10, v9 row_xmask:7 row_mask:0xf bank_mask:0xf
	s_delay_alu instid0(VALU_DEP_1) | instskip(NEXT) | instid1(VALU_DEP_1)
	v_cmp_gt_f32_e64 s2, v9, v10
	v_cndmask_b32_e64 v9, v10, v9, s2
	s_delay_alu instid0(VALU_DEP_1)
	v_mul_f32_e32 v9, 0x3c010204, v9
	v_cmpx_eq_u32_e32 0, v0
	s_cbranch_execz .LBB45_9
; %bb.8:
	s_load_b64 s[10:11], s[0:1], 0x8
	s_ashr_i32 s7, s6, 31
	v_mov_b32_e32 v10, 0
	s_lshl_b64 s[6:7], s[6:7], 2
	s_waitcnt lgkmcnt(0)
	s_add_u32 s6, s10, s6
	s_addc_u32 s7, s11, s7
	global_store_b32 v10, v9, s[6:7]
.LBB45_9:
	s_or_b32 exec_lo, exec_lo, s3
	s_and_saveexec_b32 s2, vcc_lo
	s_cbranch_execz .LBB45_11
; %bb.10:
	v_rcp_f32_e32 v9, v9
	v_and_b32_e32 v12, 0xffff, v7
	v_lshrrev_b32_e32 v7, 16, v7
	s_load_b64 s[0:1], s[0:1], 0x0
	s_delay_alu instid0(VALU_DEP_2) | instskip(SKIP_4) | instid1(TRANS32_DEP_1)
	v_cvt_f32_u32_e32 v12, v12
	v_and_b32_e32 v11, 0xffff, v6
	v_lshrrev_b32_e32 v6, 16, v6
	v_cvt_f32_u32_e32 v7, v7
	v_and_b32_e32 v14, 0xffff, v1
	v_mul_f32_e32 v12, v9, v12
	v_cvt_f32_u32_e32 v11, v11
	v_and_b32_e32 v10, 0xffff, v5
	v_cvt_f32_u32_e32 v6, v6
	v_and_b32_e32 v17, 0xffff, v4
	v_lshrrev_b32_e32 v1, 16, v1
	v_mul_f32_e32 v11, v9, v11
	v_cvt_f32_u32_e32 v10, v10
	v_dual_mul_f32 v6, v9, v6 :: v_dual_and_b32 v13, 0xffff, v8
	v_cvt_f32_u32_e32 v17, v17
	v_cvt_f32_u32_e32 v1, v1
	s_delay_alu instid0(VALU_DEP_4)
	v_mul_f32_e32 v10, v9, v10
	v_mul_f32_e32 v7, v9, v7
	v_cvt_f32_u32_e32 v13, v13
	v_and_b32_e32 v16, 0xffff, v3
	v_cvt_f32_u32_e32 v14, v14
	v_mul_f32_e32 v17, v9, v17
	v_lshrrev_b32_e32 v8, 16, v8
	v_mul_f32_e32 v13, v9, v13
	v_cvt_f32_u32_e32 v16, v16
	v_lshrrev_b32_e32 v3, 16, v3
	v_cvt_i32_f32_e32 v17, v17
	v_mul_f32_e32 v14, v9, v14
	v_lshrrev_b32_e32 v5, 16, v5
	v_mul_f32_e32 v16, v9, v16
	v_cvt_f32_u32_e32 v8, v8
	v_and_b32_e32 v15, 0xffff, v2
	v_lshrrev_b32_e32 v2, 16, v2
	v_cvt_f32_u32_e32 v3, v3
	v_cvt_i32_f32_e32 v16, v16
	v_mul_f32_e32 v8, v9, v8
	v_mul_f32_e32 v1, v9, v1
	v_lshrrev_b32_e32 v4, 16, v4
	v_and_b32_e32 v17, 0xff, v17
	v_and_b32_e32 v16, 0xff, v16
	v_cvt_i32_f32_e32 v14, v14
	v_cvt_i32_f32_e32 v1, v1
	v_cvt_f32_u32_e32 v5, v5
	v_cvt_f32_u32_e32 v15, v15
	;; [unrolled: 1-line block ×4, first 2 shown]
	v_dual_mul_f32 v3, v9, v3 :: v_dual_and_b32 v14, 0xff, v14
	v_lshlrev_b16 v1, 8, v1
	v_mul_f32_e32 v5, v9, v5
	v_cvt_i32_f32_e32 v12, v12
	v_mul_f32_e32 v2, v9, v2
	v_cvt_i32_f32_e32 v10, v10
	v_or_b32_e32 v1, v14, v1
	v_mul_f32_e32 v4, v9, v4
	v_dual_mul_f32 v9, v9, v15 :: v_dual_and_b32 v12, 0xff, v12
	v_cvt_i32_f32_e32 v5, v5
	v_cvt_i32_f32_e32 v11, v11
	;; [unrolled: 1-line block ×3, first 2 shown]
	s_delay_alu instid0(VALU_DEP_4)
	v_cvt_i32_f32_e32 v9, v9
	v_cvt_i32_f32_e32 v7, v7
	;; [unrolled: 1-line block ×5, first 2 shown]
	v_and_b32_e32 v1, 0xffff, v1
	v_cvt_i32_f32_e32 v4, v4
	v_and_b32_e32 v9, 0xff, v9
	v_cvt_i32_f32_e32 v2, v2
	v_lshlrev_b16 v3, 8, v3
	v_lshlrev_b16 v7, 8, v7
	;; [unrolled: 1-line block ×5, first 2 shown]
	v_and_b32_e32 v13, 0xff, v13
	v_lshlrev_b16 v5, 8, v5
	v_and_b32_e32 v10, 0xff, v10
	v_lshlrev_b16 v6, 8, v6
	v_and_b32_e32 v11, 0xff, v11
	v_or_b32_e32 v3, v16, v3
	v_or_b32_e32 v4, v17, v4
	;; [unrolled: 1-line block ×7, first 2 shown]
	s_waitcnt lgkmcnt(0)
	s_add_u32 s0, s0, s4
	s_addc_u32 s1, s1, 0
	s_add_i32 s2, s8, 3
	v_and_b32_e32 v3, 0xffff, v3
	v_lshlrev_b32_e32 v4, 16, v4
	v_lshlrev_b32_e32 v2, 16, v2
	v_and_b32_e32 v7, 0xffff, v7
	v_lshlrev_b32_e32 v8, 16, v8
	v_and_b32_e32 v5, 0xffff, v5
	v_lshlrev_b32_e32 v6, 16, v6
	s_ashr_i32 s3, s2, 31
	v_lshlrev_b32_e32 v9, 4, v0
	s_lshr_b32 s3, s3, 30
	v_or_b32_e32 v3, v3, v4
	v_or_b32_e32 v2, v1, v2
	;; [unrolled: 1-line block ×4, first 2 shown]
	s_add_i32 s2, s2, s3
	s_and_b32 s1, s1, 0xffff
	s_and_b32 s2, s2, -4
	s_mov_b32 s3, -1
	buffer_store_b128 v[0:3], v9, s[0:3], 0 offen
	;;#ASMSTART
	s_nop 0
	;;#ASMEND
.LBB45_11:
	s_nop 0
	s_sendmsg sendmsg(MSG_DEALLOC_VGPRS)
	s_endpgm
	.section	.rodata,"a",@progbits
	.p2align	6, 0x0
	.amdhsa_kernel _ZN5aiter37dynamic_per_token_scaled_quant_kernelItaLi16EEEvPT0_PfPT_PKfiPKii
		.amdhsa_group_segment_fixed_size 32
		.amdhsa_private_segment_fixed_size 0
		.amdhsa_kernarg_size 52
		.amdhsa_user_sgpr_count 15
		.amdhsa_user_sgpr_dispatch_ptr 0
		.amdhsa_user_sgpr_queue_ptr 0
		.amdhsa_user_sgpr_kernarg_segment_ptr 1
		.amdhsa_user_sgpr_dispatch_id 0
		.amdhsa_user_sgpr_private_segment_size 0
		.amdhsa_wavefront_size32 1
		.amdhsa_uses_dynamic_stack 0
		.amdhsa_enable_private_segment 0
		.amdhsa_system_sgpr_workgroup_id_x 1
		.amdhsa_system_sgpr_workgroup_id_y 0
		.amdhsa_system_sgpr_workgroup_id_z 0
		.amdhsa_system_sgpr_workgroup_info 0
		.amdhsa_system_vgpr_workitem_id 0
		.amdhsa_next_free_vgpr 18
		.amdhsa_next_free_sgpr 16
		.amdhsa_reserve_vcc 1
		.amdhsa_float_round_mode_32 0
		.amdhsa_float_round_mode_16_64 0
		.amdhsa_float_denorm_mode_32 3
		.amdhsa_float_denorm_mode_16_64 3
		.amdhsa_dx10_clamp 1
		.amdhsa_ieee_mode 1
		.amdhsa_fp16_overflow 0
		.amdhsa_workgroup_processor_mode 1
		.amdhsa_memory_ordered 1
		.amdhsa_forward_progress 0
		.amdhsa_shared_vgpr_count 0
		.amdhsa_exception_fp_ieee_invalid_op 0
		.amdhsa_exception_fp_denorm_src 0
		.amdhsa_exception_fp_ieee_div_zero 0
		.amdhsa_exception_fp_ieee_overflow 0
		.amdhsa_exception_fp_ieee_underflow 0
		.amdhsa_exception_fp_ieee_inexact 0
		.amdhsa_exception_int_div_zero 0
	.end_amdhsa_kernel
	.section	.text._ZN5aiter37dynamic_per_token_scaled_quant_kernelItaLi16EEEvPT0_PfPT_PKfiPKii,"axG",@progbits,_ZN5aiter37dynamic_per_token_scaled_quant_kernelItaLi16EEEvPT0_PfPT_PKfiPKii,comdat
.Lfunc_end45:
	.size	_ZN5aiter37dynamic_per_token_scaled_quant_kernelItaLi16EEEvPT0_PfPT_PKfiPKii, .Lfunc_end45-_ZN5aiter37dynamic_per_token_scaled_quant_kernelItaLi16EEEvPT0_PfPT_PKfiPKii
                                        ; -- End function
	.section	.AMDGPU.csdata,"",@progbits
; Kernel info:
; codeLenInByte = 1512
; NumSgprs: 18
; NumVgprs: 18
; ScratchSize: 0
; MemoryBound: 0
; FloatMode: 240
; IeeeMode: 1
; LDSByteSize: 32 bytes/workgroup (compile time only)
; SGPRBlocks: 2
; VGPRBlocks: 2
; NumSGPRsForWavesPerEU: 18
; NumVGPRsForWavesPerEU: 18
; Occupancy: 16
; WaveLimiterHint : 0
; COMPUTE_PGM_RSRC2:SCRATCH_EN: 0
; COMPUTE_PGM_RSRC2:USER_SGPR: 15
; COMPUTE_PGM_RSRC2:TRAP_HANDLER: 0
; COMPUTE_PGM_RSRC2:TGID_X_EN: 1
; COMPUTE_PGM_RSRC2:TGID_Y_EN: 0
; COMPUTE_PGM_RSRC2:TGID_Z_EN: 0
; COMPUTE_PGM_RSRC2:TIDIG_COMP_CNT: 0
	.section	.text._ZN5aiter37dynamic_per_token_scaled_quant_kernelIDF16_aLi32EEEvPT0_PfPT_PKfiPKii,"axG",@progbits,_ZN5aiter37dynamic_per_token_scaled_quant_kernelIDF16_aLi32EEEvPT0_PfPT_PKfiPKii,comdat
	.protected	_ZN5aiter37dynamic_per_token_scaled_quant_kernelIDF16_aLi32EEEvPT0_PfPT_PKfiPKii ; -- Begin function _ZN5aiter37dynamic_per_token_scaled_quant_kernelIDF16_aLi32EEEvPT0_PfPT_PKfiPKii
	.globl	_ZN5aiter37dynamic_per_token_scaled_quant_kernelIDF16_aLi32EEEvPT0_PfPT_PKfiPKii
	.p2align	8
	.type	_ZN5aiter37dynamic_per_token_scaled_quant_kernelIDF16_aLi32EEEvPT0_PfPT_PKfiPKii,@function
_ZN5aiter37dynamic_per_token_scaled_quant_kernelIDF16_aLi32EEEvPT0_PfPT_PKfiPKii: ; @_ZN5aiter37dynamic_per_token_scaled_quant_kernelIDF16_aLi32EEEvPT0_PfPT_PKfiPKii
; %bb.0:
	s_load_b64 s[2:3], s[0:1], 0x28
	s_mov_b32 s6, s15
	s_waitcnt lgkmcnt(0)
	s_cmp_eq_u64 s[2:3], 0
	s_cselect_b32 s4, -1, 0
	s_delay_alu instid0(SALU_CYCLE_1)
	s_and_b32 vcc_lo, exec_lo, s4
	s_cbranch_vccnz .LBB46_2
; %bb.1:
	s_load_b32 s4, s[0:1], 0x30
	s_load_b32 s2, s[2:3], 0x0
	s_waitcnt lgkmcnt(0)
	s_mul_i32 s2, s2, s4
	s_delay_alu instid0(SALU_CYCLE_1)
	s_cmp_lt_i32 s6, s2
	s_cselect_b32 s4, -1, 0
.LBB46_2:
	s_delay_alu instid0(SALU_CYCLE_1)
	s_and_not1_b32 vcc_lo, exec_lo, s4
	s_cbranch_vccnz .LBB46_11
; %bb.3:
	s_load_b32 s8, s[0:1], 0x20
	v_mov_b32_e32 v17, 0
                                        ; implicit-def: $vgpr13
                                        ; implicit-def: $vgpr9
                                        ; implicit-def: $vgpr5
                                        ; implicit-def: $vgpr1
	s_waitcnt lgkmcnt(0)
	s_add_i32 s2, s8, 31
	s_mul_i32 s4, s6, s8
	s_ashr_i32 s3, s2, 31
	s_delay_alu instid0(SALU_CYCLE_1) | instskip(NEXT) | instid1(SALU_CYCLE_1)
	s_lshr_b32 s3, s3, 27
	s_add_i32 s2, s2, s3
	s_delay_alu instid0(SALU_CYCLE_1) | instskip(NEXT) | instid1(SALU_CYCLE_1)
	s_ashr_i32 s2, s2, 5
	v_cmp_gt_u32_e32 vcc_lo, s2, v0
	s_and_saveexec_b32 s2, vcc_lo
	s_cbranch_execz .LBB46_5
; %bb.4:
	s_load_b64 s[10:11], s[0:1], 0x10
	s_mov_b32 s5, 0
	v_lshlrev_b32_e32 v1, 6, v0
	s_lshl_b64 s[12:13], s[4:5], 1
	s_mov_b32 s15, -1
	s_waitcnt lgkmcnt(0)
	s_add_u32 s12, s10, s12
	s_addc_u32 s3, s11, s13
	s_add_i32 s5, s8, 1
	s_and_b32 s13, s3, 0xffff
	s_lshr_b32 s7, s5, 31
	s_delay_alu instid0(SALU_CYCLE_1) | instskip(NEXT) | instid1(SALU_CYCLE_1)
	s_add_i32 s5, s5, s7
	s_lshl_b32 s5, s5, 1
	s_delay_alu instid0(SALU_CYCLE_1)
	s_and_b32 s14, s5, -4
	s_clause 0x3
	buffer_load_b128 v[13:16], v1, s[12:15], 0 offen
	buffer_load_b128 v[9:12], v1, s[12:15], 16 offen
	buffer_load_b128 v[5:8], v1, s[12:15], 32 offen
	buffer_load_b128 v[1:4], v1, s[12:15], 48 offen
	s_waitcnt vmcnt(3)
	v_lshrrev_b32_e32 v17, 16, v13
	v_cvt_f32_f16_e64 v18, |v13|
	v_lshrrev_b32_e32 v19, 16, v14
	v_cvt_f32_f16_e64 v20, |v14|
	;; [unrolled: 2-line block ×4, first 2 shown]
	s_delay_alu instid0(VALU_DEP_4) | instskip(NEXT) | instid1(VALU_DEP_4)
	v_cvt_f32_f16_e64 v21, |v21|
	v_max3_f32 v17, v18, 0, v17
	v_cvt_f32_f16_e64 v18, |v15|
	v_cvt_f32_f16_e64 v22, |v22|
	s_delay_alu instid0(VALU_DEP_3) | instskip(SKIP_3) | instid1(VALU_DEP_3)
	v_max3_f32 v17, v17, v20, v19
	v_cvt_f32_f16_e64 v19, |v16|
	s_waitcnt vmcnt(2)
	v_lshrrev_b32_e32 v20, 16, v9
	v_max3_f32 v17, v17, v18, v21
	v_cvt_f32_f16_e64 v18, |v9|
	v_lshrrev_b32_e32 v21, 16, v10
	s_delay_alu instid0(VALU_DEP_4) | instskip(NEXT) | instid1(VALU_DEP_4)
	v_cvt_f32_f16_e64 v20, |v20|
	v_max3_f32 v17, v17, v19, v22
	v_cvt_f32_f16_e64 v19, |v10|
	v_lshrrev_b32_e32 v22, 16, v11
	v_cvt_f32_f16_e64 v21, |v21|
	s_delay_alu instid0(VALU_DEP_4) | instskip(SKIP_3) | instid1(VALU_DEP_4)
	v_max3_f32 v17, v17, v18, v20
	v_cvt_f32_f16_e64 v18, |v11|
	v_lshrrev_b32_e32 v20, 16, v12
	v_cvt_f32_f16_e64 v22, |v22|
	v_max3_f32 v17, v17, v19, v21
	v_cvt_f32_f16_e64 v19, |v12|
	s_waitcnt vmcnt(1)
	v_lshrrev_b32_e32 v21, 16, v5
	v_cvt_f32_f16_e64 v20, |v20|
	v_max3_f32 v17, v17, v18, v22
	v_cvt_f32_f16_e64 v18, |v5|
	v_lshrrev_b32_e32 v22, 16, v6
	v_cvt_f32_f16_e64 v21, |v21|
	s_delay_alu instid0(VALU_DEP_4) | instskip(SKIP_3) | instid1(VALU_DEP_4)
	v_max3_f32 v17, v17, v19, v20
	v_cvt_f32_f16_e64 v19, |v6|
	v_lshrrev_b32_e32 v20, 16, v7
	v_cvt_f32_f16_e64 v22, |v22|
	v_max3_f32 v17, v17, v18, v21
	v_cvt_f32_f16_e64 v18, |v7|
	v_lshrrev_b32_e32 v21, 16, v8
	v_cvt_f32_f16_e64 v20, |v20|
	s_delay_alu instid0(VALU_DEP_4)
	v_max3_f32 v17, v17, v19, v22
	v_cvt_f32_f16_e64 v19, |v8|
	s_waitcnt vmcnt(0)
	v_lshrrev_b32_e32 v22, 16, v1
	v_cvt_f32_f16_e64 v21, |v21|
	v_max3_f32 v17, v17, v18, v20
	v_cvt_f32_f16_e64 v18, |v1|
	v_lshrrev_b32_e32 v20, 16, v2
	v_cvt_f32_f16_e64 v22, |v22|
	s_delay_alu instid0(VALU_DEP_4) | instskip(SKIP_3) | instid1(VALU_DEP_4)
	v_max3_f32 v17, v17, v19, v21
	v_cvt_f32_f16_e64 v19, |v2|
	v_lshrrev_b32_e32 v21, 16, v3
	v_cvt_f32_f16_e64 v20, |v20|
	v_max3_f32 v17, v17, v18, v22
	v_cvt_f32_f16_e64 v18, |v3|
	s_delay_alu instid0(VALU_DEP_4) | instskip(NEXT) | instid1(VALU_DEP_3)
	v_cvt_f32_f16_e64 v21, |v21|
	v_max3_f32 v17, v17, v19, v20
	v_lshrrev_b32_e32 v19, 16, v4
	v_cvt_f32_f16_e64 v20, |v4|
	s_delay_alu instid0(VALU_DEP_3) | instskip(NEXT) | instid1(VALU_DEP_3)
	v_max3_f32 v17, v17, v18, v21
	v_cvt_f32_f16_e64 v18, |v19|
	s_delay_alu instid0(VALU_DEP_1)
	v_max3_f32 v17, v17, v20, v18
.LBB46_5:
	s_or_b32 exec_lo, exec_lo, s2
	s_delay_alu instid0(VALU_DEP_1) | instskip(SKIP_2) | instid1(VALU_DEP_2)
	v_mov_b32_dpp v18, v17 quad_perm:[1,0,3,2] row_mask:0xf bank_mask:0xf
	v_and_b32_e32 v19, 31, v0
	s_mov_b32 s5, exec_lo
	v_cmp_gt_f32_e64 s2, v17, v18
	s_delay_alu instid0(VALU_DEP_1) | instskip(NEXT) | instid1(VALU_DEP_1)
	v_cndmask_b32_e64 v17, v18, v17, s2
	v_mov_b32_dpp v18, v17 quad_perm:[2,3,0,1] row_mask:0xf bank_mask:0xf
	s_delay_alu instid0(VALU_DEP_1) | instskip(NEXT) | instid1(VALU_DEP_1)
	v_cmp_gt_f32_e64 s2, v17, v18
	v_cndmask_b32_e64 v17, v18, v17, s2
	s_delay_alu instid0(VALU_DEP_1) | instskip(NEXT) | instid1(VALU_DEP_1)
	v_mov_b32_dpp v18, v17 row_xmask:7 row_mask:0xf bank_mask:0xf
	v_cmp_gt_f32_e64 s2, v17, v18
	s_delay_alu instid0(VALU_DEP_1) | instskip(NEXT) | instid1(VALU_DEP_1)
	v_cndmask_b32_e64 v17, v18, v17, s2
	v_mov_b32_dpp v18, v17 row_xmask:15 row_mask:0xf bank_mask:0xf
	s_delay_alu instid0(VALU_DEP_1)
	v_cmp_gt_f32_e64 s2, v17, v18
	v_cmpx_eq_u32_e32 31, v19
	s_cbranch_execz .LBB46_7
; %bb.6:
	s_delay_alu instid0(VALU_DEP_2) | instskip(SKIP_2) | instid1(VALU_DEP_2)
	v_cndmask_b32_e64 v17, v18, v17, s2
	s_mov_b32 s2, 0x76543210
	v_lshrrev_b32_e32 v18, 3, v0
	v_permlanex16_b32 v19, v17, s2, 0xfedcba98 op_sel:[1,1]
	s_delay_alu instid0(VALU_DEP_2) | instskip(NEXT) | instid1(VALU_DEP_2)
	v_and_b32_e32 v18, 0x7c, v18
	v_cmp_gt_f32_e64 s2, v17, v19
	s_delay_alu instid0(VALU_DEP_1)
	v_cndmask_b32_e64 v17, v19, v17, s2
	ds_store_b32 v18, v17
.LBB46_7:
	s_or_b32 exec_lo, exec_lo, s5
	v_and_b32_e32 v17, 7, v0
	s_waitcnt lgkmcnt(0)
	s_barrier
	buffer_gl0_inv
	s_mov_b32 s3, exec_lo
	v_lshlrev_b32_e32 v17, 2, v17
	ds_load_b32 v17, v17
	s_waitcnt lgkmcnt(0)
	v_mov_b32_dpp v18, v17 quad_perm:[1,0,3,2] row_mask:0xf bank_mask:0xf
	s_delay_alu instid0(VALU_DEP_1) | instskip(NEXT) | instid1(VALU_DEP_1)
	v_cmp_gt_f32_e64 s2, v17, v18
	v_cndmask_b32_e64 v17, v18, v17, s2
	s_delay_alu instid0(VALU_DEP_1) | instskip(NEXT) | instid1(VALU_DEP_1)
	v_mov_b32_dpp v18, v17 quad_perm:[2,3,0,1] row_mask:0xf bank_mask:0xf
	v_cmp_gt_f32_e64 s2, v17, v18
	s_delay_alu instid0(VALU_DEP_1) | instskip(NEXT) | instid1(VALU_DEP_1)
	v_cndmask_b32_e64 v17, v18, v17, s2
	v_mov_b32_dpp v18, v17 row_xmask:7 row_mask:0xf bank_mask:0xf
	s_delay_alu instid0(VALU_DEP_1) | instskip(NEXT) | instid1(VALU_DEP_1)
	v_cmp_gt_f32_e64 s2, v17, v18
	v_cndmask_b32_e64 v17, v18, v17, s2
	s_delay_alu instid0(VALU_DEP_1)
	v_mul_f32_e32 v17, 0x3c010204, v17
	v_cmpx_eq_u32_e32 0, v0
	s_cbranch_execz .LBB46_9
; %bb.8:
	s_load_b64 s[10:11], s[0:1], 0x8
	s_ashr_i32 s7, s6, 31
	v_mov_b32_e32 v18, 0
	s_lshl_b64 s[6:7], s[6:7], 2
	s_waitcnt lgkmcnt(0)
	s_add_u32 s6, s10, s6
	s_addc_u32 s7, s11, s7
	global_store_b32 v18, v17, s[6:7]
.LBB46_9:
	s_or_b32 exec_lo, exec_lo, s3
	s_and_saveexec_b32 s2, vcc_lo
	s_cbranch_execz .LBB46_11
; %bb.10:
	v_rcp_f32_e32 v17, v17
	v_cvt_f32_f16_e32 v23, v10
	v_lshrrev_b32_e32 v10, 16, v10
	v_cvt_f32_f16_e32 v19, v14
	v_lshrrev_b32_e32 v14, 16, v14
	v_lshrrev_b32_e32 v25, 16, v12
	v_cvt_f32_f16_e32 v12, v12
	v_cvt_f32_f16_e32 v10, v10
	v_lshrrev_b32_e32 v24, 16, v11
	v_cvt_f32_f16_e32 v14, v14
	v_mul_f32_e32 v23, v17, v23
	v_mul_f32_e32 v12, v17, v12
	;; [unrolled: 1-line block ×3, first 2 shown]
	v_cvt_f32_f16_e32 v11, v11
	v_cvt_f32_f16_e32 v24, v24
	v_cvt_i32_f32_e32 v23, v23
	v_mul_f32_e32 v14, v17, v14
	v_cvt_i32_f32_e32 v10, v10
	v_cvt_i32_f32_e32 v12, v12
	v_mul_f32_e32 v19, v17, v19
	v_and_b32_e32 v23, 0xff, v23
	v_lshlrev_b32_e32 v18, 5, v0
	v_lshlrev_b16 v10, 8, v10
	v_and_b32_e32 v12, 0xff, v12
	v_cvt_i32_f32_e32 v19, v19
	v_mul_f32_e32 v24, v17, v24
	v_cvt_f32_f16_e32 v0, v13
	v_or_b32_e32 v10, v23, v10
	v_mul_f32_e32 v11, v17, v11
	v_and_b32_e32 v19, 0xff, v19
	v_cvt_i32_f32_e32 v24, v24
	v_cvt_f32_f16_e32 v20, v15
	v_lshlrev_b32_e32 v10, 16, v10
	v_cvt_i32_f32_e32 v11, v11
	v_mul_f32_e32 v0, v17, v0
	v_lshlrev_b16 v24, 8, v24
	v_cvt_f32_f16_e32 v21, v16
	v_lshrrev_b32_e32 v16, 16, v16
	v_and_b32_e32 v11, 0xff, v11
	v_lshrrev_b32_e32 v15, 16, v15
	v_cvt_f32_f16_e32 v22, v9
	v_cvt_f32_f16_e32 v25, v25
	;; [unrolled: 1-line block ×3, first 2 shown]
	v_or_b32_e32 v11, v11, v24
	v_mul_f32_e32 v20, v17, v20
	v_cvt_f32_f16_e32 v15, v15
	v_mul_f32_e32 v22, v17, v22
	v_lshrrev_b32_e32 v9, 16, v9
	v_and_b32_e32 v11, 0xffff, v11
	v_cvt_i32_f32_e32 v20, v20
	v_mul_f32_e32 v21, v17, v21
	v_cvt_i32_f32_e32 v22, v22
	v_mul_f32_e32 v15, v17, v15
	v_cvt_f32_f16_e32 v9, v9
	v_and_b32_e32 v20, 0xff, v20
	v_cvt_i32_f32_e32 v21, v21
	v_and_b32_e32 v22, 0xff, v22
	v_mul_f32_e32 v16, v17, v16
	v_cvt_i32_f32_e32 v15, v15
	v_cvt_i32_f32_e32 v14, v14
	v_and_b32_e32 v21, 0xff, v21
	v_lshrrev_b32_e32 v13, 16, v13
	v_cvt_i32_f32_e32 v16, v16
	v_lshlrev_b16 v15, 8, v15
	v_lshlrev_b16 v14, 8, v14
	v_cvt_i32_f32_e32 v0, v0
	v_cvt_f32_f16_e32 v13, v13
	v_lshlrev_b16 v16, 8, v16
	v_or_b32_e32 v15, v20, v15
	v_lshrrev_b32_e32 v20, 16, v2
	v_cvt_f32_f16_e32 v2, v2
	v_mul_f32_e32 v13, v17, v13
	v_or_b32_e32 v16, v21, v16
	v_mul_f32_e32 v25, v17, v25
	v_lshrrev_b32_e32 v21, 16, v3
	v_mul_f32_e32 v2, v17, v2
	v_cvt_i32_f32_e32 v13, v13
	v_lshlrev_b32_e32 v16, 16, v16
	v_cvt_i32_f32_e32 v25, v25
	v_cvt_f32_f16_e32 v3, v3
	v_cvt_i32_f32_e32 v2, v2
	v_cvt_f32_f16_e32 v21, v21
	v_and_b32_e32 v0, 0xff, v0
	v_lshlrev_b16 v24, 8, v25
	v_lshlrev_b16 v13, 8, v13
	v_and_b32_e32 v15, 0xffff, v15
	v_mul_f32_e32 v21, v17, v21
	v_cvt_f32_f16_e32 v20, v20
	v_or_b32_e32 v12, v12, v24
	v_mul_f32_e32 v9, v17, v9
	v_or_b32_e32 v0, v0, v13
	v_lshrrev_b32_e32 v13, 16, v5
	v_cvt_f32_f16_e32 v5, v5
	v_lshlrev_b32_e32 v12, 16, v12
	v_cvt_i32_f32_e32 v9, v9
	v_and_b32_e32 v2, 0xff, v2
	v_cvt_i32_f32_e32 v21, v21
	v_dual_mul_f32 v5, v17, v5 :: v_dual_and_b32 v0, 0xffff, v0
	v_or_b32_e32 v11, v11, v12
	v_or_b32_e32 v12, v19, v14
	v_lshrrev_b32_e32 v19, 16, v1
	v_cvt_f32_f16_e32 v1, v1
	v_lshrrev_b32_e32 v14, 16, v6
	v_cvt_f32_f16_e32 v6, v6
	v_lshlrev_b16 v9, 8, v9
	v_cvt_f32_f16_e32 v19, v19
	v_mul_f32_e32 v1, v17, v1
	v_cvt_f32_f16_e32 v14, v14
	v_lshlrev_b16 v21, 8, v21
	v_or_b32_e32 v9, v22, v9
	v_lshrrev_b32_e32 v22, 16, v4
	v_cvt_i32_f32_e32 v1, v1
	v_mul_f32_e32 v6, v17, v6
	v_cvt_f32_f16_e32 v4, v4
	v_and_b32_e32 v9, 0xffff, v9
	v_cvt_f32_f16_e32 v22, v22
	v_and_b32_e32 v1, 0xff, v1
	v_cvt_i32_f32_e32 v6, v6
	v_mul_f32_e32 v3, v17, v3
	v_cvt_i32_f32_e32 v5, v5
	v_mul_f32_e32 v19, v17, v19
	v_mul_f32_e32 v4, v17, v4
	v_and_b32_e32 v6, 0xff, v6
	v_cvt_i32_f32_e32 v3, v3
	v_dual_mul_f32 v22, v17, v22 :: v_dual_and_b32 v5, 0xff, v5
	v_or_b32_e32 v10, v9, v10
	v_or_b32_e32 v9, v15, v16
	s_delay_alu instid0(VALU_DEP_4)
	v_and_b32_e32 v3, 0xff, v3
	v_lshrrev_b32_e32 v15, 16, v7
	v_lshrrev_b32_e32 v16, 16, v8
	v_cvt_f32_f16_e32 v7, v7
	v_cvt_i32_f32_e32 v4, v4
	v_or_b32_e32 v3, v3, v21
	v_mul_f32_e32 v14, v17, v14
	v_cvt_i32_f32_e32 v22, v22
	v_cvt_i32_f32_e32 v19, v19
	v_cvt_f32_f16_e32 v13, v13
	v_and_b32_e32 v3, 0xffff, v3
	v_cvt_i32_f32_e32 v14, v14
	v_cvt_f32_f16_e32 v15, v15
	v_cvt_f32_f16_e32 v8, v8
	;; [unrolled: 1-line block ×3, first 2 shown]
	v_dual_mul_f32 v7, v17, v7 :: v_dual_and_b32 v4, 0xff, v4
	v_lshlrev_b16 v22, 8, v22
	v_lshlrev_b16 v19, 8, v19
	;; [unrolled: 1-line block ×3, first 2 shown]
	s_load_b64 s[0:1], s[0:1], 0x0
	v_dual_mul_f32 v13, v17, v13 :: v_dual_lshlrev_b32 v12, 16, v12
	v_cvt_i32_f32_e32 v7, v7
	v_mul_f32_e32 v16, v17, v16
	v_or_b32_e32 v4, v4, v22
	v_mul_f32_e32 v15, v17, v15
	v_or_b32_e32 v1, v1, v19
	;; [unrolled: 2-line block ×3, first 2 shown]
	v_mul_f32_e32 v17, v17, v20
	v_cvt_i32_f32_e32 v13, v13
	v_lshlrev_b32_e32 v4, 16, v4
	v_cvt_i32_f32_e32 v15, v15
	v_lshlrev_b32_e32 v6, 16, v6
	v_cvt_i32_f32_e32 v17, v17
	v_and_b32_e32 v1, 0xffff, v1
	v_cvt_i32_f32_e32 v8, v8
	v_and_b32_e32 v7, 0xff, v7
	v_cvt_i32_f32_e32 v16, v16
	v_lshlrev_b16 v17, 8, v17
	v_lshlrev_b16 v15, 8, v15
	v_and_b32_e32 v8, 0xff, v8
	v_lshlrev_b16 v13, 8, v13
	v_lshlrev_b16 v16, 8, v16
	v_or_b32_e32 v2, v2, v17
	v_or_b32_e32 v7, v7, v15
	s_waitcnt lgkmcnt(0)
	s_add_u32 s0, s0, s4
	v_or_b32_e32 v5, v5, v13
	v_or_b32_e32 v8, v8, v16
	s_addc_u32 s1, s1, 0
	s_add_i32 s2, s8, 3
	v_lshlrev_b32_e32 v2, 16, v2
	v_and_b32_e32 v7, 0xffff, v7
	v_lshlrev_b32_e32 v13, 16, v8
	v_and_b32_e32 v5, 0xffff, v5
	s_ashr_i32 s3, s2, 31
	v_or_b32_e32 v8, v0, v12
	s_lshr_b32 s3, s3, 30
	v_or_b32_e32 v3, v3, v4
	v_or_b32_e32 v2, v1, v2
	;; [unrolled: 1-line block ×4, first 2 shown]
	s_add_i32 s2, s2, s3
	s_and_b32 s1, s1, 0xffff
	s_and_b32 s2, s2, -4
	s_mov_b32 s3, -1
	buffer_store_b128 v[8:11], v18, s[0:3], 0 offen
	;;#ASMSTART
	s_nop 0
	;;#ASMEND
	buffer_store_b128 v[0:3], v18, s[0:3], 16 offen
	;;#ASMSTART
	s_nop 0
	;;#ASMEND
.LBB46_11:
	s_nop 0
	s_sendmsg sendmsg(MSG_DEALLOC_VGPRS)
	s_endpgm
	.section	.rodata,"a",@progbits
	.p2align	6, 0x0
	.amdhsa_kernel _ZN5aiter37dynamic_per_token_scaled_quant_kernelIDF16_aLi32EEEvPT0_PfPT_PKfiPKii
		.amdhsa_group_segment_fixed_size 32
		.amdhsa_private_segment_fixed_size 0
		.amdhsa_kernarg_size 52
		.amdhsa_user_sgpr_count 15
		.amdhsa_user_sgpr_dispatch_ptr 0
		.amdhsa_user_sgpr_queue_ptr 0
		.amdhsa_user_sgpr_kernarg_segment_ptr 1
		.amdhsa_user_sgpr_dispatch_id 0
		.amdhsa_user_sgpr_private_segment_size 0
		.amdhsa_wavefront_size32 1
		.amdhsa_uses_dynamic_stack 0
		.amdhsa_enable_private_segment 0
		.amdhsa_system_sgpr_workgroup_id_x 1
		.amdhsa_system_sgpr_workgroup_id_y 0
		.amdhsa_system_sgpr_workgroup_id_z 0
		.amdhsa_system_sgpr_workgroup_info 0
		.amdhsa_system_vgpr_workitem_id 0
		.amdhsa_next_free_vgpr 26
		.amdhsa_next_free_sgpr 16
		.amdhsa_reserve_vcc 1
		.amdhsa_float_round_mode_32 0
		.amdhsa_float_round_mode_16_64 0
		.amdhsa_float_denorm_mode_32 3
		.amdhsa_float_denorm_mode_16_64 3
		.amdhsa_dx10_clamp 1
		.amdhsa_ieee_mode 1
		.amdhsa_fp16_overflow 0
		.amdhsa_workgroup_processor_mode 1
		.amdhsa_memory_ordered 1
		.amdhsa_forward_progress 0
		.amdhsa_shared_vgpr_count 0
		.amdhsa_exception_fp_ieee_invalid_op 0
		.amdhsa_exception_fp_denorm_src 0
		.amdhsa_exception_fp_ieee_div_zero 0
		.amdhsa_exception_fp_ieee_overflow 0
		.amdhsa_exception_fp_ieee_underflow 0
		.amdhsa_exception_fp_ieee_inexact 0
		.amdhsa_exception_int_div_zero 0
	.end_amdhsa_kernel
	.section	.text._ZN5aiter37dynamic_per_token_scaled_quant_kernelIDF16_aLi32EEEvPT0_PfPT_PKfiPKii,"axG",@progbits,_ZN5aiter37dynamic_per_token_scaled_quant_kernelIDF16_aLi32EEEvPT0_PfPT_PKfiPKii,comdat
.Lfunc_end46:
	.size	_ZN5aiter37dynamic_per_token_scaled_quant_kernelIDF16_aLi32EEEvPT0_PfPT_PKfiPKii, .Lfunc_end46-_ZN5aiter37dynamic_per_token_scaled_quant_kernelIDF16_aLi32EEEvPT0_PfPT_PKfiPKii
                                        ; -- End function
	.section	.AMDGPU.csdata,"",@progbits
; Kernel info:
; codeLenInByte = 2196
; NumSgprs: 18
; NumVgprs: 26
; ScratchSize: 0
; MemoryBound: 0
; FloatMode: 240
; IeeeMode: 1
; LDSByteSize: 32 bytes/workgroup (compile time only)
; SGPRBlocks: 2
; VGPRBlocks: 3
; NumSGPRsForWavesPerEU: 18
; NumVGPRsForWavesPerEU: 26
; Occupancy: 16
; WaveLimiterHint : 0
; COMPUTE_PGM_RSRC2:SCRATCH_EN: 0
; COMPUTE_PGM_RSRC2:USER_SGPR: 15
; COMPUTE_PGM_RSRC2:TRAP_HANDLER: 0
; COMPUTE_PGM_RSRC2:TGID_X_EN: 1
; COMPUTE_PGM_RSRC2:TGID_Y_EN: 0
; COMPUTE_PGM_RSRC2:TGID_Z_EN: 0
; COMPUTE_PGM_RSRC2:TIDIG_COMP_CNT: 0
	.section	.text._ZN5aiter37dynamic_per_token_scaled_quant_kernelItaLi32EEEvPT0_PfPT_PKfiPKii,"axG",@progbits,_ZN5aiter37dynamic_per_token_scaled_quant_kernelItaLi32EEEvPT0_PfPT_PKfiPKii,comdat
	.protected	_ZN5aiter37dynamic_per_token_scaled_quant_kernelItaLi32EEEvPT0_PfPT_PKfiPKii ; -- Begin function _ZN5aiter37dynamic_per_token_scaled_quant_kernelItaLi32EEEvPT0_PfPT_PKfiPKii
	.globl	_ZN5aiter37dynamic_per_token_scaled_quant_kernelItaLi32EEEvPT0_PfPT_PKfiPKii
	.p2align	8
	.type	_ZN5aiter37dynamic_per_token_scaled_quant_kernelItaLi32EEEvPT0_PfPT_PKfiPKii,@function
_ZN5aiter37dynamic_per_token_scaled_quant_kernelItaLi32EEEvPT0_PfPT_PKfiPKii: ; @_ZN5aiter37dynamic_per_token_scaled_quant_kernelItaLi32EEEvPT0_PfPT_PKfiPKii
; %bb.0:
	s_load_b64 s[2:3], s[0:1], 0x28
	s_mov_b32 s6, s15
	s_waitcnt lgkmcnt(0)
	s_cmp_eq_u64 s[2:3], 0
	s_cselect_b32 s4, -1, 0
	s_delay_alu instid0(SALU_CYCLE_1)
	s_and_b32 vcc_lo, exec_lo, s4
	s_cbranch_vccnz .LBB47_2
; %bb.1:
	s_load_b32 s4, s[0:1], 0x30
	s_load_b32 s2, s[2:3], 0x0
	s_waitcnt lgkmcnt(0)
	s_mul_i32 s2, s2, s4
	s_delay_alu instid0(SALU_CYCLE_1)
	s_cmp_lt_i32 s6, s2
	s_cselect_b32 s4, -1, 0
.LBB47_2:
	s_delay_alu instid0(SALU_CYCLE_1)
	s_and_not1_b32 vcc_lo, exec_lo, s4
	s_cbranch_vccnz .LBB47_11
; %bb.3:
	s_load_b32 s8, s[0:1], 0x20
	v_mov_b32_e32 v17, 0
                                        ; implicit-def: $vgpr13
                                        ; implicit-def: $vgpr9
                                        ; implicit-def: $vgpr5
                                        ; implicit-def: $vgpr1
	s_waitcnt lgkmcnt(0)
	s_add_i32 s2, s8, 31
	s_mul_i32 s4, s6, s8
	s_ashr_i32 s3, s2, 31
	s_delay_alu instid0(SALU_CYCLE_1) | instskip(NEXT) | instid1(SALU_CYCLE_1)
	s_lshr_b32 s3, s3, 27
	s_add_i32 s2, s2, s3
	s_delay_alu instid0(SALU_CYCLE_1) | instskip(NEXT) | instid1(SALU_CYCLE_1)
	s_ashr_i32 s2, s2, 5
	v_cmp_gt_u32_e32 vcc_lo, s2, v0
	s_and_saveexec_b32 s2, vcc_lo
	s_cbranch_execz .LBB47_5
; %bb.4:
	s_load_b64 s[10:11], s[0:1], 0x10
	s_mov_b32 s5, 0
	v_lshlrev_b32_e32 v1, 6, v0
	s_lshl_b64 s[12:13], s[4:5], 1
	s_mov_b32 s15, -1
	s_waitcnt lgkmcnt(0)
	s_add_u32 s12, s10, s12
	s_addc_u32 s3, s11, s13
	s_add_i32 s5, s8, 1
	s_and_b32 s13, s3, 0xffff
	s_lshr_b32 s7, s5, 31
	s_delay_alu instid0(SALU_CYCLE_1) | instskip(NEXT) | instid1(SALU_CYCLE_1)
	s_add_i32 s5, s5, s7
	s_lshl_b32 s5, s5, 1
	s_delay_alu instid0(SALU_CYCLE_1)
	s_and_b32 s14, s5, -4
	s_clause 0x3
	buffer_load_b128 v[13:16], v1, s[12:15], 0 offen
	buffer_load_b128 v[9:12], v1, s[12:15], 16 offen
	;; [unrolled: 1-line block ×4, first 2 shown]
	s_waitcnt vmcnt(3)
	v_and_b32_e32 v17, 0xffff, v13
	v_lshrrev_b32_e32 v18, 16, v13
	v_and_b32_e32 v19, 0xffff, v14
	v_lshrrev_b32_e32 v20, 16, v14
	v_and_b32_e32 v21, 0xffff, v15
	v_cvt_f32_u32_e32 v17, v17
	v_cvt_f32_u32_e32 v18, v18
	v_lshrrev_b32_e32 v22, 16, v15
	v_cvt_f32_u32_e32 v19, v19
	v_cvt_f32_u32_e32 v20, v20
	v_lshrrev_b32_e32 v23, 16, v16
	v_max3_f32 v17, v17, 0, v18
	v_and_b32_e32 v18, 0xffff, v16
	v_cvt_f32_u32_e32 v21, v21
	v_cvt_f32_u32_e32 v22, v22
	;; [unrolled: 1-line block ×3, first 2 shown]
	v_max3_f32 v17, v17, v19, v20
	s_waitcnt vmcnt(2)
	v_and_b32_e32 v19, 0xffff, v9
	v_lshrrev_b32_e32 v20, 16, v9
	v_cvt_f32_u32_e32 v18, v18
	v_max3_f32 v17, v17, v21, v22
	v_and_b32_e32 v21, 0xffff, v10
	v_lshrrev_b32_e32 v22, 16, v10
	v_cvt_f32_u32_e32 v19, v19
	v_cvt_f32_u32_e32 v20, v20
	v_max3_f32 v17, v17, v18, v23
	v_and_b32_e32 v18, 0xffff, v11
	v_lshrrev_b32_e32 v23, 16, v11
	v_cvt_f32_u32_e32 v21, v21
	;; [unrolled: 5-line block ×3, first 2 shown]
	v_cvt_f32_u32_e32 v23, v23
	v_max3_f32 v17, v17, v21, v22
	s_waitcnt vmcnt(1)
	v_and_b32_e32 v21, 0xffff, v5
	v_lshrrev_b32_e32 v22, 16, v5
	v_cvt_f32_u32_e32 v19, v19
	v_cvt_f32_u32_e32 v20, v20
	v_max3_f32 v17, v17, v18, v23
	v_and_b32_e32 v18, 0xffff, v6
	v_lshrrev_b32_e32 v23, 16, v6
	v_cvt_f32_u32_e32 v21, v21
	v_cvt_f32_u32_e32 v22, v22
	v_max3_f32 v17, v17, v19, v20
	v_and_b32_e32 v19, 0xffff, v7
	v_lshrrev_b32_e32 v20, 16, v7
	v_cvt_f32_u32_e32 v18, v18
	v_cvt_f32_u32_e32 v23, v23
	v_max3_f32 v17, v17, v21, v22
	v_and_b32_e32 v21, 0xffff, v8
	v_lshrrev_b32_e32 v22, 16, v8
	v_cvt_f32_u32_e32 v19, v19
	v_cvt_f32_u32_e32 v20, v20
	v_max3_f32 v17, v17, v18, v23
	s_waitcnt vmcnt(0)
	v_and_b32_e32 v18, 0xffff, v1
	v_lshrrev_b32_e32 v23, 16, v1
	v_cvt_f32_u32_e32 v21, v21
	v_cvt_f32_u32_e32 v22, v22
	v_max3_f32 v17, v17, v19, v20
	v_and_b32_e32 v19, 0xffff, v2
	v_lshrrev_b32_e32 v20, 16, v2
	v_cvt_f32_u32_e32 v18, v18
	v_cvt_f32_u32_e32 v23, v23
	v_max3_f32 v17, v17, v21, v22
	;; [unrolled: 5-line block ×3, first 2 shown]
	v_and_b32_e32 v18, 0xffff, v4
	v_cvt_f32_u32_e32 v21, v21
	v_cvt_f32_u32_e32 v22, v22
	s_delay_alu instid0(VALU_DEP_4) | instskip(SKIP_2) | instid1(VALU_DEP_3)
	v_max3_f32 v17, v17, v19, v20
	v_lshrrev_b32_e32 v19, 16, v4
	v_cvt_f32_u32_e32 v18, v18
	v_max3_f32 v17, v17, v21, v22
	s_delay_alu instid0(VALU_DEP_3) | instskip(NEXT) | instid1(VALU_DEP_1)
	v_cvt_f32_u32_e32 v19, v19
	v_max3_f32 v17, v17, v18, v19
.LBB47_5:
	s_or_b32 exec_lo, exec_lo, s2
	s_delay_alu instid0(VALU_DEP_1) | instskip(SKIP_2) | instid1(VALU_DEP_2)
	v_mov_b32_dpp v18, v17 quad_perm:[1,0,3,2] row_mask:0xf bank_mask:0xf
	v_and_b32_e32 v19, 31, v0
	s_mov_b32 s5, exec_lo
	v_cmp_gt_f32_e64 s2, v17, v18
	s_delay_alu instid0(VALU_DEP_1) | instskip(NEXT) | instid1(VALU_DEP_1)
	v_cndmask_b32_e64 v17, v18, v17, s2
	v_mov_b32_dpp v18, v17 quad_perm:[2,3,0,1] row_mask:0xf bank_mask:0xf
	s_delay_alu instid0(VALU_DEP_1) | instskip(NEXT) | instid1(VALU_DEP_1)
	v_cmp_gt_f32_e64 s2, v17, v18
	v_cndmask_b32_e64 v17, v18, v17, s2
	s_delay_alu instid0(VALU_DEP_1) | instskip(NEXT) | instid1(VALU_DEP_1)
	v_mov_b32_dpp v18, v17 row_xmask:7 row_mask:0xf bank_mask:0xf
	v_cmp_gt_f32_e64 s2, v17, v18
	s_delay_alu instid0(VALU_DEP_1) | instskip(NEXT) | instid1(VALU_DEP_1)
	v_cndmask_b32_e64 v17, v18, v17, s2
	v_mov_b32_dpp v18, v17 row_xmask:15 row_mask:0xf bank_mask:0xf
	s_delay_alu instid0(VALU_DEP_1)
	v_cmp_gt_f32_e64 s2, v17, v18
	v_cmpx_eq_u32_e32 31, v19
	s_cbranch_execz .LBB47_7
; %bb.6:
	s_delay_alu instid0(VALU_DEP_2) | instskip(SKIP_2) | instid1(VALU_DEP_2)
	v_cndmask_b32_e64 v17, v18, v17, s2
	s_mov_b32 s2, 0x76543210
	v_lshrrev_b32_e32 v18, 3, v0
	v_permlanex16_b32 v19, v17, s2, 0xfedcba98 op_sel:[1,1]
	s_delay_alu instid0(VALU_DEP_2) | instskip(NEXT) | instid1(VALU_DEP_2)
	v_and_b32_e32 v18, 0x7c, v18
	v_cmp_gt_f32_e64 s2, v17, v19
	s_delay_alu instid0(VALU_DEP_1)
	v_cndmask_b32_e64 v17, v19, v17, s2
	ds_store_b32 v18, v17
.LBB47_7:
	s_or_b32 exec_lo, exec_lo, s5
	v_and_b32_e32 v17, 7, v0
	s_waitcnt lgkmcnt(0)
	s_barrier
	buffer_gl0_inv
	s_mov_b32 s3, exec_lo
	v_lshlrev_b32_e32 v17, 2, v17
	ds_load_b32 v17, v17
	s_waitcnt lgkmcnt(0)
	v_mov_b32_dpp v18, v17 quad_perm:[1,0,3,2] row_mask:0xf bank_mask:0xf
	s_delay_alu instid0(VALU_DEP_1) | instskip(NEXT) | instid1(VALU_DEP_1)
	v_cmp_gt_f32_e64 s2, v17, v18
	v_cndmask_b32_e64 v17, v18, v17, s2
	s_delay_alu instid0(VALU_DEP_1) | instskip(NEXT) | instid1(VALU_DEP_1)
	v_mov_b32_dpp v18, v17 quad_perm:[2,3,0,1] row_mask:0xf bank_mask:0xf
	v_cmp_gt_f32_e64 s2, v17, v18
	s_delay_alu instid0(VALU_DEP_1) | instskip(NEXT) | instid1(VALU_DEP_1)
	v_cndmask_b32_e64 v17, v18, v17, s2
	v_mov_b32_dpp v18, v17 row_xmask:7 row_mask:0xf bank_mask:0xf
	s_delay_alu instid0(VALU_DEP_1) | instskip(NEXT) | instid1(VALU_DEP_1)
	v_cmp_gt_f32_e64 s2, v17, v18
	v_cndmask_b32_e64 v17, v18, v17, s2
	s_delay_alu instid0(VALU_DEP_1)
	v_mul_f32_e32 v17, 0x3c010204, v17
	v_cmpx_eq_u32_e32 0, v0
	s_cbranch_execz .LBB47_9
; %bb.8:
	s_load_b64 s[10:11], s[0:1], 0x8
	s_ashr_i32 s7, s6, 31
	v_mov_b32_e32 v18, 0
	s_lshl_b64 s[6:7], s[6:7], 2
	s_waitcnt lgkmcnt(0)
	s_add_u32 s6, s10, s6
	s_addc_u32 s7, s11, s7
	global_store_b32 v18, v17, s[6:7]
.LBB47_9:
	s_or_b32 exec_lo, exec_lo, s3
	s_and_saveexec_b32 s2, vcc_lo
	s_cbranch_execz .LBB47_11
; %bb.10:
	v_rcp_f32_e32 v17, v17
	v_and_b32_e32 v19, 0xffff, v14
	v_lshrrev_b32_e32 v14, 16, v14
	v_lshlrev_b32_e32 v18, 5, v0
	s_load_b64 s[0:1], s[0:1], 0x0
	s_delay_alu instid0(VALU_DEP_3) | instskip(NEXT) | instid1(VALU_DEP_3)
	v_cvt_f32_u32_e32 v19, v19
	v_cvt_f32_u32_e32 v14, v14
	v_and_b32_e32 v21, 0xffff, v16
	v_and_b32_e32 v0, 0xffff, v13
	v_lshrrev_b32_e32 v13, 16, v13
	v_mul_f32_e32 v19, v17, v19
	v_mul_f32_e32 v14, v17, v14
	v_cvt_f32_u32_e32 v21, v21
	v_and_b32_e32 v20, 0xffff, v15
	v_lshrrev_b32_e32 v15, 16, v15
	v_cvt_f32_u32_e32 v0, v0
	v_cvt_f32_u32_e32 v13, v13
	v_mul_f32_e32 v21, v17, v21
	v_cvt_f32_u32_e32 v20, v20
	v_cvt_f32_u32_e32 v15, v15
	v_and_b32_e32 v22, 0xffff, v9
	v_lshrrev_b32_e32 v9, 16, v9
	v_mul_f32_e32 v0, v17, v0
	v_mul_f32_e32 v13, v17, v13
	v_mul_f32_e32 v15, v17, v15
	v_cvt_i32_f32_e32 v21, v21
	v_cvt_f32_u32_e32 v9, v9
	v_and_b32_e32 v24, 0xffff, v11
	v_lshrrev_b32_e32 v11, 16, v11
	v_cvt_i32_f32_e32 v0, v0
	v_cvt_i32_f32_e32 v13, v13
	v_mul_f32_e32 v9, v17, v9
	v_cvt_f32_u32_e32 v24, v24
	v_cvt_f32_u32_e32 v11, v11
	v_dual_mul_f32 v20, v17, v20 :: v_dual_and_b32 v23, 0xffff, v10
	v_cvt_f32_u32_e32 v22, v22
	s_delay_alu instid0(VALU_DEP_4) | instskip(SKIP_2) | instid1(VALU_DEP_4)
	v_dual_mul_f32 v24, v17, v24 :: v_dual_and_b32 v21, 0xff, v21
	v_and_b32_e32 v25, 0xffff, v12
	v_lshlrev_b16 v13, 8, v13
	v_mul_f32_e32 v22, v17, v22
	s_delay_alu instid0(VALU_DEP_4)
	v_cvt_i32_f32_e32 v24, v24
	v_dual_mul_f32 v11, v17, v11 :: v_dual_and_b32 v0, 0xff, v0
	v_lshrrev_b32_e32 v16, 16, v16
	v_lshrrev_b32_e32 v10, 16, v10
	v_cvt_f32_u32_e32 v25, v25
	v_cvt_i32_f32_e32 v20, v20
	v_cvt_i32_f32_e32 v15, v15
	v_and_b32_e32 v24, 0xff, v24
	v_cvt_i32_f32_e32 v11, v11
	v_or_b32_e32 v0, v0, v13
	v_and_b32_e32 v13, 0xffff, v5
	v_lshrrev_b32_e32 v5, 16, v5
	v_cvt_f32_u32_e32 v16, v16
	v_cvt_f32_u32_e32 v23, v23
	;; [unrolled: 1-line block ×3, first 2 shown]
	v_cvt_i32_f32_e32 v22, v22
	v_mul_f32_e32 v25, v17, v25
	v_lshlrev_b16 v11, 8, v11
	v_lshlrev_b16 v15, 8, v15
	v_cvt_f32_u32_e32 v5, v5
	v_and_b32_e32 v22, 0xff, v22
	v_and_b32_e32 v20, 0xff, v20
	v_cvt_i32_f32_e32 v9, v9
	v_cvt_i32_f32_e32 v25, v25
	v_mul_f32_e32 v5, v17, v5
	v_mul_f32_e32 v23, v17, v23
	v_or_b32_e32 v11, v24, v11
	v_mul_f32_e32 v16, v17, v16
	v_or_b32_e32 v15, v20, v15
	v_mul_f32_e32 v10, v17, v10
	v_lshrrev_b32_e32 v12, 16, v12
	v_and_b32_e32 v24, 0xff, v25
	v_lshlrev_b16 v9, 8, v9
	v_and_b32_e32 v15, 0xffff, v15
	v_cvt_i32_f32_e32 v10, v10
	v_cvt_i32_f32_e32 v23, v23
	v_and_b32_e32 v11, 0xffff, v11
	v_cvt_i32_f32_e32 v16, v16
	v_cvt_f32_u32_e32 v12, v12
	v_or_b32_e32 v9, v22, v9
	v_lshlrev_b16 v10, 8, v10
	v_cvt_f32_u32_e32 v13, v13
	v_and_b32_e32 v22, 0xff, v23
	v_lshlrev_b16 v16, 8, v16
	v_dual_mul_f32 v12, v17, v12 :: v_dual_and_b32 v9, 0xffff, v9
	s_delay_alu instid0(VALU_DEP_4) | instskip(NEXT) | instid1(VALU_DEP_4)
	v_mul_f32_e32 v13, v17, v13
	v_or_b32_e32 v10, v22, v10
	s_delay_alu instid0(VALU_DEP_4) | instskip(NEXT) | instid1(VALU_DEP_4)
	v_or_b32_e32 v16, v21, v16
	v_cvt_i32_f32_e32 v12, v12
	v_cvt_i32_f32_e32 v19, v19
	;; [unrolled: 1-line block ×3, first 2 shown]
	v_lshlrev_b32_e32 v10, 16, v10
	v_lshlrev_b32_e32 v16, 16, v16
	v_lshlrev_b16 v12, 8, v12
	v_and_b32_e32 v22, 0xffff, v4
	v_lshrrev_b32_e32 v4, 16, v4
	v_or_b32_e32 v10, v9, v10
	v_or_b32_e32 v9, v15, v16
	v_and_b32_e32 v16, 0xffff, v8
	v_or_b32_e32 v12, v24, v12
	v_lshlrev_b16 v14, 8, v14
	v_and_b32_e32 v19, 0xff, v19
	v_lshrrev_b32_e32 v8, 16, v8
	v_cvt_f32_u32_e32 v16, v16
	v_and_b32_e32 v15, 0xffff, v7
	v_cvt_f32_u32_e32 v4, v4
	v_and_b32_e32 v21, 0xffff, v3
	v_cvt_f32_u32_e32 v8, v8
	v_mul_f32_e32 v16, v17, v16
	v_cvt_f32_u32_e32 v15, v15
	v_mul_f32_e32 v4, v17, v4
	v_lshlrev_b32_e32 v12, 16, v12
	v_cvt_f32_u32_e32 v21, v21
	v_cvt_f32_u32_e32 v22, v22
	v_mul_f32_e32 v15, v17, v15
	v_mul_f32_e32 v8, v17, v8
	v_or_b32_e32 v11, v11, v12
	v_or_b32_e32 v12, v19, v14
	v_and_b32_e32 v19, 0xffff, v1
	v_dual_mul_f32 v21, v17, v21 :: v_dual_and_b32 v14, 0xffff, v6
	v_lshrrev_b32_e32 v6, 16, v6
	v_lshrrev_b32_e32 v7, 16, v7
	s_delay_alu instid0(VALU_DEP_4)
	v_cvt_f32_u32_e32 v19, v19
	v_lshrrev_b32_e32 v1, 16, v1
	v_and_b32_e32 v20, 0xffff, v2
	v_lshrrev_b32_e32 v2, 16, v2
	v_lshrrev_b32_e32 v3, 16, v3
	v_mul_f32_e32 v19, v17, v19
	v_cvt_i32_f32_e32 v21, v21
	v_mul_f32_e32 v22, v17, v22
	v_cvt_f32_u32_e32 v14, v14
	v_cvt_f32_u32_e32 v6, v6
	;; [unrolled: 1-line block ×3, first 2 shown]
	v_and_b32_e32 v21, 0xff, v21
	v_cvt_f32_u32_e32 v1, v1
	v_cvt_f32_u32_e32 v20, v20
	;; [unrolled: 1-line block ×4, first 2 shown]
	v_cvt_i32_f32_e32 v19, v19
	v_cvt_i32_f32_e32 v22, v22
	v_and_b32_e32 v0, 0xffff, v0
	v_mul_f32_e32 v14, v17, v14
	v_mul_f32_e32 v3, v17, v3
	;; [unrolled: 1-line block ×4, first 2 shown]
	v_dual_mul_f32 v1, v17, v1 :: v_dual_and_b32 v22, 0xff, v22
	v_dual_mul_f32 v2, v17, v2 :: v_dual_and_b32 v19, 0xff, v19
	v_mul_f32_e32 v17, v17, v20
	v_cvt_i32_f32_e32 v13, v13
	v_cvt_i32_f32_e32 v5, v5
	;; [unrolled: 1-line block ×13, first 2 shown]
	v_lshlrev_b16 v3, 8, v3
	v_lshlrev_b16 v4, 8, v4
	;; [unrolled: 1-line block ×4, first 2 shown]
	v_and_b32_e32 v17, 0xff, v17
	v_lshlrev_b16 v7, 8, v7
	v_and_b32_e32 v15, 0xff, v15
	v_lshlrev_b16 v8, 8, v8
	;; [unrolled: 2-line block ×4, first 2 shown]
	v_and_b32_e32 v14, 0xff, v14
	v_or_b32_e32 v3, v21, v3
	v_or_b32_e32 v4, v22, v4
	;; [unrolled: 1-line block ×8, first 2 shown]
	s_waitcnt lgkmcnt(0)
	s_add_u32 s0, s0, s4
	s_addc_u32 s1, s1, 0
	s_add_i32 s2, s8, 3
	v_lshlrev_b32_e32 v12, 16, v12
	v_and_b32_e32 v3, 0xffff, v3
	v_lshlrev_b32_e32 v4, 16, v4
	v_and_b32_e32 v1, 0xffff, v1
	;; [unrolled: 2-line block ×4, first 2 shown]
	v_lshlrev_b32_e32 v6, 16, v6
	s_ashr_i32 s3, s2, 31
	v_or_b32_e32 v8, v0, v12
	s_lshr_b32 s3, s3, 30
	v_or_b32_e32 v3, v3, v4
	v_or_b32_e32 v2, v1, v2
	;; [unrolled: 1-line block ×4, first 2 shown]
	s_add_i32 s2, s2, s3
	s_and_b32 s1, s1, 0xffff
	s_and_b32 s2, s2, -4
	s_mov_b32 s3, -1
	buffer_store_b128 v[8:11], v18, s[0:3], 0 offen
	;;#ASMSTART
	s_nop 0
	;;#ASMEND
	buffer_store_b128 v[0:3], v18, s[0:3], 16 offen
	;;#ASMSTART
	s_nop 0
	;;#ASMEND
.LBB47_11:
	s_nop 0
	s_sendmsg sendmsg(MSG_DEALLOC_VGPRS)
	s_endpgm
	.section	.rodata,"a",@progbits
	.p2align	6, 0x0
	.amdhsa_kernel _ZN5aiter37dynamic_per_token_scaled_quant_kernelItaLi32EEEvPT0_PfPT_PKfiPKii
		.amdhsa_group_segment_fixed_size 32
		.amdhsa_private_segment_fixed_size 0
		.amdhsa_kernarg_size 52
		.amdhsa_user_sgpr_count 15
		.amdhsa_user_sgpr_dispatch_ptr 0
		.amdhsa_user_sgpr_queue_ptr 0
		.amdhsa_user_sgpr_kernarg_segment_ptr 1
		.amdhsa_user_sgpr_dispatch_id 0
		.amdhsa_user_sgpr_private_segment_size 0
		.amdhsa_wavefront_size32 1
		.amdhsa_uses_dynamic_stack 0
		.amdhsa_enable_private_segment 0
		.amdhsa_system_sgpr_workgroup_id_x 1
		.amdhsa_system_sgpr_workgroup_id_y 0
		.amdhsa_system_sgpr_workgroup_id_z 0
		.amdhsa_system_sgpr_workgroup_info 0
		.amdhsa_system_vgpr_workitem_id 0
		.amdhsa_next_free_vgpr 26
		.amdhsa_next_free_sgpr 16
		.amdhsa_reserve_vcc 1
		.amdhsa_float_round_mode_32 0
		.amdhsa_float_round_mode_16_64 0
		.amdhsa_float_denorm_mode_32 3
		.amdhsa_float_denorm_mode_16_64 3
		.amdhsa_dx10_clamp 1
		.amdhsa_ieee_mode 1
		.amdhsa_fp16_overflow 0
		.amdhsa_workgroup_processor_mode 1
		.amdhsa_memory_ordered 1
		.amdhsa_forward_progress 0
		.amdhsa_shared_vgpr_count 0
		.amdhsa_exception_fp_ieee_invalid_op 0
		.amdhsa_exception_fp_denorm_src 0
		.amdhsa_exception_fp_ieee_div_zero 0
		.amdhsa_exception_fp_ieee_overflow 0
		.amdhsa_exception_fp_ieee_underflow 0
		.amdhsa_exception_fp_ieee_inexact 0
		.amdhsa_exception_int_div_zero 0
	.end_amdhsa_kernel
	.section	.text._ZN5aiter37dynamic_per_token_scaled_quant_kernelItaLi32EEEvPT0_PfPT_PKfiPKii,"axG",@progbits,_ZN5aiter37dynamic_per_token_scaled_quant_kernelItaLi32EEEvPT0_PfPT_PKfiPKii,comdat
.Lfunc_end47:
	.size	_ZN5aiter37dynamic_per_token_scaled_quant_kernelItaLi32EEEvPT0_PfPT_PKfiPKii, .Lfunc_end47-_ZN5aiter37dynamic_per_token_scaled_quant_kernelItaLi32EEEvPT0_PfPT_PKfiPKii
                                        ; -- End function
	.section	.AMDGPU.csdata,"",@progbits
; Kernel info:
; codeLenInByte = 2312
; NumSgprs: 18
; NumVgprs: 26
; ScratchSize: 0
; MemoryBound: 0
; FloatMode: 240
; IeeeMode: 1
; LDSByteSize: 32 bytes/workgroup (compile time only)
; SGPRBlocks: 2
; VGPRBlocks: 3
; NumSGPRsForWavesPerEU: 18
; NumVGPRsForWavesPerEU: 26
; Occupancy: 16
; WaveLimiterHint : 0
; COMPUTE_PGM_RSRC2:SCRATCH_EN: 0
; COMPUTE_PGM_RSRC2:USER_SGPR: 15
; COMPUTE_PGM_RSRC2:TRAP_HANDLER: 0
; COMPUTE_PGM_RSRC2:TGID_X_EN: 1
; COMPUTE_PGM_RSRC2:TGID_Y_EN: 0
; COMPUTE_PGM_RSRC2:TGID_Z_EN: 0
; COMPUTE_PGM_RSRC2:TIDIG_COMP_CNT: 0
	.section	.text._ZN5aiter37dynamic_per_token_scaled_quant_kernelIDF16_aLi0EEEvPT0_PfPT_PKfiPKii,"axG",@progbits,_ZN5aiter37dynamic_per_token_scaled_quant_kernelIDF16_aLi0EEEvPT0_PfPT_PKfiPKii,comdat
	.protected	_ZN5aiter37dynamic_per_token_scaled_quant_kernelIDF16_aLi0EEEvPT0_PfPT_PKfiPKii ; -- Begin function _ZN5aiter37dynamic_per_token_scaled_quant_kernelIDF16_aLi0EEEvPT0_PfPT_PKfiPKii
	.globl	_ZN5aiter37dynamic_per_token_scaled_quant_kernelIDF16_aLi0EEEvPT0_PfPT_PKfiPKii
	.p2align	8
	.type	_ZN5aiter37dynamic_per_token_scaled_quant_kernelIDF16_aLi0EEEvPT0_PfPT_PKfiPKii,@function
_ZN5aiter37dynamic_per_token_scaled_quant_kernelIDF16_aLi0EEEvPT0_PfPT_PKfiPKii: ; @_ZN5aiter37dynamic_per_token_scaled_quant_kernelIDF16_aLi0EEEvPT0_PfPT_PKfiPKii
; %bb.0:
	s_load_b64 s[2:3], s[0:1], 0x28
	s_mov_b32 s16, s15
	s_waitcnt lgkmcnt(0)
	s_cmp_eq_u64 s[2:3], 0
	s_cselect_b32 s4, -1, 0
	s_delay_alu instid0(SALU_CYCLE_1)
	s_and_b32 vcc_lo, exec_lo, s4
	s_cbranch_vccnz .LBB48_2
; %bb.1:
	s_load_b32 s4, s[0:1], 0x30
	s_load_b32 s2, s[2:3], 0x0
	s_waitcnt lgkmcnt(0)
	s_mul_i32 s2, s2, s4
	s_delay_alu instid0(SALU_CYCLE_1)
	s_cmp_lt_i32 s16, s2
	s_cselect_b32 s4, -1, 0
.LBB48_2:
	s_delay_alu instid0(SALU_CYCLE_1)
	s_and_not1_b32 vcc_lo, exec_lo, s4
	s_cbranch_vccnz .LBB48_23
; %bb.3:
	s_clause 0x1
	s_load_b32 s3, s[0:1], 0x20
	s_load_b64 s[4:5], s[0:1], 0x10
	s_mov_b32 s15, 0
	v_lshlrev_b32_e32 v22, 5, v0
                                        ; implicit-def: $vgpr1_vgpr2_vgpr3_vgpr4_vgpr5_vgpr6_vgpr7_vgpr8
	s_waitcnt lgkmcnt(0)
	s_mul_i32 s14, s16, s3
	s_delay_alu instid0(SALU_CYCLE_1) | instskip(NEXT) | instid1(SALU_CYCLE_1)
	s_lshl_b64 s[6:7], s[14:15], 1
	s_add_u32 s4, s4, s6
	s_addc_u32 s2, s5, s7
	s_add_i32 s5, s3, 15
	s_add_i32 s7, s3, 1
	s_ashr_i32 s6, s5, 31
	s_lshr_b32 s8, s7, 31
	s_lshr_b32 s6, s6, 28
	s_add_i32 s7, s7, s8
	s_add_i32 s5, s5, s6
	s_delay_alu instid0(SALU_CYCLE_1)
	s_ashr_i32 s12, s5, 4
	s_lshl_b32 s5, s7, 1
	v_cmp_gt_u32_e32 vcc_lo, s12, v0
	s_and_b32 s6, s5, -4
	s_and_b32 s5, s2, 0xffff
	s_and_saveexec_b32 s2, vcc_lo
; %bb.4:
	s_mov_b32 s7, -1
	s_clause 0x1
	buffer_load_b128 v[1:4], v22, s[4:7], 0 offen
	buffer_load_b128 v[5:8], v22, s[4:7], 16 offen
; %bb.5:
	s_or_b32 exec_lo, exec_lo, s2
	s_load_b128 s[8:11], s[0:1], 0x0
	v_dual_mov_b32 v18, 0 :: v_dual_add_nc_u32 v17, 0x100, v0
	v_lshl_add_u32 v21, v0, 5, 0x2000
	s_ashr_i32 s13, s12, 31
	s_delay_alu instid0(VALU_DEP_2) | instskip(NEXT) | instid1(VALU_DEP_3)
	v_cmp_gt_u32_e64 s0, s12, v17
	v_dual_mov_b32 v20, v18 :: v_dual_mov_b32 v19, v17
	v_mov_b32_e32 v23, v18
	s_delay_alu instid0(VALU_DEP_3)
	s_and_saveexec_b32 s2, s0
	s_cbranch_execz .LBB48_9
; %bb.6:
	v_dual_mov_b32 v23, 0 :: v_dual_mov_b32 v20, v18
	v_lshl_add_u32 v24, v0, 5, 0x2000
	v_mov_b32_e32 v19, v17
	s_mov_b32 s7, -1
.LBB48_7:                               ; =>This Inner Loop Header: Depth=1
	s_clause 0x1
	buffer_load_b128 v[9:12], v24, s[4:7], 0 offen
	buffer_load_b128 v[13:16], v24, s[4:7], 16 offen
	s_waitcnt vmcnt(3)
	v_lshrrev_b32_e32 v25, 16, v1
	v_cvt_f32_f16_e64 v1, |v1|
	v_cvt_f32_f16_e64 v26, |v2|
	v_lshrrev_b32_e32 v2, 16, v2
	v_cvt_f32_f16_e64 v27, |v3|
	v_cvt_f32_f16_e64 v25, |v25|
	;; [unrolled: 3-line block ×3, first 2 shown]
	v_lshrrev_b32_e32 v4, 16, v4
	v_max3_f32 v1, v23, v1, v25
	v_cvt_f32_f16_e64 v3, |v3|
	s_waitcnt vmcnt(2)
	v_cvt_f32_f16_e64 v23, |v5|
	v_add_co_u32 v19, s1, 0x100, v19
	v_max3_f32 v1, v1, v26, v2
	v_lshrrev_b32_e32 v2, 16, v5
	v_cvt_f32_f16_e64 v4, |v4|
	v_cvt_f32_f16_e64 v5, |v6|
	v_add_co_ci_u32_e64 v20, s1, 0, v20, s1
	v_max3_f32 v1, v1, v27, v3
	v_lshrrev_b32_e32 v3, 16, v6
	v_cvt_f32_f16_e64 v2, |v2|
	v_cvt_f32_f16_e64 v6, |v7|
	v_cmp_le_u64_e64 s1, s[12:13], v[19:20]
	v_max3_f32 v1, v1, v28, v4
	v_lshrrev_b32_e32 v4, 16, v7
	v_cvt_f32_f16_e64 v3, |v3|
	v_lshrrev_b32_e32 v7, 16, v8
	v_add_nc_u32_e32 v24, 0x2000, v24
	v_max3_f32 v1, v1, v23, v2
	v_cvt_f32_f16_e64 v2, |v4|
	s_or_b32 s15, s1, s15
	v_cvt_f32_f16_e64 v4, |v7|
	s_delay_alu instid0(VALU_DEP_3) | instskip(SKIP_1) | instid1(VALU_DEP_2)
	v_max3_f32 v1, v1, v5, v3
	v_cvt_f32_f16_e64 v3, |v8|
	v_max3_f32 v1, v1, v6, v2
	s_delay_alu instid0(VALU_DEP_1)
	v_max3_f32 v23, v1, v3, v4
	s_waitcnt vmcnt(0)
	v_dual_mov_b32 v1, v9 :: v_dual_mov_b32 v2, v10
	v_dual_mov_b32 v3, v11 :: v_dual_mov_b32 v4, v12
	v_dual_mov_b32 v5, v13 :: v_dual_mov_b32 v6, v14
	v_dual_mov_b32 v7, v15 :: v_dual_mov_b32 v8, v16
	s_and_not1_b32 exec_lo, exec_lo, s15
	s_cbranch_execnz .LBB48_7
; %bb.8:
	s_or_b32 exec_lo, exec_lo, s15
	v_dual_mov_b32 v1, v9 :: v_dual_mov_b32 v2, v10
	v_dual_mov_b32 v3, v11 :: v_dual_mov_b32 v4, v12
	;; [unrolled: 1-line block ×4, first 2 shown]
.LBB48_9:
	s_or_b32 exec_lo, exec_lo, s2
	v_add_co_u32 v9, s1, 0xffffff00, v19
	s_delay_alu instid0(VALU_DEP_1) | instskip(SKIP_1) | instid1(VALU_DEP_1)
	v_add_co_ci_u32_e64 v10, s1, -1, v20, s1
	s_mov_b32 s2, exec_lo
	v_cmpx_gt_u64_e64 s[12:13], v[9:10]
	s_cbranch_execz .LBB48_11
; %bb.10:
	s_waitcnt vmcnt(1)
	v_lshrrev_b32_e32 v9, 16, v1
	v_cvt_f32_f16_e64 v1, |v1|
	v_lshrrev_b32_e32 v10, 16, v2
	v_cvt_f32_f16_e64 v2, |v2|
	;; [unrolled: 2-line block ×3, first 2 shown]
	v_cvt_f32_f16_e64 v3, |v3|
	v_cvt_f32_f16_e64 v10, |v10|
	s_delay_alu instid0(VALU_DEP_4) | instskip(NEXT) | instid1(VALU_DEP_4)
	v_cvt_f32_f16_e64 v11, |v11|
	v_max3_f32 v1, v23, v1, v9
	v_lshrrev_b32_e32 v9, 16, v4
	s_delay_alu instid0(VALU_DEP_2)
	v_max3_f32 v1, v1, v2, v10
	v_cvt_f32_f16_e64 v2, |v4|
	s_waitcnt vmcnt(0)
	v_lshrrev_b32_e32 v4, 16, v5
	v_cvt_f32_f16_e64 v9, |v9|
	v_max3_f32 v1, v1, v3, v11
	v_cvt_f32_f16_e64 v3, |v5|
	v_lshrrev_b32_e32 v5, 16, v6
	v_cvt_f32_f16_e64 v4, |v4|
	s_delay_alu instid0(VALU_DEP_4) | instskip(SKIP_3) | instid1(VALU_DEP_4)
	v_max3_f32 v1, v1, v2, v9
	v_cvt_f32_f16_e64 v2, |v6|
	v_lshrrev_b32_e32 v6, 16, v7
	v_cvt_f32_f16_e64 v5, |v5|
	v_max3_f32 v1, v1, v3, v4
	v_cvt_f32_f16_e64 v3, |v7|
	s_delay_alu instid0(VALU_DEP_4) | instskip(NEXT) | instid1(VALU_DEP_3)
	v_cvt_f32_f16_e64 v4, |v6|
	v_max3_f32 v1, v1, v2, v5
	v_lshrrev_b32_e32 v2, 16, v8
	v_cvt_f32_f16_e64 v5, |v8|
	s_delay_alu instid0(VALU_DEP_3) | instskip(NEXT) | instid1(VALU_DEP_3)
	v_max3_f32 v1, v1, v3, v4
	v_cvt_f32_f16_e64 v2, |v2|
	s_delay_alu instid0(VALU_DEP_1)
	v_max3_f32 v23, v1, v5, v2
.LBB48_11:
	s_or_b32 exec_lo, exec_lo, s2
	s_waitcnt vmcnt(1)
	s_delay_alu instid0(VALU_DEP_1) | instskip(SKIP_2) | instid1(VALU_DEP_2)
	v_mov_b32_dpp v1, v23 quad_perm:[1,0,3,2] row_mask:0xf bank_mask:0xf
	v_and_b32_e32 v3, 31, v0
	s_mov_b32 s7, exec_lo
	v_cmp_gt_f32_e64 s1, v23, v1
	s_delay_alu instid0(VALU_DEP_1) | instskip(NEXT) | instid1(VALU_DEP_1)
	v_cndmask_b32_e64 v1, v1, v23, s1
	v_mov_b32_dpp v2, v1 quad_perm:[2,3,0,1] row_mask:0xf bank_mask:0xf
	s_delay_alu instid0(VALU_DEP_1) | instskip(NEXT) | instid1(VALU_DEP_1)
	v_cmp_gt_f32_e64 s1, v1, v2
	v_cndmask_b32_e64 v1, v2, v1, s1
	s_delay_alu instid0(VALU_DEP_1) | instskip(NEXT) | instid1(VALU_DEP_1)
	v_mov_b32_dpp v2, v1 row_xmask:7 row_mask:0xf bank_mask:0xf
	v_cmp_gt_f32_e64 s1, v1, v2
	s_delay_alu instid0(VALU_DEP_1) | instskip(NEXT) | instid1(VALU_DEP_1)
	v_cndmask_b32_e64 v1, v2, v1, s1
	v_mov_b32_dpp v2, v1 row_xmask:15 row_mask:0xf bank_mask:0xf
	s_delay_alu instid0(VALU_DEP_1)
	v_cmp_gt_f32_e64 s1, v1, v2
	v_cmpx_eq_u32_e32 31, v3
	s_cbranch_execz .LBB48_13
; %bb.12:
	s_delay_alu instid0(VALU_DEP_2) | instskip(SKIP_2) | instid1(VALU_DEP_2)
	v_cndmask_b32_e64 v1, v2, v1, s1
	s_mov_b32 s1, 0x76543210
	v_lshrrev_b32_e32 v2, 3, v0
	v_permlanex16_b32 v3, v1, s1, 0xfedcba98 op_sel:[1,1]
	s_delay_alu instid0(VALU_DEP_2) | instskip(NEXT) | instid1(VALU_DEP_2)
	v_and_b32_e32 v2, 0x7c, v2
	v_cmp_gt_f32_e64 s1, v1, v3
	s_delay_alu instid0(VALU_DEP_1)
	v_cndmask_b32_e64 v1, v3, v1, s1
	ds_store_b32 v2, v1
.LBB48_13:
	s_or_b32 exec_lo, exec_lo, s7
	v_and_b32_e32 v1, 7, v0
	s_waitcnt vmcnt(0) lgkmcnt(0)
	s_barrier
	buffer_gl0_inv
	s_mov_b32 s2, exec_lo
	v_lshlrev_b32_e32 v1, 2, v1
	ds_load_b32 v1, v1
	s_waitcnt lgkmcnt(0)
	v_mov_b32_dpp v2, v1 quad_perm:[1,0,3,2] row_mask:0xf bank_mask:0xf
	s_delay_alu instid0(VALU_DEP_1) | instskip(NEXT) | instid1(VALU_DEP_1)
	v_cmp_gt_f32_e64 s1, v1, v2
	v_cndmask_b32_e64 v1, v2, v1, s1
	s_delay_alu instid0(VALU_DEP_1) | instskip(NEXT) | instid1(VALU_DEP_1)
	v_mov_b32_dpp v2, v1 quad_perm:[2,3,0,1] row_mask:0xf bank_mask:0xf
	v_cmp_gt_f32_e64 s1, v1, v2
	s_delay_alu instid0(VALU_DEP_1) | instskip(NEXT) | instid1(VALU_DEP_1)
	v_cndmask_b32_e64 v1, v2, v1, s1
	v_mov_b32_dpp v2, v1 row_xmask:7 row_mask:0xf bank_mask:0xf
	s_delay_alu instid0(VALU_DEP_1) | instskip(NEXT) | instid1(VALU_DEP_1)
	v_cmp_gt_f32_e64 s1, v1, v2
	v_cndmask_b32_e64 v1, v2, v1, s1
	s_delay_alu instid0(VALU_DEP_1)
	v_mul_f32_e32 v1, 0x3c010204, v1
	v_cmpx_eq_u32_e32 0, v0
	s_cbranch_execz .LBB48_15
; %bb.14:
	s_ashr_i32 s17, s16, 31
	v_mov_b32_e32 v2, 0
	s_lshl_b64 s[16:17], s[16:17], 2
	s_delay_alu instid0(SALU_CYCLE_1)
	s_add_u32 s10, s10, s16
	s_addc_u32 s11, s11, s17
	global_store_b32 v2, v1, s[10:11]
.LBB48_15:
	s_or_b32 exec_lo, exec_lo, s2
                                        ; implicit-def: $vgpr8_vgpr9_vgpr10_vgpr11_vgpr12_vgpr13_vgpr14_vgpr15
	s_and_saveexec_b32 s1, vcc_lo
; %bb.16:
	s_mov_b32 s7, -1
	s_clause 0x1
	buffer_load_b128 v[8:11], v22, s[4:7], 0 offen
	buffer_load_b128 v[12:15], v22, s[4:7], 16 offen
; %bb.17:
	s_or_b32 exec_lo, exec_lo, s1
	s_add_u32 s8, s8, s14
	s_addc_u32 s1, s9, 0
	s_add_i32 s2, s3, 3
	v_rcp_f32_e32 v16, v1
	s_ashr_i32 s3, s2, 31
	s_and_b32 s9, s1, 0xffff
	s_lshr_b32 s3, s3, 30
	s_delay_alu instid0(SALU_CYCLE_1) | instskip(NEXT) | instid1(SALU_CYCLE_1)
	s_add_i32 s2, s2, s3
	s_and_b32 s10, s2, -4
	s_and_saveexec_b32 s1, s0
	s_cbranch_execz .LBB48_21
; %bb.18:
	v_lshlrev_b32_e32 v19, 4, v0
	s_mov_b32 s7, -1
	s_mov_b32 s0, 0
	s_mov_b32 s11, s7
.LBB48_19:                              ; =>This Inner Loop Header: Depth=1
	s_clause 0x1
	buffer_load_b128 v[0:3], v21, s[4:7], 0 offen
	buffer_load_b128 v[4:7], v21, s[4:7], 16 offen
	s_waitcnt vmcnt(2)
	v_cvt_f32_f16_e32 v28, v15
	v_lshrrev_b32_e32 v15, 16, v15
	v_cvt_f32_f16_e32 v23, v10
	v_cvt_f32_f16_e32 v24, v11
	;; [unrolled: 1-line block ×3, first 2 shown]
	v_mul_f32_e32 v28, v16, v28
	v_cvt_f32_f16_e32 v15, v15
	v_cvt_f32_f16_e32 v27, v14
	;; [unrolled: 1-line block ×4, first 2 shown]
	v_cvt_i32_f32_e32 v28, v28
	v_mul_f32_e32 v15, v16, v15
	v_mul_f32_e32 v23, v16, v23
	v_lshrrev_b32_e32 v9, 16, v9
	v_cvt_f32_f16_e32 v25, v12
	v_and_b32_e32 v28, 0xff, v28
	v_cvt_i32_f32_e32 v15, v15
	v_cvt_i32_f32_e32 v23, v23
	v_mul_f32_e32 v24, v16, v24
	v_lshrrev_b32_e32 v14, 16, v14
	v_lshrrev_b32_e32 v10, 16, v10
	v_lshlrev_b16 v15, 8, v15
	v_and_b32_e32 v23, 0xff, v23
	v_cvt_i32_f32_e32 v24, v24
	v_mul_f32_e32 v27, v16, v27
	v_cvt_f32_f16_e32 v9, v9
	v_or_b32_e32 v15, v28, v15
	v_mul_f32_e32 v26, v16, v26
	v_cvt_f32_f16_e32 v14, v14
	v_and_b32_e32 v24, 0xff, v24
	v_cvt_i32_f32_e32 v27, v27
	v_dual_mul_f32 v20, v16, v20 :: v_dual_lshlrev_b32 v15, 16, v15
	v_cvt_i32_f32_e32 v26, v26
	v_mul_f32_e32 v25, v16, v25
	v_lshrrev_b32_e32 v11, 16, v11
	v_cvt_f32_f16_e32 v10, v10
	v_dual_mul_f32 v14, v16, v14 :: v_dual_and_b32 v27, 0xff, v27
	v_cvt_i32_f32_e32 v20, v20
	v_dual_mul_f32 v9, v16, v9 :: v_dual_and_b32 v26, 0xff, v26
	v_cvt_i32_f32_e32 v25, v25
	v_mul_f32_e32 v22, v16, v22
	v_lshrrev_b32_e32 v8, 16, v8
	v_lshrrev_b32_e32 v12, 16, v12
	;; [unrolled: 1-line block ×3, first 2 shown]
	v_and_b32_e32 v25, 0xff, v25
	v_cvt_f32_f16_e32 v11, v11
	v_cvt_i32_f32_e32 v22, v22
	v_dual_mul_f32 v10, v16, v10 :: v_dual_add_nc_u32 v21, 0x2000, v21
	v_cvt_i32_f32_e32 v14, v14
	v_and_b32_e32 v20, 0xff, v20
	v_cvt_i32_f32_e32 v9, v9
	v_cvt_f32_f16_e32 v8, v8
	v_cvt_f32_f16_e32 v12, v12
	;; [unrolled: 1-line block ×3, first 2 shown]
	v_dual_mul_f32 v11, v16, v11 :: v_dual_and_b32 v22, 0xff, v22
	v_cvt_i32_f32_e32 v10, v10
	v_lshlrev_b16 v14, 8, v14
	v_lshlrev_b16 v9, 8, v9
	v_mul_f32_e32 v12, v16, v12
	v_cvt_i32_f32_e32 v11, v11
	v_lshlrev_b16 v10, 8, v10
	v_or_b32_e32 v14, v27, v14
	v_mul_f32_e32 v13, v16, v13
	v_or_b32_e32 v9, v22, v9
	v_mul_f32_e32 v8, v16, v8
	v_cvt_i32_f32_e32 v12, v12
	v_or_b32_e32 v10, v23, v10
	v_and_b32_e32 v14, 0xffff, v14
	v_lshlrev_b32_e32 v23, 16, v9
	v_cvt_i32_f32_e32 v8, v8
	v_cvt_i32_f32_e32 v13, v13
	v_lshlrev_b16 v12, 8, v12
	v_lshlrev_b16 v11, 8, v11
	v_add_co_u32 v17, vcc_lo, 0x100, v17
	s_delay_alu instid0(VALU_DEP_4)
	v_lshlrev_b16 v13, 8, v13
	v_lshlrev_b16 v8, 8, v8
	v_or_b32_e32 v12, v25, v12
	v_or_b32_e32 v11, v24, v11
	v_add_co_ci_u32_e32 v18, vcc_lo, 0, v18, vcc_lo
	v_or_b32_e32 v13, v26, v13
	v_or_b32_e32 v8, v20, v8
	v_and_b32_e32 v12, 0xffff, v12
	v_and_b32_e32 v20, 0xffff, v10
	v_lshlrev_b32_e32 v22, 16, v11
	v_lshlrev_b32_e32 v13, 16, v13
	v_and_b32_e32 v8, 0xffff, v8
	v_or_b32_e32 v11, v14, v15
	v_cmp_le_u64_e32 vcc_lo, s[12:13], v[17:18]
	v_or_b32_e32 v9, v20, v22
	v_or_b32_e32 v10, v12, v13
	;; [unrolled: 1-line block ×3, first 2 shown]
	s_or_b32 s0, vcc_lo, s0
	buffer_store_b128 v[8:11], v19, s[8:11], 0 offen
	v_add_nc_u32_e32 v19, 0x1000, v19
	;;#ASMSTART
	s_nop 0
	;;#ASMEND
	s_waitcnt vmcnt(0)
	v_mov_b32_e32 v15, v7
	v_dual_mov_b32 v9, v1 :: v_dual_mov_b32 v14, v6
	v_dual_mov_b32 v13, v5 :: v_dual_mov_b32 v12, v4
	;; [unrolled: 1-line block ×3, first 2 shown]
	v_mov_b32_e32 v8, v0
	s_and_not1_b32 exec_lo, exec_lo, s0
	s_cbranch_execnz .LBB48_19
; %bb.20:
	s_or_b32 exec_lo, exec_lo, s0
	v_dual_mov_b32 v15, v7 :: v_dual_mov_b32 v14, v6
	v_dual_mov_b32 v13, v5 :: v_dual_mov_b32 v12, v4
	;; [unrolled: 1-line block ×4, first 2 shown]
.LBB48_21:
	s_or_b32 exec_lo, exec_lo, s1
	v_add_co_u32 v0, vcc_lo, 0xffffff00, v17
	v_add_co_ci_u32_e32 v1, vcc_lo, -1, v18, vcc_lo
	s_mov_b32 s0, exec_lo
	s_delay_alu instid0(VALU_DEP_1)
	v_cmpx_gt_u64_e64 s[12:13], v[0:1]
	s_cbranch_execz .LBB48_23
; %bb.22:
	s_waitcnt vmcnt(1)
	v_lshrrev_b32_e32 v2, 16, v9
	v_cvt_f32_f16_e32 v4, v9
	s_waitcnt vmcnt(0)
	v_lshrrev_b32_e32 v9, 16, v12
	v_lshrrev_b32_e32 v1, 16, v8
	v_cvt_f32_f16_e32 v3, v8
	v_lshrrev_b32_e32 v6, 16, v11
	v_cvt_f32_f16_e32 v8, v11
	v_cvt_f32_f16_e32 v11, v12
	;; [unrolled: 1-line block ×3, first 2 shown]
	v_lshrrev_b32_e32 v5, 16, v10
	v_cvt_f32_f16_e32 v2, v2
	v_cvt_f32_f16_e32 v7, v10
	v_mul_f32_e32 v11, v16, v11
	v_mul_f32_e32 v9, v16, v9
	v_lshrrev_b32_e32 v10, 16, v13
	v_cvt_f32_f16_e32 v13, v13
	v_lshrrev_b32_e32 v12, 16, v14
	v_cvt_i32_f32_e32 v11, v11
	v_cvt_i32_f32_e32 v9, v9
	v_cvt_f32_f16_e32 v14, v14
	v_mul_f32_e32 v2, v16, v2
	v_mul_f32_e32 v13, v16, v13
	v_and_b32_e32 v11, 0xff, v11
	v_lshlrev_b16 v9, 8, v9
	v_cvt_f32_f16_e32 v10, v10
	v_lshrrev_b32_e32 v17, 16, v15
	v_cvt_f32_f16_e32 v15, v15
	v_cvt_f32_f16_e32 v5, v5
	v_or_b32_e32 v9, v11, v9
	v_cvt_i32_f32_e32 v11, v13
	v_mul_f32_e32 v14, v16, v14
	v_mul_f32_e32 v15, v16, v15
	v_cvt_f32_f16_e32 v12, v12
	v_cvt_f32_f16_e32 v17, v17
	v_and_b32_e32 v11, 0xff, v11
	v_cvt_i32_f32_e32 v14, v14
	v_mul_f32_e32 v3, v16, v3
	v_cvt_i32_f32_e32 v15, v15
	v_mul_f32_e32 v4, v16, v4
	v_cvt_i32_f32_e32 v2, v2
	v_and_b32_e32 v14, 0xff, v14
	v_cvt_i32_f32_e32 v3, v3
	v_dual_mul_f32 v10, v16, v10 :: v_dual_and_b32 v15, 0xff, v15
	v_cvt_i32_f32_e32 v4, v4
	v_mul_f32_e32 v5, v16, v5
	s_delay_alu instid0(VALU_DEP_4) | instskip(NEXT) | instid1(VALU_DEP_4)
	v_dual_mul_f32 v12, v16, v12 :: v_dual_and_b32 v3, 0xff, v3
	v_cvt_i32_f32_e32 v10, v10
	s_delay_alu instid0(VALU_DEP_4) | instskip(SKIP_1) | instid1(VALU_DEP_4)
	v_dual_mul_f32 v17, v16, v17 :: v_dual_and_b32 v4, 0xff, v4
	v_lshlrev_b16 v2, 8, v2
	v_cvt_i32_f32_e32 v12, v12
	s_delay_alu instid0(VALU_DEP_4)
	v_lshlrev_b16 v10, 8, v10
	v_cvt_f32_f16_e32 v1, v1
	v_cvt_f32_f16_e32 v6, v6
	v_or_b32_e32 v2, v4, v2
	v_lshlrev_b16 v12, 8, v12
	v_or_b32_e32 v10, v11, v10
	v_cvt_i32_f32_e32 v5, v5
	v_dual_mul_f32 v6, v16, v6 :: v_dual_and_b32 v9, 0xffff, v9
	s_delay_alu instid0(VALU_DEP_4) | instskip(NEXT) | instid1(VALU_DEP_4)
	v_or_b32_e32 v12, v14, v12
	v_lshlrev_b32_e32 v4, 16, v10
	v_lshlrev_b32_e32 v10, 4, v0
	v_cvt_i32_f32_e32 v17, v17
	s_delay_alu instid0(VALU_DEP_4) | instskip(SKIP_2) | instid1(VALU_DEP_4)
	v_dual_mul_f32 v1, v16, v1 :: v_dual_and_b32 v12, 0xffff, v12
	v_cvt_i32_f32_e32 v6, v6
	v_lshlrev_b16 v5, 8, v5
	v_lshlrev_b16 v17, 8, v17
	s_delay_alu instid0(VALU_DEP_4) | instskip(SKIP_2) | instid1(VALU_DEP_3)
	v_cvt_i32_f32_e32 v1, v1
	s_mov_b32 s11, -1
	v_lshlrev_b16 v6, 8, v6
	v_or_b32_e32 v14, v15, v17
	v_mul_f32_e32 v8, v16, v8
	v_lshlrev_b16 v1, 8, v1
	s_delay_alu instid0(VALU_DEP_3) | instskip(NEXT) | instid1(VALU_DEP_3)
	v_lshlrev_b32_e32 v13, 16, v14
	v_cvt_i32_f32_e32 v8, v8
	v_mul_f32_e32 v7, v16, v7
	s_delay_alu instid0(VALU_DEP_4) | instskip(NEXT) | instid1(VALU_DEP_4)
	v_or_b32_e32 v1, v3, v1
	v_or_b32_e32 v3, v12, v13
	s_delay_alu instid0(VALU_DEP_4) | instskip(NEXT) | instid1(VALU_DEP_4)
	v_and_b32_e32 v8, 0xff, v8
	v_cvt_i32_f32_e32 v7, v7
	s_delay_alu instid0(VALU_DEP_2) | instskip(NEXT) | instid1(VALU_DEP_2)
	v_or_b32_e32 v6, v8, v6
	v_and_b32_e32 v7, 0xff, v7
	v_lshlrev_b32_e32 v8, 16, v2
	v_or_b32_e32 v2, v9, v4
	s_delay_alu instid0(VALU_DEP_4) | instskip(NEXT) | instid1(VALU_DEP_4)
	v_lshlrev_b32_e32 v6, 16, v6
	v_or_b32_e32 v5, v7, v5
	v_and_b32_e32 v7, 0xffff, v1
	s_delay_alu instid0(VALU_DEP_2) | instskip(NEXT) | instid1(VALU_DEP_2)
	v_and_b32_e32 v5, 0xffff, v5
	v_or_b32_e32 v0, v7, v8
	s_delay_alu instid0(VALU_DEP_2)
	v_or_b32_e32 v1, v5, v6
	buffer_store_b128 v[0:3], v10, s[8:11], 0 offen
	;;#ASMSTART
	s_nop 0
	;;#ASMEND
.LBB48_23:
	s_nop 0
	s_sendmsg sendmsg(MSG_DEALLOC_VGPRS)
	s_endpgm
	.section	.rodata,"a",@progbits
	.p2align	6, 0x0
	.amdhsa_kernel _ZN5aiter37dynamic_per_token_scaled_quant_kernelIDF16_aLi0EEEvPT0_PfPT_PKfiPKii
		.amdhsa_group_segment_fixed_size 32
		.amdhsa_private_segment_fixed_size 0
		.amdhsa_kernarg_size 52
		.amdhsa_user_sgpr_count 15
		.amdhsa_user_sgpr_dispatch_ptr 0
		.amdhsa_user_sgpr_queue_ptr 0
		.amdhsa_user_sgpr_kernarg_segment_ptr 1
		.amdhsa_user_sgpr_dispatch_id 0
		.amdhsa_user_sgpr_private_segment_size 0
		.amdhsa_wavefront_size32 1
		.amdhsa_uses_dynamic_stack 0
		.amdhsa_enable_private_segment 0
		.amdhsa_system_sgpr_workgroup_id_x 1
		.amdhsa_system_sgpr_workgroup_id_y 0
		.amdhsa_system_sgpr_workgroup_id_z 0
		.amdhsa_system_sgpr_workgroup_info 0
		.amdhsa_system_vgpr_workitem_id 0
		.amdhsa_next_free_vgpr 29
		.amdhsa_next_free_sgpr 18
		.amdhsa_reserve_vcc 1
		.amdhsa_float_round_mode_32 0
		.amdhsa_float_round_mode_16_64 0
		.amdhsa_float_denorm_mode_32 3
		.amdhsa_float_denorm_mode_16_64 3
		.amdhsa_dx10_clamp 1
		.amdhsa_ieee_mode 1
		.amdhsa_fp16_overflow 0
		.amdhsa_workgroup_processor_mode 1
		.amdhsa_memory_ordered 1
		.amdhsa_forward_progress 0
		.amdhsa_shared_vgpr_count 0
		.amdhsa_exception_fp_ieee_invalid_op 0
		.amdhsa_exception_fp_denorm_src 0
		.amdhsa_exception_fp_ieee_div_zero 0
		.amdhsa_exception_fp_ieee_overflow 0
		.amdhsa_exception_fp_ieee_underflow 0
		.amdhsa_exception_fp_ieee_inexact 0
		.amdhsa_exception_int_div_zero 0
	.end_amdhsa_kernel
	.section	.text._ZN5aiter37dynamic_per_token_scaled_quant_kernelIDF16_aLi0EEEvPT0_PfPT_PKfiPKii,"axG",@progbits,_ZN5aiter37dynamic_per_token_scaled_quant_kernelIDF16_aLi0EEEvPT0_PfPT_PKfiPKii,comdat
.Lfunc_end48:
	.size	_ZN5aiter37dynamic_per_token_scaled_quant_kernelIDF16_aLi0EEEvPT0_PfPT_PKfiPKii, .Lfunc_end48-_ZN5aiter37dynamic_per_token_scaled_quant_kernelIDF16_aLi0EEEvPT0_PfPT_PKfiPKii
                                        ; -- End function
	.section	.AMDGPU.csdata,"",@progbits
; Kernel info:
; codeLenInByte = 2724
; NumSgprs: 20
; NumVgprs: 29
; ScratchSize: 0
; MemoryBound: 0
; FloatMode: 240
; IeeeMode: 1
; LDSByteSize: 32 bytes/workgroup (compile time only)
; SGPRBlocks: 2
; VGPRBlocks: 3
; NumSGPRsForWavesPerEU: 20
; NumVGPRsForWavesPerEU: 29
; Occupancy: 16
; WaveLimiterHint : 0
; COMPUTE_PGM_RSRC2:SCRATCH_EN: 0
; COMPUTE_PGM_RSRC2:USER_SGPR: 15
; COMPUTE_PGM_RSRC2:TRAP_HANDLER: 0
; COMPUTE_PGM_RSRC2:TGID_X_EN: 1
; COMPUTE_PGM_RSRC2:TGID_Y_EN: 0
; COMPUTE_PGM_RSRC2:TGID_Z_EN: 0
; COMPUTE_PGM_RSRC2:TIDIG_COMP_CNT: 0
	.section	.text._ZN5aiter37dynamic_per_token_scaled_quant_kernelItaLi0EEEvPT0_PfPT_PKfiPKii,"axG",@progbits,_ZN5aiter37dynamic_per_token_scaled_quant_kernelItaLi0EEEvPT0_PfPT_PKfiPKii,comdat
	.protected	_ZN5aiter37dynamic_per_token_scaled_quant_kernelItaLi0EEEvPT0_PfPT_PKfiPKii ; -- Begin function _ZN5aiter37dynamic_per_token_scaled_quant_kernelItaLi0EEEvPT0_PfPT_PKfiPKii
	.globl	_ZN5aiter37dynamic_per_token_scaled_quant_kernelItaLi0EEEvPT0_PfPT_PKfiPKii
	.p2align	8
	.type	_ZN5aiter37dynamic_per_token_scaled_quant_kernelItaLi0EEEvPT0_PfPT_PKfiPKii,@function
_ZN5aiter37dynamic_per_token_scaled_quant_kernelItaLi0EEEvPT0_PfPT_PKfiPKii: ; @_ZN5aiter37dynamic_per_token_scaled_quant_kernelItaLi0EEEvPT0_PfPT_PKfiPKii
; %bb.0:
	s_load_b64 s[2:3], s[0:1], 0x28
	s_mov_b32 s16, s15
	s_waitcnt lgkmcnt(0)
	s_cmp_eq_u64 s[2:3], 0
	s_cselect_b32 s4, -1, 0
	s_delay_alu instid0(SALU_CYCLE_1)
	s_and_b32 vcc_lo, exec_lo, s4
	s_cbranch_vccnz .LBB49_2
; %bb.1:
	s_load_b32 s4, s[0:1], 0x30
	s_load_b32 s2, s[2:3], 0x0
	s_waitcnt lgkmcnt(0)
	s_mul_i32 s2, s2, s4
	s_delay_alu instid0(SALU_CYCLE_1)
	s_cmp_lt_i32 s16, s2
	s_cselect_b32 s4, -1, 0
.LBB49_2:
	s_delay_alu instid0(SALU_CYCLE_1)
	s_and_not1_b32 vcc_lo, exec_lo, s4
	s_cbranch_vccnz .LBB49_23
; %bb.3:
	s_clause 0x1
	s_load_b32 s3, s[0:1], 0x20
	s_load_b64 s[4:5], s[0:1], 0x10
	s_mov_b32 s15, 0
	v_lshlrev_b32_e32 v22, 5, v0
                                        ; implicit-def: $vgpr1_vgpr2_vgpr3_vgpr4_vgpr5_vgpr6_vgpr7_vgpr8
	s_waitcnt lgkmcnt(0)
	s_mul_i32 s14, s16, s3
	s_delay_alu instid0(SALU_CYCLE_1) | instskip(NEXT) | instid1(SALU_CYCLE_1)
	s_lshl_b64 s[6:7], s[14:15], 1
	s_add_u32 s4, s4, s6
	s_addc_u32 s2, s5, s7
	s_add_i32 s5, s3, 15
	s_add_i32 s7, s3, 1
	s_ashr_i32 s6, s5, 31
	s_lshr_b32 s8, s7, 31
	s_lshr_b32 s6, s6, 28
	s_add_i32 s7, s7, s8
	s_add_i32 s5, s5, s6
	s_delay_alu instid0(SALU_CYCLE_1)
	s_ashr_i32 s12, s5, 4
	s_lshl_b32 s5, s7, 1
	v_cmp_gt_u32_e32 vcc_lo, s12, v0
	s_and_b32 s6, s5, -4
	s_and_b32 s5, s2, 0xffff
	s_and_saveexec_b32 s2, vcc_lo
; %bb.4:
	s_mov_b32 s7, -1
	s_clause 0x1
	buffer_load_b128 v[1:4], v22, s[4:7], 0 offen
	buffer_load_b128 v[5:8], v22, s[4:7], 16 offen
; %bb.5:
	s_or_b32 exec_lo, exec_lo, s2
	s_load_b128 s[8:11], s[0:1], 0x0
	v_dual_mov_b32 v18, 0 :: v_dual_add_nc_u32 v17, 0x100, v0
	v_lshl_add_u32 v21, v0, 5, 0x2000
	s_ashr_i32 s13, s12, 31
	s_delay_alu instid0(VALU_DEP_2) | instskip(NEXT) | instid1(VALU_DEP_3)
	v_cmp_gt_u32_e64 s0, s12, v17
	v_dual_mov_b32 v20, v18 :: v_dual_mov_b32 v19, v17
	v_mov_b32_e32 v23, v18
	s_delay_alu instid0(VALU_DEP_3)
	s_and_saveexec_b32 s2, s0
	s_cbranch_execz .LBB49_9
; %bb.6:
	v_dual_mov_b32 v23, 0 :: v_dual_mov_b32 v20, v18
	v_lshl_add_u32 v24, v0, 5, 0x2000
	v_mov_b32_e32 v19, v17
	s_mov_b32 s7, -1
.LBB49_7:                               ; =>This Inner Loop Header: Depth=1
	s_clause 0x1
	buffer_load_b128 v[9:12], v24, s[4:7], 0 offen
	buffer_load_b128 v[13:16], v24, s[4:7], 16 offen
	s_waitcnt vmcnt(3)
	v_and_b32_e32 v25, 0xffff, v1
	v_lshrrev_b32_e32 v1, 16, v1
	v_and_b32_e32 v26, 0xffff, v2
	v_lshrrev_b32_e32 v2, 16, v2
	v_and_b32_e32 v27, 0xffff, v3
	v_cvt_f32_u32_e32 v25, v25
	v_cvt_f32_u32_e32 v1, v1
	v_lshrrev_b32_e32 v3, 16, v3
	v_cvt_f32_u32_e32 v26, v26
	v_cvt_f32_u32_e32 v2, v2
	v_and_b32_e32 v28, 0xffff, v4
	v_max3_f32 v1, v23, v25, v1
	v_lshrrev_b32_e32 v4, 16, v4
	v_cvt_f32_u32_e32 v25, v27
	v_cvt_f32_u32_e32 v3, v3
	s_waitcnt vmcnt(2)
	v_and_b32_e32 v29, 0xffff, v5
	v_max3_f32 v1, v1, v26, v2
	v_lshrrev_b32_e32 v5, 16, v5
	v_and_b32_e32 v23, 0xffff, v7
	v_lshrrev_b32_e32 v2, 16, v7
	v_cvt_f32_u32_e32 v7, v28
	v_cvt_f32_u32_e32 v4, v4
	v_max3_f32 v1, v1, v25, v3
	v_and_b32_e32 v30, 0xffff, v6
	v_lshrrev_b32_e32 v6, 16, v6
	v_cvt_f32_u32_e32 v25, v29
	v_cvt_f32_u32_e32 v5, v5
	v_max3_f32 v1, v1, v7, v4
	v_cvt_f32_u32_e32 v7, v30
	v_cvt_f32_u32_e32 v6, v6
	v_and_b32_e32 v3, 0xffff, v8
	v_lshrrev_b32_e32 v4, 16, v8
	v_max3_f32 v1, v1, v25, v5
	v_cvt_f32_u32_e32 v5, v23
	v_cvt_f32_u32_e32 v2, v2
	v_add_co_u32 v19, s1, 0x100, v19
	s_delay_alu instid0(VALU_DEP_4) | instskip(SKIP_3) | instid1(VALU_DEP_4)
	v_max3_f32 v1, v1, v7, v6
	v_add_co_ci_u32_e64 v20, s1, 0, v20, s1
	v_cvt_f32_u32_e32 v3, v3
	v_cvt_f32_u32_e32 v4, v4
	v_max3_f32 v1, v1, v5, v2
	s_delay_alu instid0(VALU_DEP_4) | instskip(SKIP_1) | instid1(VALU_DEP_3)
	v_cmp_le_u64_e64 s1, s[12:13], v[19:20]
	v_add_nc_u32_e32 v24, 0x2000, v24
	v_max3_f32 v23, v1, v3, v4
	s_delay_alu instid0(VALU_DEP_3)
	s_or_b32 s15, s1, s15
	s_waitcnt vmcnt(0)
	v_mov_b32_e32 v1, v9
	v_dual_mov_b32 v7, v15 :: v_dual_mov_b32 v2, v10
	v_dual_mov_b32 v3, v11 :: v_dual_mov_b32 v4, v12
	;; [unrolled: 1-line block ×3, first 2 shown]
	v_mov_b32_e32 v8, v16
	s_and_not1_b32 exec_lo, exec_lo, s15
	s_cbranch_execnz .LBB49_7
; %bb.8:
	s_or_b32 exec_lo, exec_lo, s15
	v_dual_mov_b32 v1, v9 :: v_dual_mov_b32 v2, v10
	v_dual_mov_b32 v3, v11 :: v_dual_mov_b32 v4, v12
	;; [unrolled: 1-line block ×4, first 2 shown]
.LBB49_9:
	s_or_b32 exec_lo, exec_lo, s2
	v_add_co_u32 v9, s1, 0xffffff00, v19
	s_delay_alu instid0(VALU_DEP_1) | instskip(SKIP_1) | instid1(VALU_DEP_1)
	v_add_co_ci_u32_e64 v10, s1, -1, v20, s1
	s_mov_b32 s2, exec_lo
	v_cmpx_gt_u64_e64 s[12:13], v[9:10]
	s_cbranch_execz .LBB49_11
; %bb.10:
	s_waitcnt vmcnt(1)
	v_and_b32_e32 v9, 0xffff, v1
	v_lshrrev_b32_e32 v1, 16, v1
	v_and_b32_e32 v10, 0xffff, v2
	v_lshrrev_b32_e32 v2, 16, v2
	v_and_b32_e32 v11, 0xffff, v3
	v_cvt_f32_u32_e32 v9, v9
	v_cvt_f32_u32_e32 v1, v1
	v_lshrrev_b32_e32 v3, 16, v3
	v_cvt_f32_u32_e32 v10, v10
	v_cvt_f32_u32_e32 v2, v2
	;; [unrolled: 1-line block ×3, first 2 shown]
	v_max3_f32 v1, v23, v9, v1
	v_and_b32_e32 v9, 0xffff, v4
	v_lshrrev_b32_e32 v4, 16, v4
	v_cvt_f32_u32_e32 v3, v3
	s_delay_alu instid0(VALU_DEP_4)
	v_max3_f32 v1, v1, v10, v2
	s_waitcnt vmcnt(0)
	v_and_b32_e32 v2, 0xffff, v5
	v_lshrrev_b32_e32 v5, 16, v5
	v_cvt_f32_u32_e32 v9, v9
	v_cvt_f32_u32_e32 v4, v4
	v_max3_f32 v1, v1, v11, v3
	v_and_b32_e32 v3, 0xffff, v6
	v_lshrrev_b32_e32 v6, 16, v6
	v_cvt_f32_u32_e32 v2, v2
	v_cvt_f32_u32_e32 v5, v5
	v_max3_f32 v1, v1, v9, v4
	;; [unrolled: 5-line block ×3, first 2 shown]
	v_and_b32_e32 v2, 0xffff, v8
	v_cvt_f32_u32_e32 v4, v4
	v_cvt_f32_u32_e32 v5, v7
	s_delay_alu instid0(VALU_DEP_4) | instskip(SKIP_2) | instid1(VALU_DEP_3)
	v_max3_f32 v1, v1, v3, v6
	v_lshrrev_b32_e32 v3, 16, v8
	v_cvt_f32_u32_e32 v2, v2
	v_max3_f32 v1, v1, v4, v5
	s_delay_alu instid0(VALU_DEP_3) | instskip(NEXT) | instid1(VALU_DEP_1)
	v_cvt_f32_u32_e32 v3, v3
	v_max3_f32 v23, v1, v2, v3
.LBB49_11:
	s_or_b32 exec_lo, exec_lo, s2
	s_waitcnt vmcnt(1)
	s_delay_alu instid0(VALU_DEP_1) | instskip(SKIP_2) | instid1(VALU_DEP_2)
	v_mov_b32_dpp v1, v23 quad_perm:[1,0,3,2] row_mask:0xf bank_mask:0xf
	v_and_b32_e32 v3, 31, v0
	s_mov_b32 s7, exec_lo
	v_cmp_gt_f32_e64 s1, v23, v1
	s_delay_alu instid0(VALU_DEP_1) | instskip(NEXT) | instid1(VALU_DEP_1)
	v_cndmask_b32_e64 v1, v1, v23, s1
	v_mov_b32_dpp v2, v1 quad_perm:[2,3,0,1] row_mask:0xf bank_mask:0xf
	s_delay_alu instid0(VALU_DEP_1) | instskip(NEXT) | instid1(VALU_DEP_1)
	v_cmp_gt_f32_e64 s1, v1, v2
	v_cndmask_b32_e64 v1, v2, v1, s1
	s_delay_alu instid0(VALU_DEP_1) | instskip(NEXT) | instid1(VALU_DEP_1)
	v_mov_b32_dpp v2, v1 row_xmask:7 row_mask:0xf bank_mask:0xf
	v_cmp_gt_f32_e64 s1, v1, v2
	s_delay_alu instid0(VALU_DEP_1) | instskip(NEXT) | instid1(VALU_DEP_1)
	v_cndmask_b32_e64 v1, v2, v1, s1
	v_mov_b32_dpp v2, v1 row_xmask:15 row_mask:0xf bank_mask:0xf
	s_delay_alu instid0(VALU_DEP_1)
	v_cmp_gt_f32_e64 s1, v1, v2
	v_cmpx_eq_u32_e32 31, v3
	s_cbranch_execz .LBB49_13
; %bb.12:
	s_delay_alu instid0(VALU_DEP_2) | instskip(SKIP_2) | instid1(VALU_DEP_2)
	v_cndmask_b32_e64 v1, v2, v1, s1
	s_mov_b32 s1, 0x76543210
	v_lshrrev_b32_e32 v2, 3, v0
	v_permlanex16_b32 v3, v1, s1, 0xfedcba98 op_sel:[1,1]
	s_delay_alu instid0(VALU_DEP_2) | instskip(NEXT) | instid1(VALU_DEP_2)
	v_and_b32_e32 v2, 0x7c, v2
	v_cmp_gt_f32_e64 s1, v1, v3
	s_delay_alu instid0(VALU_DEP_1)
	v_cndmask_b32_e64 v1, v3, v1, s1
	ds_store_b32 v2, v1
.LBB49_13:
	s_or_b32 exec_lo, exec_lo, s7
	v_and_b32_e32 v1, 7, v0
	s_waitcnt vmcnt(0) lgkmcnt(0)
	s_barrier
	buffer_gl0_inv
	s_mov_b32 s2, exec_lo
	v_lshlrev_b32_e32 v1, 2, v1
	ds_load_b32 v1, v1
	s_waitcnt lgkmcnt(0)
	v_mov_b32_dpp v2, v1 quad_perm:[1,0,3,2] row_mask:0xf bank_mask:0xf
	s_delay_alu instid0(VALU_DEP_1) | instskip(NEXT) | instid1(VALU_DEP_1)
	v_cmp_gt_f32_e64 s1, v1, v2
	v_cndmask_b32_e64 v1, v2, v1, s1
	s_delay_alu instid0(VALU_DEP_1) | instskip(NEXT) | instid1(VALU_DEP_1)
	v_mov_b32_dpp v2, v1 quad_perm:[2,3,0,1] row_mask:0xf bank_mask:0xf
	v_cmp_gt_f32_e64 s1, v1, v2
	s_delay_alu instid0(VALU_DEP_1) | instskip(NEXT) | instid1(VALU_DEP_1)
	v_cndmask_b32_e64 v1, v2, v1, s1
	v_mov_b32_dpp v2, v1 row_xmask:7 row_mask:0xf bank_mask:0xf
	s_delay_alu instid0(VALU_DEP_1) | instskip(NEXT) | instid1(VALU_DEP_1)
	v_cmp_gt_f32_e64 s1, v1, v2
	v_cndmask_b32_e64 v1, v2, v1, s1
	s_delay_alu instid0(VALU_DEP_1)
	v_mul_f32_e32 v1, 0x3c010204, v1
	v_cmpx_eq_u32_e32 0, v0
	s_cbranch_execz .LBB49_15
; %bb.14:
	s_ashr_i32 s17, s16, 31
	v_mov_b32_e32 v2, 0
	s_lshl_b64 s[16:17], s[16:17], 2
	s_delay_alu instid0(SALU_CYCLE_1)
	s_add_u32 s10, s10, s16
	s_addc_u32 s11, s11, s17
	global_store_b32 v2, v1, s[10:11]
.LBB49_15:
	s_or_b32 exec_lo, exec_lo, s2
                                        ; implicit-def: $vgpr8_vgpr9_vgpr10_vgpr11_vgpr12_vgpr13_vgpr14_vgpr15
	s_and_saveexec_b32 s1, vcc_lo
; %bb.16:
	s_mov_b32 s7, -1
	s_clause 0x1
	buffer_load_b128 v[8:11], v22, s[4:7], 0 offen
	buffer_load_b128 v[12:15], v22, s[4:7], 16 offen
; %bb.17:
	s_or_b32 exec_lo, exec_lo, s1
	s_add_u32 s8, s8, s14
	s_addc_u32 s1, s9, 0
	s_add_i32 s2, s3, 3
	v_rcp_f32_e32 v16, v1
	s_ashr_i32 s3, s2, 31
	s_and_b32 s9, s1, 0xffff
	s_lshr_b32 s3, s3, 30
	s_delay_alu instid0(SALU_CYCLE_1) | instskip(NEXT) | instid1(SALU_CYCLE_1)
	s_add_i32 s2, s2, s3
	s_and_b32 s10, s2, -4
	s_and_saveexec_b32 s1, s0
	s_cbranch_execz .LBB49_21
; %bb.18:
	v_lshlrev_b32_e32 v19, 4, v0
	s_mov_b32 s7, -1
	s_mov_b32 s0, 0
	s_mov_b32 s11, s7
.LBB49_19:                              ; =>This Inner Loop Header: Depth=1
	s_clause 0x1
	buffer_load_b128 v[0:3], v21, s[4:7], 0 offen
	buffer_load_b128 v[4:7], v21, s[4:7], 16 offen
	s_waitcnt vmcnt(3)
	v_and_b32_e32 v23, 0xffff, v10
	v_lshrrev_b32_e32 v10, 16, v10
	v_add_co_u32 v17, vcc_lo, 0x100, v17
	v_add_co_ci_u32_e32 v18, vcc_lo, 0, v18, vcc_lo
	s_delay_alu instid0(VALU_DEP_4)
	v_cvt_f32_u32_e32 v23, v23
	v_and_b32_e32 v22, 0xffff, v9
	v_lshrrev_b32_e32 v9, 16, v9
	v_cvt_f32_u32_e32 v10, v10
	v_cmp_le_u64_e32 vcc_lo, s[12:13], v[17:18]
	v_mul_f32_e32 v23, v16, v23
	v_cvt_f32_u32_e32 v22, v22
	s_waitcnt vmcnt(2)
	v_and_b32_e32 v25, 0xffff, v12
	v_cvt_f32_u32_e32 v9, v9
	v_and_b32_e32 v20, 0xffff, v8
	v_lshrrev_b32_e32 v8, 16, v8
	v_mul_f32_e32 v22, v16, v22
	v_cvt_f32_u32_e32 v25, v25
	v_dual_mul_f32 v9, v16, v9 :: v_dual_and_b32 v24, 0xffff, v11
	v_lshrrev_b32_e32 v11, 16, v11
	s_delay_alu instid0(VALU_DEP_4) | instskip(NEXT) | instid1(VALU_DEP_4)
	v_cvt_i32_f32_e32 v22, v22
	v_mul_f32_e32 v25, v16, v25
	s_delay_alu instid0(VALU_DEP_4)
	v_cvt_i32_f32_e32 v9, v9
	v_cvt_f32_u32_e32 v8, v8
	v_cvt_f32_u32_e32 v11, v11
	v_and_b32_e32 v26, 0xffff, v13
	v_lshrrev_b32_e32 v13, 16, v13
	v_lshlrev_b16 v9, 8, v9
	v_and_b32_e32 v22, 0xff, v22
	v_dual_mul_f32 v8, v16, v8 :: v_dual_and_b32 v27, 0xffff, v14
	s_delay_alu instid0(VALU_DEP_4)
	v_cvt_f32_u32_e32 v13, v13
	v_and_b32_e32 v28, 0xffff, v15
	v_lshrrev_b32_e32 v15, 16, v15
	v_or_b32_e32 v9, v22, v9
	v_cvt_f32_u32_e32 v27, v27
	v_mul_f32_e32 v13, v16, v13
	v_cvt_f32_u32_e32 v28, v28
	v_cvt_f32_u32_e32 v15, v15
	v_mul_f32_e32 v11, v16, v11
	v_cvt_f32_u32_e32 v26, v26
	v_lshrrev_b32_e32 v12, 16, v12
	v_mul_f32_e32 v28, v16, v28
	v_mul_f32_e32 v15, v16, v15
	v_lshrrev_b32_e32 v14, 16, v14
	v_cvt_i32_f32_e32 v13, v13
	v_cvt_f32_u32_e32 v20, v20
	v_cvt_i32_f32_e32 v28, v28
	v_cvt_i32_f32_e32 v15, v15
	v_mul_f32_e32 v27, v16, v27
	v_cvt_f32_u32_e32 v24, v24
	v_cvt_f32_u32_e32 v12, v12
	v_and_b32_e32 v28, 0xff, v28
	v_lshlrev_b16 v15, 8, v15
	v_cvt_f32_u32_e32 v14, v14
	v_lshlrev_b16 v13, 8, v13
	v_mul_f32_e32 v20, v16, v20
	v_cvt_i32_f32_e32 v23, v23
	v_or_b32_e32 v15, v28, v15
	v_mul_f32_e32 v26, v16, v26
	v_mul_f32_e32 v12, v16, v12
	v_cvt_i32_f32_e32 v25, v25
	v_and_b32_e32 v23, 0xff, v23
	v_lshlrev_b32_e32 v15, 16, v15
	v_cvt_i32_f32_e32 v26, v26
	s_delay_alu instid0(VALU_DEP_4) | instskip(SKIP_2) | instid1(VALU_DEP_4)
	v_dual_mul_f32 v24, v16, v24 :: v_dual_and_b32 v25, 0xff, v25
	v_cvt_i32_f32_e32 v27, v27
	v_mul_f32_e32 v10, v16, v10
	v_and_b32_e32 v26, 0xff, v26
	v_cvt_i32_f32_e32 v20, v20
	v_cvt_i32_f32_e32 v8, v8
	v_and_b32_e32 v27, 0xff, v27
	v_cvt_i32_f32_e32 v10, v10
	v_or_b32_e32 v13, v26, v13
	v_mul_f32_e32 v14, v16, v14
	v_cvt_i32_f32_e32 v24, v24
	v_cvt_i32_f32_e32 v11, v11
	;; [unrolled: 1-line block ×3, first 2 shown]
	v_lshlrev_b32_e32 v13, 16, v13
	v_cvt_i32_f32_e32 v14, v14
	v_lshlrev_b16 v10, 8, v10
	v_lshlrev_b16 v11, 8, v11
	;; [unrolled: 1-line block ×3, first 2 shown]
	v_and_b32_e32 v24, 0xff, v24
	v_lshlrev_b16 v14, 8, v14
	v_lshlrev_b16 v8, 8, v8
	v_and_b32_e32 v20, 0xff, v20
	v_or_b32_e32 v12, v25, v12
	v_or_b32_e32 v10, v23, v10
	;; [unrolled: 1-line block ×5, first 2 shown]
	v_and_b32_e32 v12, 0xffff, v12
	v_and_b32_e32 v20, 0xffff, v10
	v_and_b32_e32 v14, 0xffff, v14
	v_lshlrev_b32_e32 v22, 16, v11
	v_and_b32_e32 v8, 0xffff, v8
	v_lshlrev_b32_e32 v23, 16, v9
	v_or_b32_e32 v10, v12, v13
	v_or_b32_e32 v11, v14, v15
	;; [unrolled: 1-line block ×3, first 2 shown]
	v_add_nc_u32_e32 v21, 0x2000, v21
	v_or_b32_e32 v8, v8, v23
	s_or_b32 s0, vcc_lo, s0
	buffer_store_b128 v[8:11], v19, s[8:11], 0 offen
	v_add_nc_u32_e32 v19, 0x1000, v19
	;;#ASMSTART
	s_nop 0
	;;#ASMEND
	s_waitcnt vmcnt(0)
	v_dual_mov_b32 v15, v7 :: v_dual_mov_b32 v12, v4
	v_dual_mov_b32 v14, v6 :: v_dual_mov_b32 v13, v5
	;; [unrolled: 1-line block ×4, first 2 shown]
	s_and_not1_b32 exec_lo, exec_lo, s0
	s_cbranch_execnz .LBB49_19
; %bb.20:
	s_or_b32 exec_lo, exec_lo, s0
	v_dual_mov_b32 v15, v7 :: v_dual_mov_b32 v14, v6
	v_dual_mov_b32 v13, v5 :: v_dual_mov_b32 v12, v4
	;; [unrolled: 1-line block ×4, first 2 shown]
.LBB49_21:
	s_or_b32 exec_lo, exec_lo, s1
	v_add_co_u32 v0, vcc_lo, 0xffffff00, v17
	v_add_co_ci_u32_e32 v1, vcc_lo, -1, v18, vcc_lo
	s_mov_b32 s0, exec_lo
	s_delay_alu instid0(VALU_DEP_1)
	v_cmpx_gt_u64_e64 s[12:13], v[0:1]
	s_cbranch_execz .LBB49_23
; %bb.22:
	s_waitcnt vmcnt(1)
	v_lshrrev_b32_e32 v2, 16, v8
	v_lshrrev_b32_e32 v4, 16, v9
	;; [unrolled: 1-line block ×3, first 2 shown]
	s_waitcnt vmcnt(0)
	v_and_b32_e32 v17, 0xffff, v15
	v_lshrrev_b32_e32 v15, 16, v15
	v_cvt_f32_u32_e32 v2, v2
	v_and_b32_e32 v1, 0xffff, v8
	v_lshrrev_b32_e32 v8, 16, v11
	v_cvt_f32_u32_e32 v4, v4
	v_and_b32_e32 v3, 0xffff, v9
	v_cvt_f32_u32_e32 v6, v6
	v_and_b32_e32 v7, 0xffff, v11
	;; [unrolled: 2-line block ×3, first 2 shown]
	v_lshrrev_b32_e32 v10, 16, v12
	v_dual_mul_f32 v2, v16, v2 :: v_dual_and_b32 v11, 0xffff, v13
	v_cvt_f32_u32_e32 v1, v1
	v_mul_f32_e32 v4, v16, v4
	s_delay_alu instid0(VALU_DEP_4)
	v_cvt_f32_u32_e32 v10, v10
	v_and_b32_e32 v9, 0xffff, v12
	v_lshrrev_b32_e32 v12, 16, v13
	v_cvt_f32_u32_e32 v3, v3
	v_cvt_i32_f32_e32 v2, v2
	v_mul_f32_e32 v10, v16, v10
	v_cvt_f32_u32_e32 v9, v9
	v_cvt_f32_u32_e32 v12, v12
	v_and_b32_e32 v13, 0xffff, v14
	v_lshrrev_b32_e32 v14, 16, v14
	v_cvt_i32_f32_e32 v10, v10
	v_mul_f32_e32 v9, v16, v9
	v_mul_f32_e32 v12, v16, v12
	v_cvt_f32_u32_e32 v13, v13
	v_cvt_f32_u32_e32 v14, v14
	v_lshlrev_b16 v10, 8, v10
	v_cvt_i32_f32_e32 v9, v9
	v_cvt_i32_f32_e32 v4, v4
	v_mul_f32_e32 v13, v16, v13
	v_mul_f32_e32 v14, v16, v14
	v_cvt_f32_u32_e32 v11, v11
	v_and_b32_e32 v9, 0xff, v9
	v_cvt_f32_u32_e32 v17, v17
	v_cvt_i32_f32_e32 v13, v13
	v_cvt_i32_f32_e32 v14, v14
	v_mul_f32_e32 v11, v16, v11
	v_or_b32_e32 v9, v9, v10
	v_cvt_i32_f32_e32 v10, v12
	v_and_b32_e32 v13, 0xff, v13
	v_lshlrev_b16 v14, 8, v14
	v_cvt_i32_f32_e32 v11, v11
	v_cvt_f32_u32_e32 v15, v15
	v_lshlrev_b16 v10, 8, v10
	v_mul_f32_e32 v6, v16, v6
	v_or_b32_e32 v13, v13, v14
	v_and_b32_e32 v11, 0xff, v11
	v_mul_f32_e32 v3, v16, v3
	v_cvt_f32_u32_e32 v7, v7
	v_mul_f32_e32 v8, v16, v8
	v_and_b32_e32 v12, 0xffff, v13
	v_or_b32_e32 v10, v11, v10
	v_mul_f32_e32 v1, v16, v1
	v_cvt_i32_f32_e32 v3, v3
	v_cvt_f32_u32_e32 v5, v5
	v_lshlrev_b16 v2, 8, v2
	v_lshlrev_b16 v4, 8, v4
	v_cvt_i32_f32_e32 v1, v1
	v_and_b32_e32 v3, 0xff, v3
	v_mul_f32_e32 v5, v16, v5
	v_mul_f32_e32 v15, v16, v15
	;; [unrolled: 1-line block ×3, first 2 shown]
	v_and_b32_e32 v1, 0xff, v1
	v_cvt_i32_f32_e32 v6, v6
	v_cvt_i32_f32_e32 v5, v5
	v_cvt_i32_f32_e32 v8, v8
	v_cvt_i32_f32_e32 v15, v15
	v_or_b32_e32 v1, v1, v2
	v_or_b32_e32 v2, v3, v4
	v_mul_f32_e32 v7, v16, v7
	v_cvt_i32_f32_e32 v17, v17
	v_lshlrev_b16 v15, 8, v15
	v_lshlrev_b16 v6, 8, v6
	v_and_b32_e32 v5, 0xff, v5
	v_cvt_i32_f32_e32 v7, v7
	v_and_b32_e32 v17, 0xff, v17
	v_lshlrev_b16 v8, 8, v8
	v_and_b32_e32 v9, 0xffff, v9
	v_or_b32_e32 v5, v5, v6
	v_and_b32_e32 v7, 0xff, v7
	v_or_b32_e32 v14, v17, v15
	v_lshlrev_b32_e32 v4, 16, v10
	v_lshlrev_b32_e32 v10, 4, v0
	v_and_b32_e32 v5, 0xffff, v5
	v_or_b32_e32 v6, v7, v8
	v_lshlrev_b32_e32 v8, 16, v2
	v_lshlrev_b32_e32 v13, 16, v14
	v_and_b32_e32 v7, 0xffff, v1
	v_or_b32_e32 v2, v9, v4
	v_lshlrev_b32_e32 v6, 16, v6
	s_mov_b32 s11, -1
	v_or_b32_e32 v3, v12, v13
	v_or_b32_e32 v0, v7, v8
	s_delay_alu instid0(VALU_DEP_3)
	v_or_b32_e32 v1, v5, v6
	buffer_store_b128 v[0:3], v10, s[8:11], 0 offen
	;;#ASMSTART
	s_nop 0
	;;#ASMEND
.LBB49_23:
	s_nop 0
	s_sendmsg sendmsg(MSG_DEALLOC_VGPRS)
	s_endpgm
	.section	.rodata,"a",@progbits
	.p2align	6, 0x0
	.amdhsa_kernel _ZN5aiter37dynamic_per_token_scaled_quant_kernelItaLi0EEEvPT0_PfPT_PKfiPKii
		.amdhsa_group_segment_fixed_size 32
		.amdhsa_private_segment_fixed_size 0
		.amdhsa_kernarg_size 52
		.amdhsa_user_sgpr_count 15
		.amdhsa_user_sgpr_dispatch_ptr 0
		.amdhsa_user_sgpr_queue_ptr 0
		.amdhsa_user_sgpr_kernarg_segment_ptr 1
		.amdhsa_user_sgpr_dispatch_id 0
		.amdhsa_user_sgpr_private_segment_size 0
		.amdhsa_wavefront_size32 1
		.amdhsa_uses_dynamic_stack 0
		.amdhsa_enable_private_segment 0
		.amdhsa_system_sgpr_workgroup_id_x 1
		.amdhsa_system_sgpr_workgroup_id_y 0
		.amdhsa_system_sgpr_workgroup_id_z 0
		.amdhsa_system_sgpr_workgroup_info 0
		.amdhsa_system_vgpr_workitem_id 0
		.amdhsa_next_free_vgpr 31
		.amdhsa_next_free_sgpr 18
		.amdhsa_reserve_vcc 1
		.amdhsa_float_round_mode_32 0
		.amdhsa_float_round_mode_16_64 0
		.amdhsa_float_denorm_mode_32 3
		.amdhsa_float_denorm_mode_16_64 3
		.amdhsa_dx10_clamp 1
		.amdhsa_ieee_mode 1
		.amdhsa_fp16_overflow 0
		.amdhsa_workgroup_processor_mode 1
		.amdhsa_memory_ordered 1
		.amdhsa_forward_progress 0
		.amdhsa_shared_vgpr_count 0
		.amdhsa_exception_fp_ieee_invalid_op 0
		.amdhsa_exception_fp_denorm_src 0
		.amdhsa_exception_fp_ieee_div_zero 0
		.amdhsa_exception_fp_ieee_overflow 0
		.amdhsa_exception_fp_ieee_underflow 0
		.amdhsa_exception_fp_ieee_inexact 0
		.amdhsa_exception_int_div_zero 0
	.end_amdhsa_kernel
	.section	.text._ZN5aiter37dynamic_per_token_scaled_quant_kernelItaLi0EEEvPT0_PfPT_PKfiPKii,"axG",@progbits,_ZN5aiter37dynamic_per_token_scaled_quant_kernelItaLi0EEEvPT0_PfPT_PKfiPKii,comdat
.Lfunc_end49:
	.size	_ZN5aiter37dynamic_per_token_scaled_quant_kernelItaLi0EEEvPT0_PfPT_PKfiPKii, .Lfunc_end49-_ZN5aiter37dynamic_per_token_scaled_quant_kernelItaLi0EEEvPT0_PfPT_PKfiPKii
                                        ; -- End function
	.section	.AMDGPU.csdata,"",@progbits
; Kernel info:
; codeLenInByte = 2820
; NumSgprs: 20
; NumVgprs: 31
; ScratchSize: 0
; MemoryBound: 0
; FloatMode: 240
; IeeeMode: 1
; LDSByteSize: 32 bytes/workgroup (compile time only)
; SGPRBlocks: 2
; VGPRBlocks: 3
; NumSGPRsForWavesPerEU: 20
; NumVGPRsForWavesPerEU: 31
; Occupancy: 16
; WaveLimiterHint : 0
; COMPUTE_PGM_RSRC2:SCRATCH_EN: 0
; COMPUTE_PGM_RSRC2:USER_SGPR: 15
; COMPUTE_PGM_RSRC2:TRAP_HANDLER: 0
; COMPUTE_PGM_RSRC2:TGID_X_EN: 1
; COMPUTE_PGM_RSRC2:TGID_Y_EN: 0
; COMPUTE_PGM_RSRC2:TGID_Z_EN: 0
; COMPUTE_PGM_RSRC2:TIDIG_COMP_CNT: 0
	.section	.text._ZN5aiter37dynamic_per_group_scaled_quant_kernelIDF16_DB8_Li32ELi32ELb1ELi64ELb1EEEvPT0_PfPKT_PKfliilPKii,"axG",@progbits,_ZN5aiter37dynamic_per_group_scaled_quant_kernelIDF16_DB8_Li32ELi32ELb1ELi64ELb1EEEvPT0_PfPKT_PKfliilPKii,comdat
	.protected	_ZN5aiter37dynamic_per_group_scaled_quant_kernelIDF16_DB8_Li32ELi32ELb1ELi64ELb1EEEvPT0_PfPKT_PKfliilPKii ; -- Begin function _ZN5aiter37dynamic_per_group_scaled_quant_kernelIDF16_DB8_Li32ELi32ELb1ELi64ELb1EEEvPT0_PfPKT_PKfliilPKii
	.globl	_ZN5aiter37dynamic_per_group_scaled_quant_kernelIDF16_DB8_Li32ELi32ELb1ELi64ELb1EEEvPT0_PfPKT_PKfliilPKii
	.p2align	8
	.type	_ZN5aiter37dynamic_per_group_scaled_quant_kernelIDF16_DB8_Li32ELi32ELb1ELi64ELb1EEEvPT0_PfPKT_PKfliilPKii,@function
_ZN5aiter37dynamic_per_group_scaled_quant_kernelIDF16_DB8_Li32ELi32ELb1ELi64ELb1EEEvPT0_PfPKT_PKfliilPKii: ; @_ZN5aiter37dynamic_per_group_scaled_quant_kernelIDF16_DB8_Li32ELi32ELb1ELi64ELb1EEEvPT0_PfPKT_PKfliilPKii
; %bb.0:
	s_load_b64 s[2:3], s[0:1], 0x38
	s_mov_b32 s8, s15
	s_waitcnt lgkmcnt(0)
	s_cmp_eq_u64 s[2:3], 0
	s_cbranch_scc1 .LBB50_2
; %bb.1:
	s_load_b32 s4, s[0:1], 0x40
	s_load_b32 s2, s[2:3], 0x0
	s_waitcnt lgkmcnt(0)
	s_mul_hi_i32 s5, s2, s4
	s_mul_i32 s4, s2, s4
	s_branch .LBB50_3
.LBB50_2:
	s_load_b64 s[4:5], s[0:1], 0x20
.LBB50_3:
	s_load_b64 s[2:3], s[0:1], 0x28
	s_mov_b32 s9, 0
	s_delay_alu instid0(SALU_CYCLE_1) | instskip(NEXT) | instid1(SALU_CYCLE_1)
	s_lshl_b64 s[10:11], s[8:9], 6
	v_or_b32_e32 v2, s10, v0
                                        ; implicit-def: $vgpr0_vgpr1
	s_waitcnt lgkmcnt(0)
	s_ashr_i32 s6, s2, 31
	s_delay_alu instid0(SALU_CYCLE_1) | instskip(NEXT) | instid1(SALU_CYCLE_1)
	s_lshr_b32 s6, s6, 27
	s_add_i32 s2, s2, s6
	s_delay_alu instid0(SALU_CYCLE_1) | instskip(NEXT) | instid1(SALU_CYCLE_1)
	s_ashr_i32 s15, s2, 5
	s_add_i32 s14, s15, 7
	s_delay_alu instid0(SALU_CYCLE_1) | instskip(NEXT) | instid1(SALU_CYCLE_1)
	s_lshr_b32 s2, s14, 29
	s_add_i32 s14, s14, s2
	s_delay_alu instid0(SALU_CYCLE_1) | instskip(NEXT) | instid1(SALU_CYCLE_1)
	s_and_b32 s6, s14, -8
	s_ashr_i32 s7, s6, 31
	s_delay_alu instid0(SALU_CYCLE_1) | instskip(SKIP_1) | instid1(SALU_CYCLE_1)
	s_or_b64 s[12:13], s[10:11], s[6:7]
	s_mov_b32 s12, s9
	s_cmp_lg_u64 s[12:13], 0
	s_cselect_b32 s2, -1, 0
	s_delay_alu instid0(SALU_CYCLE_1) | instskip(NEXT) | instid1(SALU_CYCLE_1)
	s_and_saveexec_b32 s8, s2
	s_xor_b32 s10, exec_lo, s8
	s_cbranch_execz .LBB50_5
; %bb.4:
	s_add_u32 s12, s6, s7
	s_mov_b32 s8, s7
	s_mov_b32 s9, s7
	s_addc_u32 s13, s7, s7
	s_delay_alu instid0(SALU_CYCLE_1) | instskip(NEXT) | instid1(SALU_CYCLE_1)
	s_xor_b64 s[12:13], s[12:13], s[8:9]
	v_cvt_f32_u32_e32 v0, s12
	v_cvt_f32_u32_e32 v1, s13
	s_sub_u32 s2, 0, s12
	s_subb_u32 s7, 0, s13
	s_delay_alu instid0(VALU_DEP_1) | instskip(NEXT) | instid1(VALU_DEP_1)
	v_fmamk_f32 v0, v1, 0x4f800000, v0
	v_rcp_f32_e32 v0, v0
	s_waitcnt_depctr 0xfff
	v_mul_f32_e32 v0, 0x5f7ffffc, v0
	s_delay_alu instid0(VALU_DEP_1) | instskip(NEXT) | instid1(VALU_DEP_1)
	v_mul_f32_e32 v1, 0x2f800000, v0
	v_trunc_f32_e32 v1, v1
	s_delay_alu instid0(VALU_DEP_1) | instskip(SKIP_1) | instid1(VALU_DEP_2)
	v_fmamk_f32 v0, v1, 0xcf800000, v0
	v_cvt_u32_f32_e32 v1, v1
	v_cvt_u32_f32_e32 v0, v0
	s_delay_alu instid0(VALU_DEP_2) | instskip(NEXT) | instid1(VALU_DEP_2)
	v_mul_lo_u32 v3, s2, v1
	v_mul_hi_u32 v4, s2, v0
	v_mul_lo_u32 v5, s7, v0
	s_delay_alu instid0(VALU_DEP_2) | instskip(SKIP_1) | instid1(VALU_DEP_2)
	v_add_nc_u32_e32 v3, v4, v3
	v_mul_lo_u32 v4, s2, v0
	v_add_nc_u32_e32 v3, v3, v5
	s_delay_alu instid0(VALU_DEP_2) | instskip(NEXT) | instid1(VALU_DEP_2)
	v_mul_hi_u32 v5, v0, v4
	v_mul_lo_u32 v6, v0, v3
	v_mul_hi_u32 v7, v0, v3
	v_mul_hi_u32 v8, v1, v4
	v_mul_lo_u32 v4, v1, v4
	v_mul_hi_u32 v9, v1, v3
	v_mul_lo_u32 v3, v1, v3
	v_add_co_u32 v5, vcc_lo, v5, v6
	v_add_co_ci_u32_e32 v6, vcc_lo, 0, v7, vcc_lo
	s_delay_alu instid0(VALU_DEP_2) | instskip(NEXT) | instid1(VALU_DEP_2)
	v_add_co_u32 v4, vcc_lo, v5, v4
	v_add_co_ci_u32_e32 v4, vcc_lo, v6, v8, vcc_lo
	v_add_co_ci_u32_e32 v5, vcc_lo, 0, v9, vcc_lo
	s_delay_alu instid0(VALU_DEP_2) | instskip(NEXT) | instid1(VALU_DEP_2)
	v_add_co_u32 v3, vcc_lo, v4, v3
	v_add_co_ci_u32_e32 v4, vcc_lo, 0, v5, vcc_lo
	s_delay_alu instid0(VALU_DEP_2) | instskip(NEXT) | instid1(VALU_DEP_2)
	v_add_co_u32 v0, vcc_lo, v0, v3
	v_add_co_ci_u32_e32 v1, vcc_lo, v1, v4, vcc_lo
	s_delay_alu instid0(VALU_DEP_2) | instskip(SKIP_1) | instid1(VALU_DEP_3)
	v_mul_hi_u32 v3, s2, v0
	v_mul_lo_u32 v5, s7, v0
	v_mul_lo_u32 v4, s2, v1
	s_delay_alu instid0(VALU_DEP_1) | instskip(SKIP_1) | instid1(VALU_DEP_2)
	v_add_nc_u32_e32 v3, v3, v4
	v_mul_lo_u32 v4, s2, v0
	v_add_nc_u32_e32 v3, v3, v5
	s_delay_alu instid0(VALU_DEP_2) | instskip(NEXT) | instid1(VALU_DEP_2)
	v_mul_hi_u32 v5, v0, v4
	v_mul_lo_u32 v6, v0, v3
	v_mul_hi_u32 v7, v0, v3
	v_mul_hi_u32 v8, v1, v4
	v_mul_lo_u32 v4, v1, v4
	v_mul_hi_u32 v9, v1, v3
	v_mul_lo_u32 v3, v1, v3
	v_add_co_u32 v5, vcc_lo, v5, v6
	v_add_co_ci_u32_e32 v6, vcc_lo, 0, v7, vcc_lo
	s_delay_alu instid0(VALU_DEP_2) | instskip(NEXT) | instid1(VALU_DEP_2)
	v_add_co_u32 v4, vcc_lo, v5, v4
	v_add_co_ci_u32_e32 v4, vcc_lo, v6, v8, vcc_lo
	v_add_co_ci_u32_e32 v5, vcc_lo, 0, v9, vcc_lo
	s_delay_alu instid0(VALU_DEP_2) | instskip(NEXT) | instid1(VALU_DEP_2)
	v_add_co_u32 v3, vcc_lo, v4, v3
	v_add_co_ci_u32_e32 v4, vcc_lo, 0, v5, vcc_lo
	s_delay_alu instid0(VALU_DEP_2) | instskip(NEXT) | instid1(VALU_DEP_2)
	v_add_co_u32 v5, vcc_lo, v0, v3
	v_add_co_ci_u32_e32 v7, vcc_lo, v1, v4, vcc_lo
	s_delay_alu instid0(VALU_DEP_2) | instskip(SKIP_1) | instid1(VALU_DEP_3)
	v_mul_hi_u32 v8, v2, v5
	v_mad_u64_u32 v[3:4], null, s11, v5, 0
	v_mad_u64_u32 v[0:1], null, v2, v7, 0
	;; [unrolled: 1-line block ×3, first 2 shown]
	s_delay_alu instid0(VALU_DEP_2) | instskip(NEXT) | instid1(VALU_DEP_3)
	v_add_co_u32 v0, vcc_lo, v8, v0
	v_add_co_ci_u32_e32 v1, vcc_lo, 0, v1, vcc_lo
	s_delay_alu instid0(VALU_DEP_2) | instskip(NEXT) | instid1(VALU_DEP_2)
	v_add_co_u32 v0, vcc_lo, v0, v3
	v_add_co_ci_u32_e32 v0, vcc_lo, v1, v4, vcc_lo
	v_add_co_ci_u32_e32 v1, vcc_lo, 0, v6, vcc_lo
	s_delay_alu instid0(VALU_DEP_2) | instskip(NEXT) | instid1(VALU_DEP_2)
	v_add_co_u32 v3, vcc_lo, v0, v5
	v_add_co_ci_u32_e32 v4, vcc_lo, 0, v1, vcc_lo
	s_delay_alu instid0(VALU_DEP_2) | instskip(SKIP_1) | instid1(VALU_DEP_3)
	v_mul_lo_u32 v5, s13, v3
	v_mad_u64_u32 v[0:1], null, s12, v3, 0
	v_mul_lo_u32 v6, s12, v4
	s_delay_alu instid0(VALU_DEP_2) | instskip(NEXT) | instid1(VALU_DEP_2)
	v_sub_co_u32 v0, vcc_lo, v2, v0
	v_add3_u32 v1, v1, v6, v5
	s_delay_alu instid0(VALU_DEP_1) | instskip(NEXT) | instid1(VALU_DEP_1)
	v_sub_nc_u32_e32 v5, s11, v1
	v_subrev_co_ci_u32_e64 v5, s2, s13, v5, vcc_lo
	v_add_co_u32 v6, s2, v3, 2
	s_delay_alu instid0(VALU_DEP_1) | instskip(SKIP_3) | instid1(VALU_DEP_3)
	v_add_co_ci_u32_e64 v7, s2, 0, v4, s2
	v_sub_co_u32 v8, s2, v0, s12
	v_sub_co_ci_u32_e32 v1, vcc_lo, s11, v1, vcc_lo
	v_subrev_co_ci_u32_e64 v5, s2, 0, v5, s2
	v_cmp_le_u32_e32 vcc_lo, s12, v8
	s_delay_alu instid0(VALU_DEP_3) | instskip(SKIP_1) | instid1(VALU_DEP_4)
	v_cmp_eq_u32_e64 s2, s13, v1
	v_cndmask_b32_e64 v8, 0, -1, vcc_lo
	v_cmp_le_u32_e32 vcc_lo, s13, v5
	v_cndmask_b32_e64 v9, 0, -1, vcc_lo
	v_cmp_le_u32_e32 vcc_lo, s12, v0
	;; [unrolled: 2-line block ×3, first 2 shown]
	v_cndmask_b32_e64 v10, 0, -1, vcc_lo
	v_cmp_eq_u32_e32 vcc_lo, s13, v5
	s_delay_alu instid0(VALU_DEP_2) | instskip(SKIP_3) | instid1(VALU_DEP_3)
	v_cndmask_b32_e64 v0, v10, v0, s2
	v_cndmask_b32_e32 v5, v9, v8, vcc_lo
	v_add_co_u32 v8, vcc_lo, v3, 1
	v_add_co_ci_u32_e32 v9, vcc_lo, 0, v4, vcc_lo
	v_cmp_ne_u32_e32 vcc_lo, 0, v5
	s_delay_alu instid0(VALU_DEP_2) | instskip(NEXT) | instid1(VALU_DEP_4)
	v_cndmask_b32_e32 v1, v9, v7, vcc_lo
	v_cndmask_b32_e32 v5, v8, v6, vcc_lo
	v_cmp_ne_u32_e32 vcc_lo, 0, v0
	s_delay_alu instid0(VALU_DEP_3) | instskip(NEXT) | instid1(VALU_DEP_3)
	v_cndmask_b32_e32 v0, v4, v1, vcc_lo
	v_cndmask_b32_e32 v1, v3, v5, vcc_lo
	s_delay_alu instid0(VALU_DEP_2) | instskip(NEXT) | instid1(VALU_DEP_2)
	v_xor_b32_e32 v3, s9, v0
	v_xor_b32_e32 v1, s8, v1
	s_delay_alu instid0(VALU_DEP_1) | instskip(NEXT) | instid1(VALU_DEP_3)
	v_sub_co_u32 v0, vcc_lo, v1, s8
	v_subrev_co_ci_u32_e32 v1, vcc_lo, s9, v3, vcc_lo
.LBB50_5:
	s_and_not1_saveexec_b32 s2, s10
	s_cbranch_execz .LBB50_7
; %bb.6:
	v_cvt_f32_u32_e32 v0, s6
	s_sub_i32 s7, 0, s6
	s_delay_alu instid0(VALU_DEP_1) | instskip(SKIP_2) | instid1(VALU_DEP_1)
	v_rcp_iflag_f32_e32 v0, v0
	s_waitcnt_depctr 0xfff
	v_mul_f32_e32 v0, 0x4f7ffffe, v0
	v_cvt_u32_f32_e32 v0, v0
	s_delay_alu instid0(VALU_DEP_1) | instskip(NEXT) | instid1(VALU_DEP_1)
	v_mul_lo_u32 v1, s7, v0
	v_mul_hi_u32 v1, v0, v1
	s_delay_alu instid0(VALU_DEP_1) | instskip(NEXT) | instid1(VALU_DEP_1)
	v_add_nc_u32_e32 v0, v0, v1
	v_mul_hi_u32 v0, v2, v0
	s_delay_alu instid0(VALU_DEP_1) | instskip(SKIP_1) | instid1(VALU_DEP_2)
	v_mul_lo_u32 v1, v0, s6
	v_add_nc_u32_e32 v3, 1, v0
	v_sub_nc_u32_e32 v1, v2, v1
	s_delay_alu instid0(VALU_DEP_1) | instskip(SKIP_1) | instid1(VALU_DEP_2)
	v_subrev_nc_u32_e32 v4, s6, v1
	v_cmp_le_u32_e32 vcc_lo, s6, v1
	v_dual_cndmask_b32 v1, v1, v4 :: v_dual_cndmask_b32 v0, v0, v3
	s_delay_alu instid0(VALU_DEP_1) | instskip(NEXT) | instid1(VALU_DEP_2)
	v_cmp_le_u32_e32 vcc_lo, s6, v1
	v_add_nc_u32_e32 v3, 1, v0
	s_delay_alu instid0(VALU_DEP_1)
	v_dual_mov_b32 v1, 0 :: v_dual_cndmask_b32 v0, v0, v3
.LBB50_7:
	s_or_b32 exec_lo, exec_lo, s2
	s_delay_alu instid0(VALU_DEP_1) | instskip(NEXT) | instid1(VALU_DEP_2)
	v_mad_u64_u32 v[3:4], null, v0, s6, 0
	v_cmp_gt_i64_e32 vcc_lo, s[4:5], v[0:1]
	s_delay_alu instid0(VALU_DEP_2) | instskip(NEXT) | instid1(VALU_DEP_1)
	v_sub_co_u32 v3, null, v2, v3
	v_cmp_gt_i32_e64 s2, s15, v3
	s_delay_alu instid0(VALU_DEP_1) | instskip(NEXT) | instid1(SALU_CYCLE_1)
	s_and_b32 s2, vcc_lo, s2
	s_and_saveexec_b32 s4, s2
	s_cbranch_execz .LBB50_9
; %bb.8:
	s_ashr_i32 s2, s3, 31
	s_load_b64 s[4:5], s[0:1], 0x10
	v_mul_lo_u32 v1, v1, s3
	v_mad_u64_u32 v[4:5], null, v0, s3, 0
	v_mul_lo_u32 v6, v0, s2
	s_ashr_i32 s2, s14, 3
	v_mov_b32_e32 v7, 0
	s_delay_alu instid0(VALU_DEP_2) | instskip(SKIP_1) | instid1(VALU_DEP_2)
	v_add3_u32 v5, v5, v6, v1
	v_lshlrev_b32_e32 v6, 5, v3
	v_lshlrev_b64 v[4:5], 1, v[4:5]
	s_delay_alu instid0(VALU_DEP_2) | instskip(SKIP_1) | instid1(VALU_DEP_2)
	v_lshlrev_b64 v[6:7], 1, v[6:7]
	s_waitcnt lgkmcnt(0)
	v_add_co_u32 v1, vcc_lo, s4, v4
	s_delay_alu instid0(VALU_DEP_3) | instskip(SKIP_1) | instid1(VALU_DEP_2)
	v_add_co_ci_u32_e32 v4, vcc_lo, s5, v5, vcc_lo
	s_load_b128 s[4:7], s[0:1], 0x0
	v_add_co_u32 v16, vcc_lo, v1, v6
	s_delay_alu instid0(VALU_DEP_2)
	v_add_co_ci_u32_e32 v17, vcc_lo, v4, v7, vcc_lo
	s_clause 0x3
	global_load_b128 v[4:7], v[16:17], off
	global_load_b128 v[8:11], v[16:17], off offset:16
	global_load_b128 v[12:15], v[16:17], off offset:32
	;; [unrolled: 1-line block ×3, first 2 shown]
	s_load_b32 s1, s[0:1], 0x30
	s_waitcnt lgkmcnt(0)
	s_and_b32 s5, s5, 0xffff
	s_waitcnt vmcnt(3)
	v_lshrrev_b32_e32 v20, 16, v4
	v_cvt_f32_f16_e64 v1, |v4|
	v_lshrrev_b32_e32 v21, 16, v5
	v_cvt_f32_f16_e64 v23, |v5|
	;; [unrolled: 2-line block ×4, first 2 shown]
	s_waitcnt vmcnt(1)
	v_lshrrev_b32_e32 v34, 16, v14
	v_cvt_f32_f16_e64 v27, |v24|
	v_max3_f32 v1, v1, 0x2edbe6ff, v22
	v_cvt_f32_f16_e64 v22, |v6|
	v_cvt_f32_f16_e64 v28, |v26|
	v_lshrrev_b32_e32 v36, 16, v15
	v_cvt_f32_f16_e64 v37, |v34|
	v_max3_f32 v1, v1, v23, v25
	v_cvt_f32_f16_e64 v23, |v7|
	v_lshrrev_b32_e32 v25, 16, v8
	v_cvt_f32_f16_e64 v38, |v36|
	s_waitcnt vmcnt(0)
	v_lshrrev_b32_e32 v39, 16, v17
	v_max3_f32 v1, v1, v22, v27
	v_cvt_f32_f16_e64 v22, |v8|
	v_lshrrev_b32_e32 v27, 16, v9
	v_cvt_f32_f16_e64 v29, |v25|
	v_cvt_f32_f16_e64 v41, |v39|
	v_max3_f32 v1, v1, v23, v28
	v_cvt_f32_f16_e64 v23, |v9|
	v_lshrrev_b32_e32 v28, 16, v10
	v_cvt_f32_f16_e64 v30, |v27|
	v_lshrrev_b32_e32 v42, 16, v19
	v_max3_f32 v1, v1, v22, v29
	v_cvt_f32_f16_e64 v22, |v10|
	v_lshrrev_b32_e32 v29, 16, v11
	v_cvt_f32_f16_e64 v31, |v28|
	v_cvt_f32_f16_e32 v4, v4
	v_max3_f32 v1, v1, v23, v30
	v_cvt_f32_f16_e64 v23, |v11|
	v_lshrrev_b32_e32 v30, 16, v12
	v_cvt_f32_f16_e64 v32, |v29|
	v_cvt_f32_f16_e32 v24, v24
	;; [unrolled: 5-line block ×3, first 2 shown]
	v_max3_f32 v1, v1, v23, v32
	v_ashrrev_i32_e32 v23, 31, v0
	v_cvt_f32_f16_e64 v32, |v13|
	v_cvt_f32_f16_e64 v35, |v31|
	v_cvt_f32_f16_e32 v5, v5
	v_max3_f32 v1, v1, v22, v33
	v_lshrrev_b32_e32 v22, 27, v23
	v_cvt_f32_f16_e64 v33, |v14|
	v_lshrrev_b32_e32 v23, 28, v23
	v_cvt_f32_f16_e32 v8, v8
	v_max3_f32 v1, v1, v32, v35
	v_add_nc_u32_e32 v22, v0, v22
	v_cvt_f32_f16_e64 v32, |v15|
	v_lshrrev_b32_e32 v35, 16, v16
	v_add_nc_u32_e32 v23, v0, v23
	v_max3_f32 v1, v1, v33, v37
	v_and_b32_e32 v33, 0xffe0, v22
	v_cvt_f32_f16_e64 v37, |v16|
	v_cvt_f32_f16_e64 v40, |v35|
	v_and_b32_e32 v23, 0x3ffffff0, v23
	v_max3_f32 v1, v1, v32, v38
	v_sub_nc_u32_e32 v32, v0, v33
	v_cvt_f32_f16_e64 v33, |v17|
	v_lshrrev_b32_e32 v38, 16, v18
	v_sub_nc_u32_e32 v0, v0, v23
	v_max3_f32 v1, v1, v37, v40
	v_bfe_i32 v37, v32, 0, 8
	v_cvt_f32_f16_e64 v40, |v18|
	v_cvt_f32_f16_e64 v43, |v38|
	v_lshlrev_b32_e32 v0, 2, v0
	v_max3_f32 v1, v1, v33, v41
	v_lshrrev_b16 v33, 11, v37
	v_cvt_f32_f16_e64 v37, |v19|
	v_cvt_f32_f16_e64 v41, |v42|
	v_cvt_f32_f16_e32 v25, v25
	v_max3_f32 v1, v1, v40, v43
	v_and_b32_e32 v33, 15, v33
	v_cvt_f32_f16_e32 v20, v20
	v_cvt_f32_f16_e32 v7, v7
	;; [unrolled: 1-line block ×3, first 2 shown]
	v_max3_f32 v1, v1, v37, v41
	v_add_nc_u16 v32, v32, v33
	v_lshlrev_b32_e32 v33, 6, v3
	v_lshrrev_b32_e32 v37, 3, v3
	v_lshrrev_b32_e32 v3, 1, v3
	v_mul_f32_e32 v1, 0x3b124925, v1
	v_bfe_i32 v32, v32, 0, 8
	v_lshrrev_b32_e32 v22, 5, v22
	v_cvt_f32_f16_e32 v26, v26
	v_and_b32_e32 v3, 2, v3
	v_bfe_u32 v40, v1, 23, 8
	v_and_b32_e32 v1, 0x7fffff, v1
	v_ashrrev_i16 v23, 4, v32
	v_cvt_f32_f16_e32 v28, v28
	v_cvt_f32_f16_e32 v30, v30
	v_cmp_ne_u32_e32 vcc_lo, 0xff, v40
	v_cmp_ne_u32_e64 s0, 0, v1
	v_mul_lo_u32 v1, v22, s2
	v_and_b32_e32 v22, 0xc0, v33
	v_bfe_i32 v23, v23, 0, 16
	v_mov_b32_e32 v33, 0xc3e00000
	s_and_b32 vcc_lo, s0, vcc_lo
	v_cvt_f32_f16_e32 v27, v27
	v_add_co_ci_u32_e32 v32, vcc_lo, 0, v40, vcc_lo
	v_add3_u32 v0, v22, v0, v23
	v_add_lshl_u32 v1, v37, v1, 8
	v_lshlrev_b32_e32 v23, 5, v2
	s_delay_alu instid0(VALU_DEP_4) | instskip(SKIP_1) | instid1(VALU_DEP_4)
	v_dual_mov_b32 v37, 0x43e00000 :: v_dual_lshlrev_b32 v22, 23, v32
	v_cvt_f32_f16_e32 v29, v29
	v_add3_u32 v0, v0, v1, v3
	v_cvt_f32_f16_e32 v9, v9
	s_delay_alu instid0(VALU_DEP_4) | instskip(SKIP_1) | instid1(VALU_DEP_4)
	v_div_scale_f32 v2, null, v22, v22, 1.0
	v_cvt_f32_f16_e32 v10, v10
	v_ashrrev_i32_e32 v1, 31, v0
	v_add_co_u32 v0, vcc_lo, s6, v0
	s_delay_alu instid0(VALU_DEP_4) | instskip(SKIP_1) | instid1(VALU_DEP_3)
	v_rcp_f32_e32 v3, v2
	v_cvt_f32_f16_e32 v11, v11
	v_add_co_ci_u32_e32 v1, vcc_lo, s7, v1, vcc_lo
	v_div_scale_f32 v41, vcc_lo, 1.0, v22, 1.0
	v_cvt_f32_f16_e32 v12, v12
	global_store_b8 v[0:1], v32, off
	v_cvt_f32_f16_e32 v13, v13
	s_mov_b32 s6, s1
	v_fma_f32 v40, -v2, v3, 1.0
	s_mov_b32 s7, -1
	v_cvt_f32_f16_e32 v14, v14
	v_cvt_f32_f16_e32 v15, v15
	;; [unrolled: 1-line block ×3, first 2 shown]
	v_fmac_f32_e32 v3, v40, v3
	v_cvt_f32_f16_e32 v17, v17
	v_cvt_f32_f16_e32 v18, v18
	;; [unrolled: 1-line block ×4, first 2 shown]
	v_mul_f32_e32 v40, v41, v3
	s_delay_alu instid0(VALU_DEP_1) | instskip(NEXT) | instid1(VALU_DEP_1)
	v_fma_f32 v43, -v2, v40, v41
	v_fmac_f32_e32 v40, v43, v3
	s_delay_alu instid0(VALU_DEP_1) | instskip(NEXT) | instid1(VALU_DEP_1)
	v_fma_f32 v2, -v2, v40, v41
	v_div_fmas_f32 v2, v2, v3, v40
	v_cvt_f32_f16_e32 v3, v31
	v_cvt_f32_f16_e32 v31, v34
	v_cvt_f32_f16_e32 v34, v36
	v_cvt_f32_f16_e32 v36, v38
	v_div_fixup_f32 v22, v2, v22, 1.0
	v_cvt_f32_f16_e32 v2, v39
	v_cvt_f32_f16_e32 v38, v42
	s_delay_alu instid0(VALU_DEP_3)
	v_mul_f32_e32 v0, v22, v4
	v_mul_f32_e32 v1, v22, v20
	;; [unrolled: 1-line block ×13, first 2 shown]
	;;#ASMSTART
	v_med3_f32 v0, v0, v33, v37
v_med3_f32 v1, v1, v33, v37
v_cvt_pk_fp8_f32 v2, v0, v1
	;;#ASMEND
	v_mul_f32_e32 v24, v22, v25
	v_mul_f32_e32 v25, v22, v27
	;; [unrolled: 1-line block ×4, first 2 shown]
	;;#ASMSTART
	v_med3_f32 v4, v4, v33, v37
v_med3_f32 v5, v5, v33, v37
v_cvt_pk_fp8_f32 v0, v4, v5
	;;#ASMEND
	;;#ASMSTART
	v_med3_f32 v6, v6, v33, v37
v_med3_f32 v20, v20, v33, v37
v_cvt_pk_fp8_f32 v1, v6, v20
	;;#ASMEND
	;; [unrolled: 5-line block ×3, first 2 shown]
	v_perm_b32 v7, v0, v2, 0x5040100
	v_mul_f32_e32 v8, v22, v8
	v_mul_f32_e32 v9, v22, v9
	;; [unrolled: 1-line block ×4, first 2 shown]
	;;#ASMSTART
	v_med3_f32 v8, v8, v33, v37
v_med3_f32 v24, v24, v33, v37
v_cvt_pk_fp8_f32 v4, v8, v24
	;;#ASMEND
	;;#ASMSTART
	v_med3_f32 v9, v9, v33, v37
v_med3_f32 v25, v25, v33, v37
v_cvt_pk_fp8_f32 v5, v9, v25
	;;#ASMEND
	;; [unrolled: 5-line block ×4, first 2 shown]
	v_perm_b32 v1, v1, v3, 0x1000504
	v_perm_b32 v2, v4, v5, 0x1000504
	;; [unrolled: 1-line block ×4, first 2 shown]
	v_mul_f32_e32 v12, v22, v12
	v_mul_f32_e32 v13, v22, v13
	;; [unrolled: 1-line block ×4, first 2 shown]
	buffer_store_b128 v[0:3], v23, s[4:7], 0 offen
	;;#ASMSTART
	s_nop 0
	;;#ASMEND
	;;#ASMSTART
	v_med3_f32 v12, v12, v33, v37
v_med3_f32 v28, v28, v33, v37
v_cvt_pk_fp8_f32 v0, v12, v28
	;;#ASMEND
	;;#ASMSTART
	v_med3_f32 v13, v13, v33, v37
v_med3_f32 v29, v29, v33, v37
v_cvt_pk_fp8_f32 v8, v13, v29
	;;#ASMEND
	v_perm_b32 v0, v8, v0, 0x5040100
	v_mul_f32_e32 v16, v22, v16
	v_mul_f32_e32 v32, v22, v35
	v_mul_f32_e32 v17, v22, v17
	v_mul_f32_e32 v4, v22, v18
	v_mul_f32_e32 v5, v22, v36
	v_mul_f32_e32 v6, v22, v19
	v_mul_f32_e32 v7, v22, v38
	;;#ASMSTART
	v_med3_f32 v14, v14, v33, v37
v_med3_f32 v30, v30, v33, v37
v_cvt_pk_fp8_f32 v1, v14, v30
	;;#ASMEND
	;;#ASMSTART
	v_med3_f32 v15, v15, v33, v37
v_med3_f32 v31, v31, v33, v37
v_cvt_pk_fp8_f32 v2, v15, v31
	;;#ASMEND
	;; [unrolled: 5-line block ×6, first 2 shown]
	v_perm_b32 v1, v1, v2, 0x1000504
	v_perm_b32 v2, v3, v9, 0x1000504
	;; [unrolled: 1-line block ×4, first 2 shown]
	buffer_store_b128 v[0:3], v23, s[4:7], 16 offen
	;;#ASMSTART
	s_nop 0
	;;#ASMEND
.LBB50_9:
	s_nop 0
	s_sendmsg sendmsg(MSG_DEALLOC_VGPRS)
	s_endpgm
	.section	.rodata,"a",@progbits
	.p2align	6, 0x0
	.amdhsa_kernel _ZN5aiter37dynamic_per_group_scaled_quant_kernelIDF16_DB8_Li32ELi32ELb1ELi64ELb1EEEvPT0_PfPKT_PKfliilPKii
		.amdhsa_group_segment_fixed_size 0
		.amdhsa_private_segment_fixed_size 0
		.amdhsa_kernarg_size 68
		.amdhsa_user_sgpr_count 15
		.amdhsa_user_sgpr_dispatch_ptr 0
		.amdhsa_user_sgpr_queue_ptr 0
		.amdhsa_user_sgpr_kernarg_segment_ptr 1
		.amdhsa_user_sgpr_dispatch_id 0
		.amdhsa_user_sgpr_private_segment_size 0
		.amdhsa_wavefront_size32 1
		.amdhsa_uses_dynamic_stack 0
		.amdhsa_enable_private_segment 0
		.amdhsa_system_sgpr_workgroup_id_x 1
		.amdhsa_system_sgpr_workgroup_id_y 0
		.amdhsa_system_sgpr_workgroup_id_z 0
		.amdhsa_system_sgpr_workgroup_info 0
		.amdhsa_system_vgpr_workitem_id 0
		.amdhsa_next_free_vgpr 44
		.amdhsa_next_free_sgpr 16
		.amdhsa_reserve_vcc 1
		.amdhsa_float_round_mode_32 0
		.amdhsa_float_round_mode_16_64 0
		.amdhsa_float_denorm_mode_32 3
		.amdhsa_float_denorm_mode_16_64 3
		.amdhsa_dx10_clamp 1
		.amdhsa_ieee_mode 1
		.amdhsa_fp16_overflow 0
		.amdhsa_workgroup_processor_mode 1
		.amdhsa_memory_ordered 1
		.amdhsa_forward_progress 0
		.amdhsa_shared_vgpr_count 0
		.amdhsa_exception_fp_ieee_invalid_op 0
		.amdhsa_exception_fp_denorm_src 0
		.amdhsa_exception_fp_ieee_div_zero 0
		.amdhsa_exception_fp_ieee_overflow 0
		.amdhsa_exception_fp_ieee_underflow 0
		.amdhsa_exception_fp_ieee_inexact 0
		.amdhsa_exception_int_div_zero 0
	.end_amdhsa_kernel
	.section	.text._ZN5aiter37dynamic_per_group_scaled_quant_kernelIDF16_DB8_Li32ELi32ELb1ELi64ELb1EEEvPT0_PfPKT_PKfliilPKii,"axG",@progbits,_ZN5aiter37dynamic_per_group_scaled_quant_kernelIDF16_DB8_Li32ELi32ELb1ELi64ELb1EEEvPT0_PfPKT_PKfliilPKii,comdat
.Lfunc_end50:
	.size	_ZN5aiter37dynamic_per_group_scaled_quant_kernelIDF16_DB8_Li32ELi32ELb1ELi64ELb1EEEvPT0_PfPKT_PKfliilPKii, .Lfunc_end50-_ZN5aiter37dynamic_per_group_scaled_quant_kernelIDF16_DB8_Li32ELi32ELb1ELi64ELb1EEEvPT0_PfPKT_PKfliilPKii
                                        ; -- End function
	.section	.AMDGPU.csdata,"",@progbits
; Kernel info:
; codeLenInByte = 3576
; NumSgprs: 18
; NumVgprs: 44
; ScratchSize: 0
; MemoryBound: 0
; FloatMode: 240
; IeeeMode: 1
; LDSByteSize: 0 bytes/workgroup (compile time only)
; SGPRBlocks: 2
; VGPRBlocks: 5
; NumSGPRsForWavesPerEU: 18
; NumVGPRsForWavesPerEU: 44
; Occupancy: 16
; WaveLimiterHint : 0
; COMPUTE_PGM_RSRC2:SCRATCH_EN: 0
; COMPUTE_PGM_RSRC2:USER_SGPR: 15
; COMPUTE_PGM_RSRC2:TRAP_HANDLER: 0
; COMPUTE_PGM_RSRC2:TGID_X_EN: 1
; COMPUTE_PGM_RSRC2:TGID_Y_EN: 0
; COMPUTE_PGM_RSRC2:TGID_Z_EN: 0
; COMPUTE_PGM_RSRC2:TIDIG_COMP_CNT: 0
	.section	.text._ZN5aiter37dynamic_per_group_scaled_quant_kernelItDB8_Li32ELi32ELb1ELi64ELb1EEEvPT0_PfPKT_PKfliilPKii,"axG",@progbits,_ZN5aiter37dynamic_per_group_scaled_quant_kernelItDB8_Li32ELi32ELb1ELi64ELb1EEEvPT0_PfPKT_PKfliilPKii,comdat
	.protected	_ZN5aiter37dynamic_per_group_scaled_quant_kernelItDB8_Li32ELi32ELb1ELi64ELb1EEEvPT0_PfPKT_PKfliilPKii ; -- Begin function _ZN5aiter37dynamic_per_group_scaled_quant_kernelItDB8_Li32ELi32ELb1ELi64ELb1EEEvPT0_PfPKT_PKfliilPKii
	.globl	_ZN5aiter37dynamic_per_group_scaled_quant_kernelItDB8_Li32ELi32ELb1ELi64ELb1EEEvPT0_PfPKT_PKfliilPKii
	.p2align	8
	.type	_ZN5aiter37dynamic_per_group_scaled_quant_kernelItDB8_Li32ELi32ELb1ELi64ELb1EEEvPT0_PfPKT_PKfliilPKii,@function
_ZN5aiter37dynamic_per_group_scaled_quant_kernelItDB8_Li32ELi32ELb1ELi64ELb1EEEvPT0_PfPKT_PKfliilPKii: ; @_ZN5aiter37dynamic_per_group_scaled_quant_kernelItDB8_Li32ELi32ELb1ELi64ELb1EEEvPT0_PfPKT_PKfliilPKii
; %bb.0:
	s_load_b64 s[2:3], s[0:1], 0x38
	s_mov_b32 s8, s15
	s_waitcnt lgkmcnt(0)
	s_cmp_eq_u64 s[2:3], 0
	s_cbranch_scc1 .LBB51_2
; %bb.1:
	s_load_b32 s4, s[0:1], 0x40
	s_load_b32 s2, s[2:3], 0x0
	s_waitcnt lgkmcnt(0)
	s_mul_hi_i32 s5, s2, s4
	s_mul_i32 s4, s2, s4
	s_branch .LBB51_3
.LBB51_2:
	s_load_b64 s[4:5], s[0:1], 0x20
.LBB51_3:
	s_load_b64 s[2:3], s[0:1], 0x28
	s_mov_b32 s9, 0
	s_delay_alu instid0(SALU_CYCLE_1) | instskip(NEXT) | instid1(SALU_CYCLE_1)
	s_lshl_b64 s[10:11], s[8:9], 6
	v_or_b32_e32 v2, s10, v0
                                        ; implicit-def: $vgpr0_vgpr1
	s_waitcnt lgkmcnt(0)
	s_ashr_i32 s6, s2, 31
	s_delay_alu instid0(SALU_CYCLE_1) | instskip(NEXT) | instid1(SALU_CYCLE_1)
	s_lshr_b32 s6, s6, 27
	s_add_i32 s2, s2, s6
	s_delay_alu instid0(SALU_CYCLE_1) | instskip(NEXT) | instid1(SALU_CYCLE_1)
	s_ashr_i32 s15, s2, 5
	s_add_i32 s14, s15, 7
	s_delay_alu instid0(SALU_CYCLE_1) | instskip(NEXT) | instid1(SALU_CYCLE_1)
	s_lshr_b32 s2, s14, 29
	s_add_i32 s14, s14, s2
	s_delay_alu instid0(SALU_CYCLE_1) | instskip(NEXT) | instid1(SALU_CYCLE_1)
	s_and_b32 s6, s14, -8
	s_ashr_i32 s7, s6, 31
	s_delay_alu instid0(SALU_CYCLE_1) | instskip(SKIP_1) | instid1(SALU_CYCLE_1)
	s_or_b64 s[12:13], s[10:11], s[6:7]
	s_mov_b32 s12, s9
	s_cmp_lg_u64 s[12:13], 0
	s_cselect_b32 s2, -1, 0
	s_delay_alu instid0(SALU_CYCLE_1) | instskip(NEXT) | instid1(SALU_CYCLE_1)
	s_and_saveexec_b32 s8, s2
	s_xor_b32 s10, exec_lo, s8
	s_cbranch_execz .LBB51_5
; %bb.4:
	s_add_u32 s12, s6, s7
	s_mov_b32 s8, s7
	s_mov_b32 s9, s7
	s_addc_u32 s13, s7, s7
	s_delay_alu instid0(SALU_CYCLE_1) | instskip(NEXT) | instid1(SALU_CYCLE_1)
	s_xor_b64 s[12:13], s[12:13], s[8:9]
	v_cvt_f32_u32_e32 v0, s12
	v_cvt_f32_u32_e32 v1, s13
	s_sub_u32 s2, 0, s12
	s_subb_u32 s7, 0, s13
	s_delay_alu instid0(VALU_DEP_1) | instskip(NEXT) | instid1(VALU_DEP_1)
	v_fmamk_f32 v0, v1, 0x4f800000, v0
	v_rcp_f32_e32 v0, v0
	s_waitcnt_depctr 0xfff
	v_mul_f32_e32 v0, 0x5f7ffffc, v0
	s_delay_alu instid0(VALU_DEP_1) | instskip(NEXT) | instid1(VALU_DEP_1)
	v_mul_f32_e32 v1, 0x2f800000, v0
	v_trunc_f32_e32 v1, v1
	s_delay_alu instid0(VALU_DEP_1) | instskip(SKIP_1) | instid1(VALU_DEP_2)
	v_fmamk_f32 v0, v1, 0xcf800000, v0
	v_cvt_u32_f32_e32 v1, v1
	v_cvt_u32_f32_e32 v0, v0
	s_delay_alu instid0(VALU_DEP_2) | instskip(NEXT) | instid1(VALU_DEP_2)
	v_mul_lo_u32 v3, s2, v1
	v_mul_hi_u32 v4, s2, v0
	v_mul_lo_u32 v5, s7, v0
	s_delay_alu instid0(VALU_DEP_2) | instskip(SKIP_1) | instid1(VALU_DEP_2)
	v_add_nc_u32_e32 v3, v4, v3
	v_mul_lo_u32 v4, s2, v0
	v_add_nc_u32_e32 v3, v3, v5
	s_delay_alu instid0(VALU_DEP_2) | instskip(NEXT) | instid1(VALU_DEP_2)
	v_mul_hi_u32 v5, v0, v4
	v_mul_lo_u32 v6, v0, v3
	v_mul_hi_u32 v7, v0, v3
	v_mul_hi_u32 v8, v1, v4
	v_mul_lo_u32 v4, v1, v4
	v_mul_hi_u32 v9, v1, v3
	v_mul_lo_u32 v3, v1, v3
	v_add_co_u32 v5, vcc_lo, v5, v6
	v_add_co_ci_u32_e32 v6, vcc_lo, 0, v7, vcc_lo
	s_delay_alu instid0(VALU_DEP_2) | instskip(NEXT) | instid1(VALU_DEP_2)
	v_add_co_u32 v4, vcc_lo, v5, v4
	v_add_co_ci_u32_e32 v4, vcc_lo, v6, v8, vcc_lo
	v_add_co_ci_u32_e32 v5, vcc_lo, 0, v9, vcc_lo
	s_delay_alu instid0(VALU_DEP_2) | instskip(NEXT) | instid1(VALU_DEP_2)
	v_add_co_u32 v3, vcc_lo, v4, v3
	v_add_co_ci_u32_e32 v4, vcc_lo, 0, v5, vcc_lo
	s_delay_alu instid0(VALU_DEP_2) | instskip(NEXT) | instid1(VALU_DEP_2)
	v_add_co_u32 v0, vcc_lo, v0, v3
	v_add_co_ci_u32_e32 v1, vcc_lo, v1, v4, vcc_lo
	s_delay_alu instid0(VALU_DEP_2) | instskip(SKIP_1) | instid1(VALU_DEP_3)
	v_mul_hi_u32 v3, s2, v0
	v_mul_lo_u32 v5, s7, v0
	v_mul_lo_u32 v4, s2, v1
	s_delay_alu instid0(VALU_DEP_1) | instskip(SKIP_1) | instid1(VALU_DEP_2)
	v_add_nc_u32_e32 v3, v3, v4
	v_mul_lo_u32 v4, s2, v0
	v_add_nc_u32_e32 v3, v3, v5
	s_delay_alu instid0(VALU_DEP_2) | instskip(NEXT) | instid1(VALU_DEP_2)
	v_mul_hi_u32 v5, v0, v4
	v_mul_lo_u32 v6, v0, v3
	v_mul_hi_u32 v7, v0, v3
	v_mul_hi_u32 v8, v1, v4
	v_mul_lo_u32 v4, v1, v4
	v_mul_hi_u32 v9, v1, v3
	v_mul_lo_u32 v3, v1, v3
	v_add_co_u32 v5, vcc_lo, v5, v6
	v_add_co_ci_u32_e32 v6, vcc_lo, 0, v7, vcc_lo
	s_delay_alu instid0(VALU_DEP_2) | instskip(NEXT) | instid1(VALU_DEP_2)
	v_add_co_u32 v4, vcc_lo, v5, v4
	v_add_co_ci_u32_e32 v4, vcc_lo, v6, v8, vcc_lo
	v_add_co_ci_u32_e32 v5, vcc_lo, 0, v9, vcc_lo
	s_delay_alu instid0(VALU_DEP_2) | instskip(NEXT) | instid1(VALU_DEP_2)
	v_add_co_u32 v3, vcc_lo, v4, v3
	v_add_co_ci_u32_e32 v4, vcc_lo, 0, v5, vcc_lo
	s_delay_alu instid0(VALU_DEP_2) | instskip(NEXT) | instid1(VALU_DEP_2)
	v_add_co_u32 v5, vcc_lo, v0, v3
	v_add_co_ci_u32_e32 v7, vcc_lo, v1, v4, vcc_lo
	s_delay_alu instid0(VALU_DEP_2) | instskip(SKIP_1) | instid1(VALU_DEP_3)
	v_mul_hi_u32 v8, v2, v5
	v_mad_u64_u32 v[3:4], null, s11, v5, 0
	v_mad_u64_u32 v[0:1], null, v2, v7, 0
	;; [unrolled: 1-line block ×3, first 2 shown]
	s_delay_alu instid0(VALU_DEP_2) | instskip(NEXT) | instid1(VALU_DEP_3)
	v_add_co_u32 v0, vcc_lo, v8, v0
	v_add_co_ci_u32_e32 v1, vcc_lo, 0, v1, vcc_lo
	s_delay_alu instid0(VALU_DEP_2) | instskip(NEXT) | instid1(VALU_DEP_2)
	v_add_co_u32 v0, vcc_lo, v0, v3
	v_add_co_ci_u32_e32 v0, vcc_lo, v1, v4, vcc_lo
	v_add_co_ci_u32_e32 v1, vcc_lo, 0, v6, vcc_lo
	s_delay_alu instid0(VALU_DEP_2) | instskip(NEXT) | instid1(VALU_DEP_2)
	v_add_co_u32 v3, vcc_lo, v0, v5
	v_add_co_ci_u32_e32 v4, vcc_lo, 0, v1, vcc_lo
	s_delay_alu instid0(VALU_DEP_2) | instskip(SKIP_1) | instid1(VALU_DEP_3)
	v_mul_lo_u32 v5, s13, v3
	v_mad_u64_u32 v[0:1], null, s12, v3, 0
	v_mul_lo_u32 v6, s12, v4
	s_delay_alu instid0(VALU_DEP_2) | instskip(NEXT) | instid1(VALU_DEP_2)
	v_sub_co_u32 v0, vcc_lo, v2, v0
	v_add3_u32 v1, v1, v6, v5
	s_delay_alu instid0(VALU_DEP_1) | instskip(NEXT) | instid1(VALU_DEP_1)
	v_sub_nc_u32_e32 v5, s11, v1
	v_subrev_co_ci_u32_e64 v5, s2, s13, v5, vcc_lo
	v_add_co_u32 v6, s2, v3, 2
	s_delay_alu instid0(VALU_DEP_1) | instskip(SKIP_3) | instid1(VALU_DEP_3)
	v_add_co_ci_u32_e64 v7, s2, 0, v4, s2
	v_sub_co_u32 v8, s2, v0, s12
	v_sub_co_ci_u32_e32 v1, vcc_lo, s11, v1, vcc_lo
	v_subrev_co_ci_u32_e64 v5, s2, 0, v5, s2
	v_cmp_le_u32_e32 vcc_lo, s12, v8
	s_delay_alu instid0(VALU_DEP_3) | instskip(SKIP_1) | instid1(VALU_DEP_4)
	v_cmp_eq_u32_e64 s2, s13, v1
	v_cndmask_b32_e64 v8, 0, -1, vcc_lo
	v_cmp_le_u32_e32 vcc_lo, s13, v5
	v_cndmask_b32_e64 v9, 0, -1, vcc_lo
	v_cmp_le_u32_e32 vcc_lo, s12, v0
	;; [unrolled: 2-line block ×3, first 2 shown]
	v_cndmask_b32_e64 v10, 0, -1, vcc_lo
	v_cmp_eq_u32_e32 vcc_lo, s13, v5
	s_delay_alu instid0(VALU_DEP_2) | instskip(SKIP_3) | instid1(VALU_DEP_3)
	v_cndmask_b32_e64 v0, v10, v0, s2
	v_cndmask_b32_e32 v5, v9, v8, vcc_lo
	v_add_co_u32 v8, vcc_lo, v3, 1
	v_add_co_ci_u32_e32 v9, vcc_lo, 0, v4, vcc_lo
	v_cmp_ne_u32_e32 vcc_lo, 0, v5
	s_delay_alu instid0(VALU_DEP_2) | instskip(NEXT) | instid1(VALU_DEP_4)
	v_cndmask_b32_e32 v1, v9, v7, vcc_lo
	v_cndmask_b32_e32 v5, v8, v6, vcc_lo
	v_cmp_ne_u32_e32 vcc_lo, 0, v0
	s_delay_alu instid0(VALU_DEP_3) | instskip(NEXT) | instid1(VALU_DEP_3)
	v_cndmask_b32_e32 v0, v4, v1, vcc_lo
	v_cndmask_b32_e32 v1, v3, v5, vcc_lo
	s_delay_alu instid0(VALU_DEP_2) | instskip(NEXT) | instid1(VALU_DEP_2)
	v_xor_b32_e32 v3, s9, v0
	v_xor_b32_e32 v1, s8, v1
	s_delay_alu instid0(VALU_DEP_1) | instskip(NEXT) | instid1(VALU_DEP_3)
	v_sub_co_u32 v0, vcc_lo, v1, s8
	v_subrev_co_ci_u32_e32 v1, vcc_lo, s9, v3, vcc_lo
.LBB51_5:
	s_and_not1_saveexec_b32 s2, s10
	s_cbranch_execz .LBB51_7
; %bb.6:
	v_cvt_f32_u32_e32 v0, s6
	s_sub_i32 s7, 0, s6
	s_delay_alu instid0(VALU_DEP_1) | instskip(SKIP_2) | instid1(VALU_DEP_1)
	v_rcp_iflag_f32_e32 v0, v0
	s_waitcnt_depctr 0xfff
	v_mul_f32_e32 v0, 0x4f7ffffe, v0
	v_cvt_u32_f32_e32 v0, v0
	s_delay_alu instid0(VALU_DEP_1) | instskip(NEXT) | instid1(VALU_DEP_1)
	v_mul_lo_u32 v1, s7, v0
	v_mul_hi_u32 v1, v0, v1
	s_delay_alu instid0(VALU_DEP_1) | instskip(NEXT) | instid1(VALU_DEP_1)
	v_add_nc_u32_e32 v0, v0, v1
	v_mul_hi_u32 v0, v2, v0
	s_delay_alu instid0(VALU_DEP_1) | instskip(SKIP_1) | instid1(VALU_DEP_2)
	v_mul_lo_u32 v1, v0, s6
	v_add_nc_u32_e32 v3, 1, v0
	v_sub_nc_u32_e32 v1, v2, v1
	s_delay_alu instid0(VALU_DEP_1) | instskip(SKIP_1) | instid1(VALU_DEP_2)
	v_subrev_nc_u32_e32 v4, s6, v1
	v_cmp_le_u32_e32 vcc_lo, s6, v1
	v_dual_cndmask_b32 v1, v1, v4 :: v_dual_cndmask_b32 v0, v0, v3
	s_delay_alu instid0(VALU_DEP_1) | instskip(NEXT) | instid1(VALU_DEP_2)
	v_cmp_le_u32_e32 vcc_lo, s6, v1
	v_add_nc_u32_e32 v3, 1, v0
	s_delay_alu instid0(VALU_DEP_1)
	v_dual_mov_b32 v1, 0 :: v_dual_cndmask_b32 v0, v0, v3
.LBB51_7:
	s_or_b32 exec_lo, exec_lo, s2
	s_delay_alu instid0(VALU_DEP_1) | instskip(NEXT) | instid1(VALU_DEP_2)
	v_mad_u64_u32 v[3:4], null, v0, s6, 0
	v_cmp_gt_i64_e32 vcc_lo, s[4:5], v[0:1]
	s_delay_alu instid0(VALU_DEP_2) | instskip(NEXT) | instid1(VALU_DEP_1)
	v_sub_co_u32 v3, null, v2, v3
	v_cmp_gt_i32_e64 s2, s15, v3
	s_delay_alu instid0(VALU_DEP_1) | instskip(NEXT) | instid1(SALU_CYCLE_1)
	s_and_b32 s2, vcc_lo, s2
	s_and_saveexec_b32 s4, s2
	s_cbranch_execz .LBB51_9
; %bb.8:
	s_ashr_i32 s2, s3, 31
	s_load_b64 s[4:5], s[0:1], 0x10
	v_mul_lo_u32 v1, v1, s3
	v_mad_u64_u32 v[4:5], null, v0, s3, 0
	v_mul_lo_u32 v6, v0, s2
	v_ashrrev_i32_e32 v36, 31, v0
	v_lshlrev_b32_e32 v44, 6, v3
	v_lshrrev_b32_e32 v43, 3, v3
	v_mov_b32_e32 v7, 0
	s_delay_alu instid0(VALU_DEP_4) | instskip(SKIP_4) | instid1(VALU_DEP_4)
	v_lshrrev_b32_e32 v37, 27, v36
	v_lshrrev_b32_e32 v36, 28, v36
	v_add3_u32 v5, v5, v6, v1
	v_lshlrev_b32_e32 v6, 5, v3
	v_lshrrev_b32_e32 v3, 1, v3
	v_add_nc_u32_e32 v36, v0, v36
	s_delay_alu instid0(VALU_DEP_4) | instskip(NEXT) | instid1(VALU_DEP_4)
	v_lshlrev_b64 v[4:5], 1, v[4:5]
	v_lshlrev_b64 v[6:7], 1, v[6:7]
	s_waitcnt lgkmcnt(0)
	s_delay_alu instid0(VALU_DEP_2) | instskip(NEXT) | instid1(VALU_DEP_3)
	v_add_co_u32 v1, vcc_lo, s4, v4
	v_add_co_ci_u32_e32 v4, vcc_lo, s5, v5, vcc_lo
	s_load_b128 s[4:7], s[0:1], 0x0
	s_delay_alu instid0(VALU_DEP_2) | instskip(NEXT) | instid1(VALU_DEP_2)
	v_add_co_u32 v16, vcc_lo, v1, v6
	v_add_co_ci_u32_e32 v17, vcc_lo, v4, v7, vcc_lo
	s_clause 0x3
	global_load_b128 v[4:7], v[16:17], off
	global_load_b128 v[8:11], v[16:17], off offset:16
	global_load_b128 v[12:15], v[16:17], off offset:32
	;; [unrolled: 1-line block ×3, first 2 shown]
	s_load_b32 s0, s[0:1], 0x30
	s_waitcnt lgkmcnt(0)
	s_and_b32 s5, s5, 0xffff
	s_waitcnt vmcnt(3)
	v_and_b32_e32 v1, 0xffff, v4
	v_lshrrev_b32_e32 v4, 16, v4
	v_and_b32_e32 v23, 0xffff, v7
	v_lshrrev_b32_e32 v7, 16, v7
	s_waitcnt vmcnt(2)
	v_and_b32_e32 v25, 0xffff, v9
	v_cvt_f32_u32_e32 v21, v1
	v_cvt_f32_u32_e32 v4, v4
	v_and_b32_e32 v20, 0xffff, v5
	v_lshrrev_b32_e32 v5, 16, v5
	v_and_b32_e32 v1, 0xffff, v6
	v_lshrrev_b32_e32 v6, 16, v6
	v_max3_f32 v22, v21, 0x2edbe6ff, v4
	v_cvt_f32_u32_e32 v20, v20
	v_cvt_f32_u32_e32 v5, v5
	;; [unrolled: 1-line block ×6, first 2 shown]
	v_max3_f32 v1, v22, v20, v5
	v_and_b32_e32 v22, 0xffff, v8
	v_lshrrev_b32_e32 v8, 16, v8
	v_lshrrev_b32_e32 v9, 16, v9
	v_and_b32_e32 v26, 0xffff, v10
	v_max3_f32 v1, v1, v24, v6
	v_cvt_f32_u32_e32 v22, v22
	v_cvt_f32_u32_e32 v8, v8
	v_lshrrev_b32_e32 v10, 16, v10
	v_cvt_f32_u32_e32 v25, v25
	v_max3_f32 v1, v1, v23, v7
	v_cvt_f32_u32_e32 v9, v9
	v_and_b32_e32 v27, 0xffff, v11
	v_lshrrev_b32_e32 v11, 16, v11
	v_cvt_f32_u32_e32 v26, v26
	v_max3_f32 v1, v1, v22, v8
	v_cvt_f32_u32_e32 v10, v10
	s_waitcnt vmcnt(1)
	v_and_b32_e32 v28, 0xffff, v12
	v_lshrrev_b32_e32 v12, 16, v12
	v_cvt_f32_u32_e32 v27, v27
	v_max3_f32 v1, v1, v25, v9
	v_cvt_f32_u32_e32 v11, v11
	v_and_b32_e32 v29, 0xffff, v13
	v_lshrrev_b32_e32 v13, 16, v13
	v_cvt_f32_u32_e32 v28, v28
	v_max3_f32 v1, v1, v26, v10
	v_cvt_f32_u32_e32 v12, v12
	;; [unrolled: 5-line block ×4, first 2 shown]
	s_waitcnt vmcnt(0)
	v_and_b32_e32 v32, 0xffff, v16
	v_lshrrev_b32_e32 v16, 16, v16
	v_cvt_f32_u32_e32 v31, v31
	v_max3_f32 v1, v1, v29, v13
	v_cvt_f32_u32_e32 v15, v15
	v_and_b32_e32 v33, 0xffff, v17
	v_lshrrev_b32_e32 v17, 16, v17
	v_cvt_f32_u32_e32 v32, v32
	v_max3_f32 v1, v1, v30, v14
	v_cvt_f32_u32_e32 v16, v16
	;; [unrolled: 5-line block ×4, first 2 shown]
	v_cvt_f32_u32_e32 v35, v35
	v_cvt_f32_u32_e32 v19, v19
	v_add_nc_u32_e32 v37, v0, v37
	v_max3_f32 v1, v1, v33, v17
	v_and_b32_e32 v36, 0x3ffffff0, v36
	v_and_b32_e32 v3, 2, v3
	s_delay_alu instid0(VALU_DEP_3) | instskip(NEXT) | instid1(VALU_DEP_1)
	v_max3_f32 v1, v1, v34, v18
	v_max3_f32 v1, v1, v35, v19
	s_delay_alu instid0(VALU_DEP_1) | instskip(NEXT) | instid1(VALU_DEP_1)
	v_mul_f32_e32 v1, 0x3b124925, v1
	v_bfe_u32 v38, v1, 23, 8
	v_and_b32_e32 v1, 0x7fffff, v1
	s_delay_alu instid0(VALU_DEP_2) | instskip(NEXT) | instid1(VALU_DEP_2)
	v_cmp_ne_u32_e32 vcc_lo, 0xff, v38
	v_cmp_ne_u32_e64 s2, 0, v1
	v_and_b32_e32 v1, 0xffe0, v37
	v_lshrrev_b32_e32 v37, 5, v37
	s_delay_alu instid0(VALU_DEP_3) | instskip(NEXT) | instid1(VALU_DEP_2)
	s_and_b32 vcc_lo, s2, vcc_lo
	v_sub_nc_u32_e32 v1, v0, v1
	v_add_co_ci_u32_e32 v38, vcc_lo, 0, v38, vcc_lo
	s_ashr_i32 s2, s14, 3
	v_sub_nc_u32_e32 v0, v0, v36
	s_delay_alu instid0(VALU_DEP_3) | instskip(NEXT) | instid1(VALU_DEP_3)
	v_bfe_i32 v40, v1, 0, 8
	v_lshlrev_b32_e32 v39, 23, v38
	v_mul_lo_u32 v36, v37, s2
	v_and_b32_e32 v37, 0xc0, v44
	v_lshlrev_b32_e32 v0, 2, v0
	v_lshrrev_b16 v40, 11, v40
	v_div_scale_f32 v41, null, v39, v39, 1.0
	v_div_scale_f32 v45, vcc_lo, 1.0, v39, 1.0
	s_delay_alu instid0(VALU_DEP_3) | instskip(NEXT) | instid1(VALU_DEP_3)
	v_and_b32_e32 v40, 15, v40
	v_rcp_f32_e32 v42, v41
	v_add_lshl_u32 v36, v43, v36, 8
	s_delay_alu instid0(VALU_DEP_2) | instskip(NEXT) | instid1(VALU_DEP_1)
	v_add_nc_u16 v1, v1, v40
	v_bfe_i32 v1, v1, 0, 8
	s_waitcnt_depctr 0xfff
	v_fma_f32 v40, -v41, v42, 1.0
	v_ashrrev_i16 v1, 4, v1
	s_delay_alu instid0(VALU_DEP_2) | instskip(NEXT) | instid1(VALU_DEP_2)
	v_fmac_f32_e32 v42, v40, v42
	v_bfe_i32 v1, v1, 0, 16
	s_delay_alu instid0(VALU_DEP_2) | instskip(NEXT) | instid1(VALU_DEP_2)
	v_mul_f32_e32 v40, v45, v42
	v_add3_u32 v0, v37, v0, v1
	s_delay_alu instid0(VALU_DEP_2) | instskip(SKIP_1) | instid1(VALU_DEP_3)
	v_fma_f32 v44, -v41, v40, v45
	v_mov_b32_e32 v37, 0xc3e00000
	v_add3_u32 v0, v0, v36, v3
	s_delay_alu instid0(VALU_DEP_3) | instskip(NEXT) | instid1(VALU_DEP_1)
	v_fmac_f32_e32 v40, v44, v42
	v_fma_f32 v1, -v41, v40, v45
	v_mov_b32_e32 v41, 0x43e00000
	s_delay_alu instid0(VALU_DEP_2) | instskip(NEXT) | instid1(VALU_DEP_1)
	v_div_fmas_f32 v3, v1, v42, v40
	v_div_fixup_f32 v39, v3, v39, 1.0
	v_lshlrev_b32_e32 v36, 5, v2
	v_ashrrev_i32_e32 v2, 31, v0
	v_add_co_u32 v0, vcc_lo, s6, v0
	s_delay_alu instid0(VALU_DEP_4) | instskip(SKIP_1) | instid1(VALU_DEP_4)
	v_mul_f32_e32 v13, v39, v13
	v_mul_f32_e32 v3, v39, v5
	v_add_co_ci_u32_e32 v1, vcc_lo, s7, v2, vcc_lo
	v_mul_f32_e32 v2, v39, v20
	v_mul_f32_e32 v20, v39, v22
	;; [unrolled: 1-line block ×3, first 2 shown]
	global_store_b8 v[0:1], v38, off
	v_mul_f32_e32 v0, v39, v21
	v_mul_f32_e32 v1, v39, v4
	v_mul_f32_e32 v26, v39, v30
	;;#ASMSTART
	v_med3_f32 v0, v0, v37, v41
v_med3_f32 v1, v1, v37, v41
v_cvt_pk_fp8_f32 v30, v0, v1
	;;#ASMEND
	v_mul_f32_e32 v4, v39, v24
	v_mul_f32_e32 v5, v39, v6
	;; [unrolled: 1-line block ×4, first 2 shown]
	;;#ASMSTART
	v_med3_f32 v2, v2, v37, v41
v_med3_f32 v3, v3, v37, v41
v_cvt_pk_fp8_f32 v0, v2, v3
	;;#ASMEND
	;;#ASMSTART
	v_med3_f32 v4, v4, v37, v41
v_med3_f32 v5, v5, v37, v41
v_cvt_pk_fp8_f32 v1, v4, v5
	;;#ASMEND
	;; [unrolled: 5-line block ×3, first 2 shown]
	v_perm_b32 v6, v0, v30, 0x5040100
	v_mul_f32_e32 v8, v39, v8
	v_mul_f32_e32 v21, v39, v25
	v_mul_f32_e32 v9, v39, v9
	v_mul_f32_e32 v10, v39, v10
	v_mul_f32_e32 v23, v39, v27
	v_mul_f32_e32 v11, v39, v11
	;;#ASMSTART
	v_med3_f32 v20, v20, v37, v41
v_med3_f32 v8, v8, v37, v41
v_cvt_pk_fp8_f32 v3, v20, v8
	;;#ASMEND
	;;#ASMSTART
	v_med3_f32 v21, v21, v37, v41
v_med3_f32 v9, v9, v37, v41
v_cvt_pk_fp8_f32 v4, v21, v9
	;;#ASMEND
	;; [unrolled: 5-line block ×4, first 2 shown]
	v_perm_b32 v1, v1, v2, 0x1000504
	v_perm_b32 v2, v3, v4, 0x1000504
	;; [unrolled: 1-line block ×4, first 2 shown]
	s_mov_b32 s6, s0
	s_mov_b32 s7, -1
	v_mul_f32_e32 v24, v39, v28
	v_mul_f32_e32 v12, v39, v12
	;; [unrolled: 1-line block ×3, first 2 shown]
	buffer_store_b128 v[0:3], v36, s[4:7], 0 offen
	;;#ASMSTART
	s_nop 0
	;;#ASMEND
	;;#ASMSTART
	v_med3_f32 v24, v24, v37, v41
v_med3_f32 v12, v12, v37, v41
v_cvt_pk_fp8_f32 v0, v24, v12
	;;#ASMEND
	;;#ASMSTART
	v_med3_f32 v25, v25, v37, v41
v_med3_f32 v13, v13, v37, v41
v_cvt_pk_fp8_f32 v8, v25, v13
	;;#ASMEND
	v_perm_b32 v0, v8, v0, 0x5040100
	v_mul_f32_e32 v14, v39, v14
	v_mul_f32_e32 v27, v39, v31
	;; [unrolled: 1-line block ×11, first 2 shown]
	;;#ASMSTART
	v_med3_f32 v26, v26, v37, v41
v_med3_f32 v14, v14, v37, v41
v_cvt_pk_fp8_f32 v1, v26, v14
	;;#ASMEND
	;;#ASMSTART
	v_med3_f32 v27, v27, v37, v41
v_med3_f32 v15, v15, v37, v41
v_cvt_pk_fp8_f32 v2, v27, v15
	;;#ASMEND
	;; [unrolled: 5-line block ×6, first 2 shown]
	v_perm_b32 v1, v1, v2, 0x1000504
	v_perm_b32 v2, v3, v9, 0x1000504
	;; [unrolled: 1-line block ×4, first 2 shown]
	buffer_store_b128 v[0:3], v36, s[4:7], 16 offen
	;;#ASMSTART
	s_nop 0
	;;#ASMEND
.LBB51_9:
	s_nop 0
	s_sendmsg sendmsg(MSG_DEALLOC_VGPRS)
	s_endpgm
	.section	.rodata,"a",@progbits
	.p2align	6, 0x0
	.amdhsa_kernel _ZN5aiter37dynamic_per_group_scaled_quant_kernelItDB8_Li32ELi32ELb1ELi64ELb1EEEvPT0_PfPKT_PKfliilPKii
		.amdhsa_group_segment_fixed_size 0
		.amdhsa_private_segment_fixed_size 0
		.amdhsa_kernarg_size 68
		.amdhsa_user_sgpr_count 15
		.amdhsa_user_sgpr_dispatch_ptr 0
		.amdhsa_user_sgpr_queue_ptr 0
		.amdhsa_user_sgpr_kernarg_segment_ptr 1
		.amdhsa_user_sgpr_dispatch_id 0
		.amdhsa_user_sgpr_private_segment_size 0
		.amdhsa_wavefront_size32 1
		.amdhsa_uses_dynamic_stack 0
		.amdhsa_enable_private_segment 0
		.amdhsa_system_sgpr_workgroup_id_x 1
		.amdhsa_system_sgpr_workgroup_id_y 0
		.amdhsa_system_sgpr_workgroup_id_z 0
		.amdhsa_system_sgpr_workgroup_info 0
		.amdhsa_system_vgpr_workitem_id 0
		.amdhsa_next_free_vgpr 46
		.amdhsa_next_free_sgpr 16
		.amdhsa_reserve_vcc 1
		.amdhsa_float_round_mode_32 0
		.amdhsa_float_round_mode_16_64 0
		.amdhsa_float_denorm_mode_32 3
		.amdhsa_float_denorm_mode_16_64 3
		.amdhsa_dx10_clamp 1
		.amdhsa_ieee_mode 1
		.amdhsa_fp16_overflow 0
		.amdhsa_workgroup_processor_mode 1
		.amdhsa_memory_ordered 1
		.amdhsa_forward_progress 0
		.amdhsa_shared_vgpr_count 0
		.amdhsa_exception_fp_ieee_invalid_op 0
		.amdhsa_exception_fp_denorm_src 0
		.amdhsa_exception_fp_ieee_div_zero 0
		.amdhsa_exception_fp_ieee_overflow 0
		.amdhsa_exception_fp_ieee_underflow 0
		.amdhsa_exception_fp_ieee_inexact 0
		.amdhsa_exception_int_div_zero 0
	.end_amdhsa_kernel
	.section	.text._ZN5aiter37dynamic_per_group_scaled_quant_kernelItDB8_Li32ELi32ELb1ELi64ELb1EEEvPT0_PfPKT_PKfliilPKii,"axG",@progbits,_ZN5aiter37dynamic_per_group_scaled_quant_kernelItDB8_Li32ELi32ELb1ELi64ELb1EEEvPT0_PfPKT_PKfliilPKii,comdat
.Lfunc_end51:
	.size	_ZN5aiter37dynamic_per_group_scaled_quant_kernelItDB8_Li32ELi32ELb1ELi64ELb1EEEvPT0_PfPKT_PKfliilPKii, .Lfunc_end51-_ZN5aiter37dynamic_per_group_scaled_quant_kernelItDB8_Li32ELi32ELb1ELi64ELb1EEEvPT0_PfPKT_PKfliilPKii
                                        ; -- End function
	.section	.AMDGPU.csdata,"",@progbits
; Kernel info:
; codeLenInByte = 3484
; NumSgprs: 18
; NumVgprs: 46
; ScratchSize: 0
; MemoryBound: 0
; FloatMode: 240
; IeeeMode: 1
; LDSByteSize: 0 bytes/workgroup (compile time only)
; SGPRBlocks: 2
; VGPRBlocks: 5
; NumSGPRsForWavesPerEU: 18
; NumVGPRsForWavesPerEU: 46
; Occupancy: 16
; WaveLimiterHint : 0
; COMPUTE_PGM_RSRC2:SCRATCH_EN: 0
; COMPUTE_PGM_RSRC2:USER_SGPR: 15
; COMPUTE_PGM_RSRC2:TRAP_HANDLER: 0
; COMPUTE_PGM_RSRC2:TGID_X_EN: 1
; COMPUTE_PGM_RSRC2:TGID_Y_EN: 0
; COMPUTE_PGM_RSRC2:TGID_Z_EN: 0
; COMPUTE_PGM_RSRC2:TIDIG_COMP_CNT: 0
	.section	.text._ZN5aiter37dynamic_per_group_scaled_quant_kernelIDF16_DB8_Li32ELi32ELb0ELi64ELb1EEEvPT0_PfPKT_PKfliilPKii,"axG",@progbits,_ZN5aiter37dynamic_per_group_scaled_quant_kernelIDF16_DB8_Li32ELi32ELb0ELi64ELb1EEEvPT0_PfPKT_PKfliilPKii,comdat
	.protected	_ZN5aiter37dynamic_per_group_scaled_quant_kernelIDF16_DB8_Li32ELi32ELb0ELi64ELb1EEEvPT0_PfPKT_PKfliilPKii ; -- Begin function _ZN5aiter37dynamic_per_group_scaled_quant_kernelIDF16_DB8_Li32ELi32ELb0ELi64ELb1EEEvPT0_PfPKT_PKfliilPKii
	.globl	_ZN5aiter37dynamic_per_group_scaled_quant_kernelIDF16_DB8_Li32ELi32ELb0ELi64ELb1EEEvPT0_PfPKT_PKfliilPKii
	.p2align	8
	.type	_ZN5aiter37dynamic_per_group_scaled_quant_kernelIDF16_DB8_Li32ELi32ELb0ELi64ELb1EEEvPT0_PfPKT_PKfliilPKii,@function
_ZN5aiter37dynamic_per_group_scaled_quant_kernelIDF16_DB8_Li32ELi32ELb0ELi64ELb1EEEvPT0_PfPKT_PKfliilPKii: ; @_ZN5aiter37dynamic_per_group_scaled_quant_kernelIDF16_DB8_Li32ELi32ELb0ELi64ELb1EEEvPT0_PfPKT_PKfliilPKii
; %bb.0:
	s_load_b64 s[2:3], s[0:1], 0x38
	s_mov_b32 s10, s15
	s_waitcnt lgkmcnt(0)
	s_cmp_eq_u64 s[2:3], 0
	s_cbranch_scc1 .LBB52_2
; %bb.1:
	s_load_b32 s4, s[0:1], 0x40
	s_load_b32 s2, s[2:3], 0x0
	s_waitcnt lgkmcnt(0)
	s_mul_hi_i32 s7, s2, s4
	s_mul_i32 s6, s2, s4
	s_branch .LBB52_3
.LBB52_2:
	s_load_b64 s[6:7], s[0:1], 0x20
.LBB52_3:
	s_load_b64 s[4:5], s[0:1], 0x28
	s_mov_b32 s11, 0
	s_waitcnt lgkmcnt(0)
	s_ashr_i32 s2, s4, 31
	s_delay_alu instid0(SALU_CYCLE_1) | instskip(NEXT) | instid1(SALU_CYCLE_1)
	s_lshr_b32 s2, s2, 27
	s_add_i32 s2, s4, s2
	s_delay_alu instid0(SALU_CYCLE_1)
	s_ashr_i32 s8, s2, 5
	s_lshl_b64 s[2:3], s[10:11], 6
	s_ashr_i32 s9, s8, 31
	v_or_b32_e32 v2, s2, v0
	s_or_b64 s[12:13], s[2:3], s[8:9]
	s_mov_b32 s12, s11
                                        ; implicit-def: $vgpr0_vgpr1
	s_delay_alu instid0(SALU_CYCLE_1) | instskip(SKIP_1) | instid1(SALU_CYCLE_1)
	s_cmp_lg_u64 s[12:13], 0
	s_cselect_b32 s2, -1, 0
	s_and_saveexec_b32 s4, s2
	s_delay_alu instid0(SALU_CYCLE_1)
	s_xor_b32 s4, exec_lo, s4
	s_cbranch_execz .LBB52_5
; %bb.4:
	s_add_u32 s12, s8, s9
	s_mov_b32 s10, s9
	s_mov_b32 s11, s9
	s_addc_u32 s13, s9, s9
	s_delay_alu instid0(SALU_CYCLE_1) | instskip(NEXT) | instid1(SALU_CYCLE_1)
	s_xor_b64 s[12:13], s[12:13], s[10:11]
	v_cvt_f32_u32_e32 v0, s12
	v_cvt_f32_u32_e32 v1, s13
	s_sub_u32 s2, 0, s12
	s_subb_u32 s9, 0, s13
	s_delay_alu instid0(VALU_DEP_1) | instskip(NEXT) | instid1(VALU_DEP_1)
	v_fmamk_f32 v0, v1, 0x4f800000, v0
	v_rcp_f32_e32 v0, v0
	s_waitcnt_depctr 0xfff
	v_mul_f32_e32 v0, 0x5f7ffffc, v0
	s_delay_alu instid0(VALU_DEP_1) | instskip(NEXT) | instid1(VALU_DEP_1)
	v_mul_f32_e32 v1, 0x2f800000, v0
	v_trunc_f32_e32 v1, v1
	s_delay_alu instid0(VALU_DEP_1) | instskip(SKIP_1) | instid1(VALU_DEP_2)
	v_fmamk_f32 v0, v1, 0xcf800000, v0
	v_cvt_u32_f32_e32 v1, v1
	v_cvt_u32_f32_e32 v0, v0
	s_delay_alu instid0(VALU_DEP_2) | instskip(NEXT) | instid1(VALU_DEP_2)
	v_mul_lo_u32 v3, s2, v1
	v_mul_hi_u32 v4, s2, v0
	v_mul_lo_u32 v5, s9, v0
	s_delay_alu instid0(VALU_DEP_2) | instskip(SKIP_1) | instid1(VALU_DEP_2)
	v_add_nc_u32_e32 v3, v4, v3
	v_mul_lo_u32 v4, s2, v0
	v_add_nc_u32_e32 v3, v3, v5
	s_delay_alu instid0(VALU_DEP_2) | instskip(NEXT) | instid1(VALU_DEP_2)
	v_mul_hi_u32 v5, v0, v4
	v_mul_lo_u32 v6, v0, v3
	v_mul_hi_u32 v7, v0, v3
	v_mul_hi_u32 v8, v1, v4
	v_mul_lo_u32 v4, v1, v4
	v_mul_hi_u32 v9, v1, v3
	v_mul_lo_u32 v3, v1, v3
	v_add_co_u32 v5, vcc_lo, v5, v6
	v_add_co_ci_u32_e32 v6, vcc_lo, 0, v7, vcc_lo
	s_delay_alu instid0(VALU_DEP_2) | instskip(NEXT) | instid1(VALU_DEP_2)
	v_add_co_u32 v4, vcc_lo, v5, v4
	v_add_co_ci_u32_e32 v4, vcc_lo, v6, v8, vcc_lo
	v_add_co_ci_u32_e32 v5, vcc_lo, 0, v9, vcc_lo
	s_delay_alu instid0(VALU_DEP_2) | instskip(NEXT) | instid1(VALU_DEP_2)
	v_add_co_u32 v3, vcc_lo, v4, v3
	v_add_co_ci_u32_e32 v4, vcc_lo, 0, v5, vcc_lo
	s_delay_alu instid0(VALU_DEP_2) | instskip(NEXT) | instid1(VALU_DEP_2)
	v_add_co_u32 v0, vcc_lo, v0, v3
	v_add_co_ci_u32_e32 v1, vcc_lo, v1, v4, vcc_lo
	s_delay_alu instid0(VALU_DEP_2) | instskip(SKIP_1) | instid1(VALU_DEP_3)
	v_mul_hi_u32 v3, s2, v0
	v_mul_lo_u32 v5, s9, v0
	v_mul_lo_u32 v4, s2, v1
	s_delay_alu instid0(VALU_DEP_1) | instskip(SKIP_1) | instid1(VALU_DEP_2)
	v_add_nc_u32_e32 v3, v3, v4
	v_mul_lo_u32 v4, s2, v0
	v_add_nc_u32_e32 v3, v3, v5
	s_delay_alu instid0(VALU_DEP_2) | instskip(NEXT) | instid1(VALU_DEP_2)
	v_mul_hi_u32 v5, v0, v4
	v_mul_lo_u32 v6, v0, v3
	v_mul_hi_u32 v7, v0, v3
	v_mul_hi_u32 v8, v1, v4
	v_mul_lo_u32 v4, v1, v4
	v_mul_hi_u32 v9, v1, v3
	v_mul_lo_u32 v3, v1, v3
	v_add_co_u32 v5, vcc_lo, v5, v6
	v_add_co_ci_u32_e32 v6, vcc_lo, 0, v7, vcc_lo
	s_delay_alu instid0(VALU_DEP_2) | instskip(NEXT) | instid1(VALU_DEP_2)
	v_add_co_u32 v4, vcc_lo, v5, v4
	v_add_co_ci_u32_e32 v4, vcc_lo, v6, v8, vcc_lo
	v_add_co_ci_u32_e32 v5, vcc_lo, 0, v9, vcc_lo
	s_delay_alu instid0(VALU_DEP_2) | instskip(NEXT) | instid1(VALU_DEP_2)
	v_add_co_u32 v3, vcc_lo, v4, v3
	v_add_co_ci_u32_e32 v4, vcc_lo, 0, v5, vcc_lo
	s_delay_alu instid0(VALU_DEP_2) | instskip(NEXT) | instid1(VALU_DEP_2)
	v_add_co_u32 v5, vcc_lo, v0, v3
	v_add_co_ci_u32_e32 v7, vcc_lo, v1, v4, vcc_lo
	s_delay_alu instid0(VALU_DEP_2) | instskip(SKIP_1) | instid1(VALU_DEP_3)
	v_mul_hi_u32 v8, v2, v5
	v_mad_u64_u32 v[3:4], null, s3, v5, 0
	v_mad_u64_u32 v[0:1], null, v2, v7, 0
	;; [unrolled: 1-line block ×3, first 2 shown]
	s_delay_alu instid0(VALU_DEP_2) | instskip(NEXT) | instid1(VALU_DEP_3)
	v_add_co_u32 v0, vcc_lo, v8, v0
	v_add_co_ci_u32_e32 v1, vcc_lo, 0, v1, vcc_lo
	s_delay_alu instid0(VALU_DEP_2) | instskip(NEXT) | instid1(VALU_DEP_2)
	v_add_co_u32 v0, vcc_lo, v0, v3
	v_add_co_ci_u32_e32 v0, vcc_lo, v1, v4, vcc_lo
	v_add_co_ci_u32_e32 v1, vcc_lo, 0, v6, vcc_lo
	s_delay_alu instid0(VALU_DEP_2) | instskip(NEXT) | instid1(VALU_DEP_2)
	v_add_co_u32 v3, vcc_lo, v0, v5
	v_add_co_ci_u32_e32 v4, vcc_lo, 0, v1, vcc_lo
	s_delay_alu instid0(VALU_DEP_2) | instskip(SKIP_1) | instid1(VALU_DEP_3)
	v_mul_lo_u32 v5, s13, v3
	v_mad_u64_u32 v[0:1], null, s12, v3, 0
	v_mul_lo_u32 v6, s12, v4
	s_delay_alu instid0(VALU_DEP_2) | instskip(NEXT) | instid1(VALU_DEP_2)
	v_sub_co_u32 v0, vcc_lo, v2, v0
	v_add3_u32 v1, v1, v6, v5
	s_delay_alu instid0(VALU_DEP_1) | instskip(NEXT) | instid1(VALU_DEP_1)
	v_sub_nc_u32_e32 v5, s3, v1
	v_subrev_co_ci_u32_e64 v5, s2, s13, v5, vcc_lo
	v_add_co_u32 v6, s2, v3, 2
	s_delay_alu instid0(VALU_DEP_1) | instskip(SKIP_3) | instid1(VALU_DEP_3)
	v_add_co_ci_u32_e64 v7, s2, 0, v4, s2
	v_sub_co_u32 v8, s2, v0, s12
	v_sub_co_ci_u32_e32 v1, vcc_lo, s3, v1, vcc_lo
	v_subrev_co_ci_u32_e64 v5, s2, 0, v5, s2
	v_cmp_le_u32_e32 vcc_lo, s12, v8
	s_delay_alu instid0(VALU_DEP_3) | instskip(SKIP_1) | instid1(VALU_DEP_4)
	v_cmp_eq_u32_e64 s2, s13, v1
	v_cndmask_b32_e64 v8, 0, -1, vcc_lo
	v_cmp_le_u32_e32 vcc_lo, s13, v5
	v_cndmask_b32_e64 v9, 0, -1, vcc_lo
	v_cmp_le_u32_e32 vcc_lo, s12, v0
	;; [unrolled: 2-line block ×3, first 2 shown]
	v_cndmask_b32_e64 v10, 0, -1, vcc_lo
	v_cmp_eq_u32_e32 vcc_lo, s13, v5
	s_delay_alu instid0(VALU_DEP_2) | instskip(SKIP_3) | instid1(VALU_DEP_3)
	v_cndmask_b32_e64 v0, v10, v0, s2
	v_cndmask_b32_e32 v5, v9, v8, vcc_lo
	v_add_co_u32 v8, vcc_lo, v3, 1
	v_add_co_ci_u32_e32 v9, vcc_lo, 0, v4, vcc_lo
	v_cmp_ne_u32_e32 vcc_lo, 0, v5
	s_delay_alu instid0(VALU_DEP_2) | instskip(NEXT) | instid1(VALU_DEP_4)
	v_cndmask_b32_e32 v1, v9, v7, vcc_lo
	v_cndmask_b32_e32 v5, v8, v6, vcc_lo
	v_cmp_ne_u32_e32 vcc_lo, 0, v0
	s_delay_alu instid0(VALU_DEP_3) | instskip(NEXT) | instid1(VALU_DEP_3)
	v_cndmask_b32_e32 v0, v4, v1, vcc_lo
	v_cndmask_b32_e32 v1, v3, v5, vcc_lo
	s_delay_alu instid0(VALU_DEP_2) | instskip(NEXT) | instid1(VALU_DEP_2)
	v_xor_b32_e32 v3, s11, v0
	v_xor_b32_e32 v1, s10, v1
	s_delay_alu instid0(VALU_DEP_1) | instskip(NEXT) | instid1(VALU_DEP_3)
	v_sub_co_u32 v0, vcc_lo, v1, s10
	v_subrev_co_ci_u32_e32 v1, vcc_lo, s11, v3, vcc_lo
.LBB52_5:
	s_and_not1_saveexec_b32 s2, s4
	s_cbranch_execz .LBB52_7
; %bb.6:
	v_cvt_f32_u32_e32 v0, s8
	s_sub_i32 s4, 0, s8
	s_delay_alu instid0(VALU_DEP_1) | instskip(SKIP_2) | instid1(VALU_DEP_1)
	v_rcp_iflag_f32_e32 v0, v0
	s_waitcnt_depctr 0xfff
	v_mul_f32_e32 v0, 0x4f7ffffe, v0
	v_cvt_u32_f32_e32 v0, v0
	s_delay_alu instid0(VALU_DEP_1) | instskip(NEXT) | instid1(VALU_DEP_1)
	v_mul_lo_u32 v1, s4, v0
	v_mul_hi_u32 v1, v0, v1
	s_delay_alu instid0(VALU_DEP_1) | instskip(NEXT) | instid1(VALU_DEP_1)
	v_add_nc_u32_e32 v0, v0, v1
	v_mul_hi_u32 v0, v2, v0
	s_delay_alu instid0(VALU_DEP_1) | instskip(SKIP_1) | instid1(VALU_DEP_2)
	v_mul_lo_u32 v1, v0, s8
	v_add_nc_u32_e32 v3, 1, v0
	v_sub_nc_u32_e32 v1, v2, v1
	s_delay_alu instid0(VALU_DEP_1) | instskip(SKIP_1) | instid1(VALU_DEP_2)
	v_subrev_nc_u32_e32 v4, s8, v1
	v_cmp_le_u32_e32 vcc_lo, s8, v1
	v_dual_cndmask_b32 v1, v1, v4 :: v_dual_cndmask_b32 v0, v0, v3
	s_delay_alu instid0(VALU_DEP_1) | instskip(NEXT) | instid1(VALU_DEP_2)
	v_cmp_le_u32_e32 vcc_lo, s8, v1
	v_add_nc_u32_e32 v3, 1, v0
	s_delay_alu instid0(VALU_DEP_1)
	v_dual_mov_b32 v1, 0 :: v_dual_cndmask_b32 v0, v0, v3
.LBB52_7:
	s_or_b32 exec_lo, exec_lo, s2
	s_delay_alu instid0(VALU_DEP_1) | instskip(NEXT) | instid1(VALU_DEP_2)
	v_mad_u64_u32 v[3:4], null, v0, s8, 0
	v_cmp_gt_i64_e32 vcc_lo, s[6:7], v[0:1]
	s_delay_alu instid0(VALU_DEP_2) | instskip(NEXT) | instid1(VALU_DEP_1)
	v_sub_co_u32 v3, null, v2, v3
	v_cmp_gt_i32_e64 s2, s8, v3
	s_delay_alu instid0(VALU_DEP_1) | instskip(NEXT) | instid1(SALU_CYCLE_1)
	s_and_b32 s2, vcc_lo, s2
	s_and_saveexec_b32 s4, s2
	s_cbranch_execz .LBB52_9
; %bb.8:
	s_ashr_i32 s2, s5, 31
	s_load_b64 s[6:7], s[0:1], 0x10
	v_mul_lo_u32 v1, v1, s5
	v_mad_u64_u32 v[4:5], null, v0, s5, 0
	v_mul_lo_u32 v0, v0, s2
	v_mov_b32_e32 v39, 0xc3e00000
	s_delay_alu instid0(VALU_DEP_2) | instskip(SKIP_1) | instid1(VALU_DEP_2)
	v_add3_u32 v5, v5, v0, v1
	v_dual_mov_b32 v1, 0 :: v_dual_lshlrev_b32 v0, 5, v3
	v_lshlrev_b64 v[3:4], 1, v[4:5]
	s_delay_alu instid0(VALU_DEP_2) | instskip(SKIP_1) | instid1(VALU_DEP_2)
	v_lshlrev_b64 v[0:1], 1, v[0:1]
	s_waitcnt lgkmcnt(0)
	v_add_co_u32 v3, vcc_lo, s6, v3
	s_delay_alu instid0(VALU_DEP_3) | instskip(SKIP_1) | instid1(VALU_DEP_2)
	v_add_co_ci_u32_e32 v4, vcc_lo, s7, v4, vcc_lo
	s_load_b128 s[4:7], s[0:1], 0x0
	v_add_co_u32 v0, vcc_lo, v3, v0
	s_delay_alu instid0(VALU_DEP_2)
	v_add_co_ci_u32_e32 v1, vcc_lo, v4, v1, vcc_lo
	s_clause 0x3
	global_load_b128 v[3:6], v[0:1], off
	global_load_b128 v[7:10], v[0:1], off offset:16
	global_load_b128 v[11:14], v[0:1], off offset:32
	;; [unrolled: 1-line block ×3, first 2 shown]
	s_load_b32 s0, s[0:1], 0x30
	s_waitcnt lgkmcnt(0)
	s_and_b32 s5, s5, 0xffff
	s_waitcnt vmcnt(3)
	v_lshrrev_b32_e32 v19, 16, v3
	v_cvt_f32_f16_e64 v0, |v3|
	v_lshrrev_b32_e32 v20, 16, v4
	v_cvt_f32_f16_e64 v21, |v4|
	;; [unrolled: 2-line block ×4, first 2 shown]
	v_cvt_f32_f16_e32 v19, v19
	v_cvt_f32_f16_e64 v25, |v22|
	v_max3_f32 v0, v0, 0x2edbe6ff, v1
	v_cvt_f32_f16_e64 v1, |v5|
	v_cvt_f32_f16_e64 v26, |v24|
	v_cvt_f32_f16_e32 v20, v20
	v_cvt_f32_f16_e32 v22, v22
	v_max3_f32 v0, v0, v21, v23
	v_cvt_f32_f16_e64 v21, |v6|
	s_waitcnt vmcnt(2)
	v_lshrrev_b32_e32 v23, 16, v7
	v_cvt_f32_f16_e32 v24, v24
	v_max3_f32 v0, v0, v1, v25
	v_cvt_f32_f16_e64 v1, |v7|
	v_lshrrev_b32_e32 v25, 16, v8
	v_cvt_f32_f16_e64 v27, |v23|
	v_cvt_f32_f16_e32 v23, v23
	v_max3_f32 v0, v0, v21, v26
	v_cvt_f32_f16_e64 v21, |v8|
	v_lshrrev_b32_e32 v26, 16, v9
	v_cvt_f32_f16_e64 v28, |v25|
	;; [unrolled: 5-line block ×3, first 2 shown]
	v_cvt_f32_f16_e32 v8, v8
	v_max3_f32 v0, v0, v21, v28
	v_cvt_f32_f16_e64 v21, |v10|
	s_waitcnt vmcnt(1)
	v_lshrrev_b32_e32 v28, 16, v11
	v_cvt_f32_f16_e64 v30, |v27|
	v_cvt_f32_f16_e32 v9, v9
	v_max3_f32 v0, v0, v1, v29
	v_cvt_f32_f16_e64 v1, |v11|
	v_lshrrev_b32_e32 v29, 16, v12
	v_cvt_f32_f16_e64 v31, |v28|
	v_cvt_f32_f16_e32 v28, v28
	v_max3_f32 v0, v0, v21, v30
	v_cvt_f32_f16_e64 v21, |v12|
	v_lshrrev_b32_e32 v30, 16, v13
	v_cvt_f32_f16_e64 v32, |v29|
	v_cvt_f32_f16_e32 v26, v26
	v_max3_f32 v0, v0, v1, v31
	v_cvt_f32_f16_e64 v1, |v13|
	v_lshrrev_b32_e32 v31, 16, v14
	v_cvt_f32_f16_e64 v33, |v30|
	v_cvt_f32_f16_e32 v27, v27
	v_max3_f32 v0, v0, v21, v32
	v_cvt_f32_f16_e64 v21, |v14|
	s_waitcnt vmcnt(0)
	v_lshrrev_b32_e32 v32, 16, v15
	v_cvt_f32_f16_e64 v34, |v31|
	v_cvt_f32_f16_e32 v31, v31
	v_max3_f32 v0, v0, v1, v33
	v_cvt_f32_f16_e64 v1, |v15|
	v_lshrrev_b32_e32 v33, 16, v16
	v_cvt_f32_f16_e64 v35, |v32|
	v_cvt_f32_f16_e32 v29, v29
	v_max3_f32 v0, v0, v21, v34
	v_cvt_f32_f16_e64 v21, |v16|
	;; [unrolled: 5-line block ×4, first 2 shown]
	v_cvt_f32_f16_e64 v36, |v35|
	v_cvt_f32_f16_e32 v16, v16
	v_cvt_f32_f16_e32 v17, v17
	v_max3_f32 v0, v0, v1, v37
	v_cvt_f32_f16_e32 v30, v30
	v_cvt_f32_f16_e32 v32, v32
	;; [unrolled: 1-line block ×4, first 2 shown]
	v_max3_f32 v0, v0, v21, v36
	v_cvt_f32_f16_e32 v18, v18
	v_cvt_f32_f16_e32 v35, v35
	s_delay_alu instid0(VALU_DEP_3) | instskip(NEXT) | instid1(VALU_DEP_1)
	v_mul_f32_e32 v0, 0x3b124925, v0
	v_bfe_u32 v1, v0, 23, 8
	v_and_b32_e32 v0, 0x7fffff, v0
	s_delay_alu instid0(VALU_DEP_2) | instskip(NEXT) | instid1(VALU_DEP_2)
	v_cmp_ne_u32_e32 vcc_lo, 0xff, v1
	v_cmp_ne_u32_e64 s2, 0, v0
	s_delay_alu instid0(VALU_DEP_1) | instskip(SKIP_3) | instid1(VALU_DEP_3)
	s_and_b32 vcc_lo, s2, vcc_lo
	v_add_co_ci_u32_e32 v21, vcc_lo, 0, v1, vcc_lo
	v_mov_b32_e32 v1, s3
	v_add_co_u32 v0, vcc_lo, s6, v2
	v_lshlrev_b32_e32 v36, 23, v21
	s_mov_b32 s6, s0
	s_delay_alu instid0(VALU_DEP_3) | instskip(SKIP_1) | instid1(VALU_DEP_2)
	v_add_co_ci_u32_e32 v1, vcc_lo, s7, v1, vcc_lo
	s_mov_b32 s7, -1
	v_div_scale_f32 v37, null, v36, v36, 1.0
	v_div_scale_f32 v42, vcc_lo, 1.0, v36, 1.0
	v_lshlrev_b32_e32 v38, 5, v2
	s_delay_alu instid0(VALU_DEP_3)
	v_rcp_f32_e32 v41, v37
	v_cvt_f32_f16_e32 v2, v3
	v_cvt_f32_f16_e32 v3, v4
	;; [unrolled: 1-line block ×5, first 2 shown]
	global_store_b8 v[0:1], v21, off
	v_fma_f32 v7, -v37, v41, 1.0
	s_delay_alu instid0(VALU_DEP_1)
	v_fmac_f32_e32 v41, v7, v41
	v_cvt_f32_f16_e32 v7, v10
	v_cvt_f32_f16_e32 v10, v11
	;; [unrolled: 1-line block ×4, first 2 shown]
	v_mul_f32_e32 v13, v42, v41
	s_delay_alu instid0(VALU_DEP_1) | instskip(NEXT) | instid1(VALU_DEP_1)
	v_fma_f32 v43, -v37, v13, v42
	v_dual_mov_b32 v40, 0x43e00000 :: v_dual_fmac_f32 v13, v43, v41
	s_delay_alu instid0(VALU_DEP_1) | instskip(NEXT) | instid1(VALU_DEP_1)
	v_fma_f32 v37, -v37, v13, v42
	v_div_fmas_f32 v13, v37, v41, v13
	s_delay_alu instid0(VALU_DEP_1) | instskip(NEXT) | instid1(VALU_DEP_1)
	v_div_fixup_f32 v13, v13, v36, 1.0
	v_mul_f32_e32 v0, v13, v2
	v_mul_f32_e32 v1, v13, v19
	;; [unrolled: 1-line block ×8, first 2 shown]
	;;#ASMSTART
	v_med3_f32 v0, v0, v39, v40
v_med3_f32 v1, v1, v39, v40
v_cvt_pk_fp8_f32 v31, v0, v1
	;;#ASMEND
	v_mul_f32_e32 v4, v13, v4
	v_mul_f32_e32 v5, v13, v5
	;; [unrolled: 1-line block ×5, first 2 shown]
	;;#ASMSTART
	v_med3_f32 v2, v2, v39, v40
v_med3_f32 v3, v3, v39, v40
v_cvt_pk_fp8_f32 v0, v2, v3
	;;#ASMEND
	;;#ASMSTART
	v_med3_f32 v4, v4, v39, v40
v_med3_f32 v19, v19, v39, v40
v_cvt_pk_fp8_f32 v1, v4, v19
	;;#ASMEND
	;; [unrolled: 5-line block ×4, first 2 shown]
	v_perm_b32 v6, v0, v31, 0x5040100
	v_mul_f32_e32 v8, v13, v8
	v_mul_f32_e32 v9, v13, v9
	;; [unrolled: 1-line block ×5, first 2 shown]
	;;#ASMSTART
	v_med3_f32 v8, v8, v39, v40
v_med3_f32 v22, v22, v39, v40
v_cvt_pk_fp8_f32 v4, v8, v22
	;;#ASMEND
	;;#ASMSTART
	v_med3_f32 v9, v9, v39, v40
v_med3_f32 v23, v23, v39, v40
v_cvt_pk_fp8_f32 v5, v9, v23
	;;#ASMEND
	;; [unrolled: 5-line block ×3, first 2 shown]
	v_perm_b32 v1, v1, v2, 0x1000504
	v_perm_b32 v2, v3, v4, 0x1000504
	;; [unrolled: 1-line block ×4, first 2 shown]
	v_mul_f32_e32 v10, v13, v10
	v_mul_f32_e32 v11, v13, v11
	;; [unrolled: 1-line block ×4, first 2 shown]
	buffer_store_b128 v[0:3], v38, s[4:7], 0 offen
	;;#ASMSTART
	s_nop 0
	;;#ASMEND
	;;#ASMSTART
	v_med3_f32 v10, v10, v39, v40
v_med3_f32 v25, v25, v39, v40
v_cvt_pk_fp8_f32 v0, v10, v25
	;;#ASMEND
	;;#ASMSTART
	v_med3_f32 v11, v11, v39, v40
v_med3_f32 v26, v26, v39, v40
v_cvt_pk_fp8_f32 v8, v11, v26
	;;#ASMEND
	v_perm_b32 v0, v8, v0, 0x5040100
	v_mul_f32_e32 v27, v13, v30
	v_mul_f32_e32 v14, v13, v14
	;; [unrolled: 1-line block ×10, first 2 shown]
	;;#ASMSTART
	v_med3_f32 v12, v12, v39, v40
v_med3_f32 v27, v27, v39, v40
v_cvt_pk_fp8_f32 v1, v12, v27
	;;#ASMEND
	;;#ASMSTART
	v_med3_f32 v14, v14, v39, v40
v_med3_f32 v28, v28, v39, v40
v_cvt_pk_fp8_f32 v2, v14, v28
	;;#ASMEND
	;; [unrolled: 5-line block ×6, first 2 shown]
	v_perm_b32 v1, v1, v2, 0x1000504
	v_perm_b32 v2, v3, v9, 0x1000504
	;; [unrolled: 1-line block ×4, first 2 shown]
	buffer_store_b128 v[0:3], v38, s[4:7], 16 offen
	;;#ASMSTART
	s_nop 0
	;;#ASMEND
.LBB52_9:
	s_nop 0
	s_sendmsg sendmsg(MSG_DEALLOC_VGPRS)
	s_endpgm
	.section	.rodata,"a",@progbits
	.p2align	6, 0x0
	.amdhsa_kernel _ZN5aiter37dynamic_per_group_scaled_quant_kernelIDF16_DB8_Li32ELi32ELb0ELi64ELb1EEEvPT0_PfPKT_PKfliilPKii
		.amdhsa_group_segment_fixed_size 0
		.amdhsa_private_segment_fixed_size 0
		.amdhsa_kernarg_size 68
		.amdhsa_user_sgpr_count 15
		.amdhsa_user_sgpr_dispatch_ptr 0
		.amdhsa_user_sgpr_queue_ptr 0
		.amdhsa_user_sgpr_kernarg_segment_ptr 1
		.amdhsa_user_sgpr_dispatch_id 0
		.amdhsa_user_sgpr_private_segment_size 0
		.amdhsa_wavefront_size32 1
		.amdhsa_uses_dynamic_stack 0
		.amdhsa_enable_private_segment 0
		.amdhsa_system_sgpr_workgroup_id_x 1
		.amdhsa_system_sgpr_workgroup_id_y 0
		.amdhsa_system_sgpr_workgroup_id_z 0
		.amdhsa_system_sgpr_workgroup_info 0
		.amdhsa_system_vgpr_workitem_id 0
		.amdhsa_next_free_vgpr 44
		.amdhsa_next_free_sgpr 16
		.amdhsa_reserve_vcc 1
		.amdhsa_float_round_mode_32 0
		.amdhsa_float_round_mode_16_64 0
		.amdhsa_float_denorm_mode_32 3
		.amdhsa_float_denorm_mode_16_64 3
		.amdhsa_dx10_clamp 1
		.amdhsa_ieee_mode 1
		.amdhsa_fp16_overflow 0
		.amdhsa_workgroup_processor_mode 1
		.amdhsa_memory_ordered 1
		.amdhsa_forward_progress 0
		.amdhsa_shared_vgpr_count 0
		.amdhsa_exception_fp_ieee_invalid_op 0
		.amdhsa_exception_fp_denorm_src 0
		.amdhsa_exception_fp_ieee_div_zero 0
		.amdhsa_exception_fp_ieee_overflow 0
		.amdhsa_exception_fp_ieee_underflow 0
		.amdhsa_exception_fp_ieee_inexact 0
		.amdhsa_exception_int_div_zero 0
	.end_amdhsa_kernel
	.section	.text._ZN5aiter37dynamic_per_group_scaled_quant_kernelIDF16_DB8_Li32ELi32ELb0ELi64ELb1EEEvPT0_PfPKT_PKfliilPKii,"axG",@progbits,_ZN5aiter37dynamic_per_group_scaled_quant_kernelIDF16_DB8_Li32ELi32ELb0ELi64ELb1EEEvPT0_PfPKT_PKfliilPKii,comdat
.Lfunc_end52:
	.size	_ZN5aiter37dynamic_per_group_scaled_quant_kernelIDF16_DB8_Li32ELi32ELb0ELi64ELb1EEEvPT0_PfPKT_PKfliilPKii, .Lfunc_end52-_ZN5aiter37dynamic_per_group_scaled_quant_kernelIDF16_DB8_Li32ELi32ELb0ELi64ELb1EEEvPT0_PfPKT_PKfliilPKii
                                        ; -- End function
	.section	.AMDGPU.csdata,"",@progbits
; Kernel info:
; codeLenInByte = 3400
; NumSgprs: 18
; NumVgprs: 44
; ScratchSize: 0
; MemoryBound: 0
; FloatMode: 240
; IeeeMode: 1
; LDSByteSize: 0 bytes/workgroup (compile time only)
; SGPRBlocks: 2
; VGPRBlocks: 5
; NumSGPRsForWavesPerEU: 18
; NumVGPRsForWavesPerEU: 44
; Occupancy: 16
; WaveLimiterHint : 0
; COMPUTE_PGM_RSRC2:SCRATCH_EN: 0
; COMPUTE_PGM_RSRC2:USER_SGPR: 15
; COMPUTE_PGM_RSRC2:TRAP_HANDLER: 0
; COMPUTE_PGM_RSRC2:TGID_X_EN: 1
; COMPUTE_PGM_RSRC2:TGID_Y_EN: 0
; COMPUTE_PGM_RSRC2:TGID_Z_EN: 0
; COMPUTE_PGM_RSRC2:TIDIG_COMP_CNT: 0
	.section	.text._ZN5aiter37dynamic_per_group_scaled_quant_kernelItDB8_Li32ELi32ELb0ELi64ELb1EEEvPT0_PfPKT_PKfliilPKii,"axG",@progbits,_ZN5aiter37dynamic_per_group_scaled_quant_kernelItDB8_Li32ELi32ELb0ELi64ELb1EEEvPT0_PfPKT_PKfliilPKii,comdat
	.protected	_ZN5aiter37dynamic_per_group_scaled_quant_kernelItDB8_Li32ELi32ELb0ELi64ELb1EEEvPT0_PfPKT_PKfliilPKii ; -- Begin function _ZN5aiter37dynamic_per_group_scaled_quant_kernelItDB8_Li32ELi32ELb0ELi64ELb1EEEvPT0_PfPKT_PKfliilPKii
	.globl	_ZN5aiter37dynamic_per_group_scaled_quant_kernelItDB8_Li32ELi32ELb0ELi64ELb1EEEvPT0_PfPKT_PKfliilPKii
	.p2align	8
	.type	_ZN5aiter37dynamic_per_group_scaled_quant_kernelItDB8_Li32ELi32ELb0ELi64ELb1EEEvPT0_PfPKT_PKfliilPKii,@function
_ZN5aiter37dynamic_per_group_scaled_quant_kernelItDB8_Li32ELi32ELb0ELi64ELb1EEEvPT0_PfPKT_PKfliilPKii: ; @_ZN5aiter37dynamic_per_group_scaled_quant_kernelItDB8_Li32ELi32ELb0ELi64ELb1EEEvPT0_PfPKT_PKfliilPKii
; %bb.0:
	s_load_b64 s[2:3], s[0:1], 0x38
	s_mov_b32 s10, s15
	s_waitcnt lgkmcnt(0)
	s_cmp_eq_u64 s[2:3], 0
	s_cbranch_scc1 .LBB53_2
; %bb.1:
	s_load_b32 s4, s[0:1], 0x40
	s_load_b32 s2, s[2:3], 0x0
	s_waitcnt lgkmcnt(0)
	s_mul_hi_i32 s7, s2, s4
	s_mul_i32 s6, s2, s4
	s_branch .LBB53_3
.LBB53_2:
	s_load_b64 s[6:7], s[0:1], 0x20
.LBB53_3:
	s_load_b64 s[4:5], s[0:1], 0x28
	s_mov_b32 s11, 0
	s_waitcnt lgkmcnt(0)
	s_ashr_i32 s2, s4, 31
	s_delay_alu instid0(SALU_CYCLE_1) | instskip(NEXT) | instid1(SALU_CYCLE_1)
	s_lshr_b32 s2, s2, 27
	s_add_i32 s2, s4, s2
	s_delay_alu instid0(SALU_CYCLE_1)
	s_ashr_i32 s8, s2, 5
	s_lshl_b64 s[2:3], s[10:11], 6
	s_ashr_i32 s9, s8, 31
	v_or_b32_e32 v2, s2, v0
	s_or_b64 s[12:13], s[2:3], s[8:9]
	s_mov_b32 s12, s11
                                        ; implicit-def: $vgpr0_vgpr1
	s_delay_alu instid0(SALU_CYCLE_1) | instskip(SKIP_1) | instid1(SALU_CYCLE_1)
	s_cmp_lg_u64 s[12:13], 0
	s_cselect_b32 s2, -1, 0
	s_and_saveexec_b32 s4, s2
	s_delay_alu instid0(SALU_CYCLE_1)
	s_xor_b32 s4, exec_lo, s4
	s_cbranch_execz .LBB53_5
; %bb.4:
	s_add_u32 s12, s8, s9
	s_mov_b32 s10, s9
	s_mov_b32 s11, s9
	s_addc_u32 s13, s9, s9
	s_delay_alu instid0(SALU_CYCLE_1) | instskip(NEXT) | instid1(SALU_CYCLE_1)
	s_xor_b64 s[12:13], s[12:13], s[10:11]
	v_cvt_f32_u32_e32 v0, s12
	v_cvt_f32_u32_e32 v1, s13
	s_sub_u32 s2, 0, s12
	s_subb_u32 s9, 0, s13
	s_delay_alu instid0(VALU_DEP_1) | instskip(NEXT) | instid1(VALU_DEP_1)
	v_fmamk_f32 v0, v1, 0x4f800000, v0
	v_rcp_f32_e32 v0, v0
	s_waitcnt_depctr 0xfff
	v_mul_f32_e32 v0, 0x5f7ffffc, v0
	s_delay_alu instid0(VALU_DEP_1) | instskip(NEXT) | instid1(VALU_DEP_1)
	v_mul_f32_e32 v1, 0x2f800000, v0
	v_trunc_f32_e32 v1, v1
	s_delay_alu instid0(VALU_DEP_1) | instskip(SKIP_1) | instid1(VALU_DEP_2)
	v_fmamk_f32 v0, v1, 0xcf800000, v0
	v_cvt_u32_f32_e32 v1, v1
	v_cvt_u32_f32_e32 v0, v0
	s_delay_alu instid0(VALU_DEP_2) | instskip(NEXT) | instid1(VALU_DEP_2)
	v_mul_lo_u32 v3, s2, v1
	v_mul_hi_u32 v4, s2, v0
	v_mul_lo_u32 v5, s9, v0
	s_delay_alu instid0(VALU_DEP_2) | instskip(SKIP_1) | instid1(VALU_DEP_2)
	v_add_nc_u32_e32 v3, v4, v3
	v_mul_lo_u32 v4, s2, v0
	v_add_nc_u32_e32 v3, v3, v5
	s_delay_alu instid0(VALU_DEP_2) | instskip(NEXT) | instid1(VALU_DEP_2)
	v_mul_hi_u32 v5, v0, v4
	v_mul_lo_u32 v6, v0, v3
	v_mul_hi_u32 v7, v0, v3
	v_mul_hi_u32 v8, v1, v4
	v_mul_lo_u32 v4, v1, v4
	v_mul_hi_u32 v9, v1, v3
	v_mul_lo_u32 v3, v1, v3
	v_add_co_u32 v5, vcc_lo, v5, v6
	v_add_co_ci_u32_e32 v6, vcc_lo, 0, v7, vcc_lo
	s_delay_alu instid0(VALU_DEP_2) | instskip(NEXT) | instid1(VALU_DEP_2)
	v_add_co_u32 v4, vcc_lo, v5, v4
	v_add_co_ci_u32_e32 v4, vcc_lo, v6, v8, vcc_lo
	v_add_co_ci_u32_e32 v5, vcc_lo, 0, v9, vcc_lo
	s_delay_alu instid0(VALU_DEP_2) | instskip(NEXT) | instid1(VALU_DEP_2)
	v_add_co_u32 v3, vcc_lo, v4, v3
	v_add_co_ci_u32_e32 v4, vcc_lo, 0, v5, vcc_lo
	s_delay_alu instid0(VALU_DEP_2) | instskip(NEXT) | instid1(VALU_DEP_2)
	v_add_co_u32 v0, vcc_lo, v0, v3
	v_add_co_ci_u32_e32 v1, vcc_lo, v1, v4, vcc_lo
	s_delay_alu instid0(VALU_DEP_2) | instskip(SKIP_1) | instid1(VALU_DEP_3)
	v_mul_hi_u32 v3, s2, v0
	v_mul_lo_u32 v5, s9, v0
	v_mul_lo_u32 v4, s2, v1
	s_delay_alu instid0(VALU_DEP_1) | instskip(SKIP_1) | instid1(VALU_DEP_2)
	v_add_nc_u32_e32 v3, v3, v4
	v_mul_lo_u32 v4, s2, v0
	v_add_nc_u32_e32 v3, v3, v5
	s_delay_alu instid0(VALU_DEP_2) | instskip(NEXT) | instid1(VALU_DEP_2)
	v_mul_hi_u32 v5, v0, v4
	v_mul_lo_u32 v6, v0, v3
	v_mul_hi_u32 v7, v0, v3
	v_mul_hi_u32 v8, v1, v4
	v_mul_lo_u32 v4, v1, v4
	v_mul_hi_u32 v9, v1, v3
	v_mul_lo_u32 v3, v1, v3
	v_add_co_u32 v5, vcc_lo, v5, v6
	v_add_co_ci_u32_e32 v6, vcc_lo, 0, v7, vcc_lo
	s_delay_alu instid0(VALU_DEP_2) | instskip(NEXT) | instid1(VALU_DEP_2)
	v_add_co_u32 v4, vcc_lo, v5, v4
	v_add_co_ci_u32_e32 v4, vcc_lo, v6, v8, vcc_lo
	v_add_co_ci_u32_e32 v5, vcc_lo, 0, v9, vcc_lo
	s_delay_alu instid0(VALU_DEP_2) | instskip(NEXT) | instid1(VALU_DEP_2)
	v_add_co_u32 v3, vcc_lo, v4, v3
	v_add_co_ci_u32_e32 v4, vcc_lo, 0, v5, vcc_lo
	s_delay_alu instid0(VALU_DEP_2) | instskip(NEXT) | instid1(VALU_DEP_2)
	v_add_co_u32 v5, vcc_lo, v0, v3
	v_add_co_ci_u32_e32 v7, vcc_lo, v1, v4, vcc_lo
	s_delay_alu instid0(VALU_DEP_2) | instskip(SKIP_1) | instid1(VALU_DEP_3)
	v_mul_hi_u32 v8, v2, v5
	v_mad_u64_u32 v[3:4], null, s3, v5, 0
	v_mad_u64_u32 v[0:1], null, v2, v7, 0
	;; [unrolled: 1-line block ×3, first 2 shown]
	s_delay_alu instid0(VALU_DEP_2) | instskip(NEXT) | instid1(VALU_DEP_3)
	v_add_co_u32 v0, vcc_lo, v8, v0
	v_add_co_ci_u32_e32 v1, vcc_lo, 0, v1, vcc_lo
	s_delay_alu instid0(VALU_DEP_2) | instskip(NEXT) | instid1(VALU_DEP_2)
	v_add_co_u32 v0, vcc_lo, v0, v3
	v_add_co_ci_u32_e32 v0, vcc_lo, v1, v4, vcc_lo
	v_add_co_ci_u32_e32 v1, vcc_lo, 0, v6, vcc_lo
	s_delay_alu instid0(VALU_DEP_2) | instskip(NEXT) | instid1(VALU_DEP_2)
	v_add_co_u32 v3, vcc_lo, v0, v5
	v_add_co_ci_u32_e32 v4, vcc_lo, 0, v1, vcc_lo
	s_delay_alu instid0(VALU_DEP_2) | instskip(SKIP_1) | instid1(VALU_DEP_3)
	v_mul_lo_u32 v5, s13, v3
	v_mad_u64_u32 v[0:1], null, s12, v3, 0
	v_mul_lo_u32 v6, s12, v4
	s_delay_alu instid0(VALU_DEP_2) | instskip(NEXT) | instid1(VALU_DEP_2)
	v_sub_co_u32 v0, vcc_lo, v2, v0
	v_add3_u32 v1, v1, v6, v5
	s_delay_alu instid0(VALU_DEP_1) | instskip(NEXT) | instid1(VALU_DEP_1)
	v_sub_nc_u32_e32 v5, s3, v1
	v_subrev_co_ci_u32_e64 v5, s2, s13, v5, vcc_lo
	v_add_co_u32 v6, s2, v3, 2
	s_delay_alu instid0(VALU_DEP_1) | instskip(SKIP_3) | instid1(VALU_DEP_3)
	v_add_co_ci_u32_e64 v7, s2, 0, v4, s2
	v_sub_co_u32 v8, s2, v0, s12
	v_sub_co_ci_u32_e32 v1, vcc_lo, s3, v1, vcc_lo
	v_subrev_co_ci_u32_e64 v5, s2, 0, v5, s2
	v_cmp_le_u32_e32 vcc_lo, s12, v8
	s_delay_alu instid0(VALU_DEP_3) | instskip(SKIP_1) | instid1(VALU_DEP_4)
	v_cmp_eq_u32_e64 s2, s13, v1
	v_cndmask_b32_e64 v8, 0, -1, vcc_lo
	v_cmp_le_u32_e32 vcc_lo, s13, v5
	v_cndmask_b32_e64 v9, 0, -1, vcc_lo
	v_cmp_le_u32_e32 vcc_lo, s12, v0
	;; [unrolled: 2-line block ×3, first 2 shown]
	v_cndmask_b32_e64 v10, 0, -1, vcc_lo
	v_cmp_eq_u32_e32 vcc_lo, s13, v5
	s_delay_alu instid0(VALU_DEP_2) | instskip(SKIP_3) | instid1(VALU_DEP_3)
	v_cndmask_b32_e64 v0, v10, v0, s2
	v_cndmask_b32_e32 v5, v9, v8, vcc_lo
	v_add_co_u32 v8, vcc_lo, v3, 1
	v_add_co_ci_u32_e32 v9, vcc_lo, 0, v4, vcc_lo
	v_cmp_ne_u32_e32 vcc_lo, 0, v5
	s_delay_alu instid0(VALU_DEP_2) | instskip(NEXT) | instid1(VALU_DEP_4)
	v_cndmask_b32_e32 v1, v9, v7, vcc_lo
	v_cndmask_b32_e32 v5, v8, v6, vcc_lo
	v_cmp_ne_u32_e32 vcc_lo, 0, v0
	s_delay_alu instid0(VALU_DEP_3) | instskip(NEXT) | instid1(VALU_DEP_3)
	v_cndmask_b32_e32 v0, v4, v1, vcc_lo
	v_cndmask_b32_e32 v1, v3, v5, vcc_lo
	s_delay_alu instid0(VALU_DEP_2) | instskip(NEXT) | instid1(VALU_DEP_2)
	v_xor_b32_e32 v3, s11, v0
	v_xor_b32_e32 v1, s10, v1
	s_delay_alu instid0(VALU_DEP_1) | instskip(NEXT) | instid1(VALU_DEP_3)
	v_sub_co_u32 v0, vcc_lo, v1, s10
	v_subrev_co_ci_u32_e32 v1, vcc_lo, s11, v3, vcc_lo
.LBB53_5:
	s_and_not1_saveexec_b32 s2, s4
	s_cbranch_execz .LBB53_7
; %bb.6:
	v_cvt_f32_u32_e32 v0, s8
	s_sub_i32 s4, 0, s8
	s_delay_alu instid0(VALU_DEP_1) | instskip(SKIP_2) | instid1(VALU_DEP_1)
	v_rcp_iflag_f32_e32 v0, v0
	s_waitcnt_depctr 0xfff
	v_mul_f32_e32 v0, 0x4f7ffffe, v0
	v_cvt_u32_f32_e32 v0, v0
	s_delay_alu instid0(VALU_DEP_1) | instskip(NEXT) | instid1(VALU_DEP_1)
	v_mul_lo_u32 v1, s4, v0
	v_mul_hi_u32 v1, v0, v1
	s_delay_alu instid0(VALU_DEP_1) | instskip(NEXT) | instid1(VALU_DEP_1)
	v_add_nc_u32_e32 v0, v0, v1
	v_mul_hi_u32 v0, v2, v0
	s_delay_alu instid0(VALU_DEP_1) | instskip(SKIP_1) | instid1(VALU_DEP_2)
	v_mul_lo_u32 v1, v0, s8
	v_add_nc_u32_e32 v3, 1, v0
	v_sub_nc_u32_e32 v1, v2, v1
	s_delay_alu instid0(VALU_DEP_1) | instskip(SKIP_1) | instid1(VALU_DEP_2)
	v_subrev_nc_u32_e32 v4, s8, v1
	v_cmp_le_u32_e32 vcc_lo, s8, v1
	v_dual_cndmask_b32 v1, v1, v4 :: v_dual_cndmask_b32 v0, v0, v3
	s_delay_alu instid0(VALU_DEP_1) | instskip(NEXT) | instid1(VALU_DEP_2)
	v_cmp_le_u32_e32 vcc_lo, s8, v1
	v_add_nc_u32_e32 v3, 1, v0
	s_delay_alu instid0(VALU_DEP_1)
	v_dual_mov_b32 v1, 0 :: v_dual_cndmask_b32 v0, v0, v3
.LBB53_7:
	s_or_b32 exec_lo, exec_lo, s2
	s_delay_alu instid0(VALU_DEP_1) | instskip(NEXT) | instid1(VALU_DEP_2)
	v_mad_u64_u32 v[3:4], null, v0, s8, 0
	v_cmp_gt_i64_e32 vcc_lo, s[6:7], v[0:1]
	s_delay_alu instid0(VALU_DEP_2) | instskip(NEXT) | instid1(VALU_DEP_1)
	v_sub_co_u32 v3, null, v2, v3
	v_cmp_gt_i32_e64 s2, s8, v3
	s_delay_alu instid0(VALU_DEP_1) | instskip(NEXT) | instid1(SALU_CYCLE_1)
	s_and_b32 s2, vcc_lo, s2
	s_and_saveexec_b32 s4, s2
	s_cbranch_execz .LBB53_9
; %bb.8:
	s_ashr_i32 s2, s5, 31
	s_load_b64 s[6:7], s[0:1], 0x10
	v_mul_lo_u32 v1, v1, s5
	v_mad_u64_u32 v[4:5], null, v0, s5, 0
	v_mul_lo_u32 v0, v0, s2
	v_mov_b32_e32 v41, 0x43e00000
	s_delay_alu instid0(VALU_DEP_2) | instskip(SKIP_1) | instid1(VALU_DEP_2)
	v_add3_u32 v5, v5, v0, v1
	v_dual_mov_b32 v1, 0 :: v_dual_lshlrev_b32 v0, 5, v3
	v_lshlrev_b64 v[3:4], 1, v[4:5]
	s_delay_alu instid0(VALU_DEP_2) | instskip(SKIP_1) | instid1(VALU_DEP_2)
	v_lshlrev_b64 v[0:1], 1, v[0:1]
	s_waitcnt lgkmcnt(0)
	v_add_co_u32 v3, vcc_lo, s6, v3
	s_delay_alu instid0(VALU_DEP_3) | instskip(SKIP_1) | instid1(VALU_DEP_2)
	v_add_co_ci_u32_e32 v4, vcc_lo, s7, v4, vcc_lo
	s_load_b128 s[4:7], s[0:1], 0x0
	v_add_co_u32 v0, vcc_lo, v3, v0
	s_delay_alu instid0(VALU_DEP_2)
	v_add_co_ci_u32_e32 v1, vcc_lo, v4, v1, vcc_lo
	s_clause 0x3
	global_load_b128 v[3:6], v[0:1], off
	global_load_b128 v[7:10], v[0:1], off offset:16
	global_load_b128 v[11:14], v[0:1], off offset:32
	;; [unrolled: 1-line block ×3, first 2 shown]
	s_load_b32 s0, s[0:1], 0x30
	s_waitcnt lgkmcnt(0)
	s_and_b32 s5, s5, 0xffff
	s_waitcnt vmcnt(3)
	v_and_b32_e32 v0, 0xffff, v3
	v_lshrrev_b32_e32 v1, 16, v3
	s_delay_alu instid0(VALU_DEP_2) | instskip(SKIP_2) | instid1(VALU_DEP_4)
	v_cvt_f32_u32_e32 v19, v0
	v_and_b32_e32 v3, 0xffff, v4
	v_lshrrev_b32_e32 v4, 16, v4
	v_cvt_f32_u32_e32 v20, v1
	v_and_b32_e32 v0, 0xffff, v5
	v_lshrrev_b32_e32 v1, 16, v5
	v_cvt_f32_u32_e32 v3, v3
	v_cvt_f32_u32_e32 v4, v4
	v_max3_f32 v5, v19, 0x2edbe6ff, v20
	v_and_b32_e32 v21, 0xffff, v6
	v_lshrrev_b32_e32 v6, 16, v6
	v_cvt_f32_u32_e32 v22, v0
	v_cvt_f32_u32_e32 v23, v1
	v_max3_f32 v0, v5, v3, v4
	s_waitcnt vmcnt(2)
	v_and_b32_e32 v1, 0xffff, v7
	v_lshrrev_b32_e32 v5, 16, v7
	v_cvt_f32_u32_e32 v7, v21
	v_cvt_f32_u32_e32 v6, v6
	v_max3_f32 v0, v0, v22, v23
	v_and_b32_e32 v21, 0xffff, v8
	v_lshrrev_b32_e32 v8, 16, v8
	v_cvt_f32_u32_e32 v24, v1
	v_cvt_f32_u32_e32 v5, v5
	v_max3_f32 v0, v0, v7, v6
	v_and_b32_e32 v1, 0xffff, v9
	v_lshrrev_b32_e32 v9, 16, v9
	v_cvt_f32_u32_e32 v21, v21
	v_cvt_f32_u32_e32 v8, v8
	v_max3_f32 v0, v0, v24, v5
	v_and_b32_e32 v25, 0xffff, v10
	v_lshrrev_b32_e32 v10, 16, v10
	v_cvt_f32_u32_e32 v26, v1
	v_cvt_f32_u32_e32 v9, v9
	v_max3_f32 v0, v0, v21, v8
	s_waitcnt vmcnt(1)
	v_and_b32_e32 v1, 0xffff, v11
	v_lshrrev_b32_e32 v11, 16, v11
	v_cvt_f32_u32_e32 v25, v25
	v_cvt_f32_u32_e32 v10, v10
	v_max3_f32 v0, v0, v26, v9
	v_and_b32_e32 v27, 0xffff, v12
	v_lshrrev_b32_e32 v12, 16, v12
	v_cvt_f32_u32_e32 v28, v1
	v_cvt_f32_u32_e32 v11, v11
	v_max3_f32 v0, v0, v25, v10
	;; [unrolled: 21-line block ×3, first 2 shown]
	v_and_b32_e32 v1, 0xffff, v17
	v_lshrrev_b32_e32 v17, 16, v17
	v_cvt_f32_u32_e32 v31, v31
	v_cvt_f32_u32_e32 v16, v16
	v_max3_f32 v0, v0, v32, v15
	v_and_b32_e32 v33, 0xffff, v18
	v_lshrrev_b32_e32 v18, 16, v18
	v_cvt_f32_u32_e32 v34, v1
	v_cvt_f32_u32_e32 v17, v17
	v_max3_f32 v0, v0, v31, v16
	v_cvt_f32_u32_e32 v33, v33
	v_cvt_f32_u32_e32 v18, v18
	s_delay_alu instid0(VALU_DEP_3) | instskip(NEXT) | instid1(VALU_DEP_1)
	v_max3_f32 v0, v0, v34, v17
	v_max3_f32 v0, v0, v33, v18
	s_delay_alu instid0(VALU_DEP_1) | instskip(NEXT) | instid1(VALU_DEP_1)
	v_mul_f32_e32 v0, 0x3b124925, v0
	v_bfe_u32 v1, v0, 23, 8
	v_and_b32_e32 v0, 0x7fffff, v0
	s_delay_alu instid0(VALU_DEP_2) | instskip(NEXT) | instid1(VALU_DEP_2)
	v_cmp_ne_u32_e32 vcc_lo, 0xff, v1
	v_cmp_ne_u32_e64 s2, 0, v0
	s_delay_alu instid0(VALU_DEP_1) | instskip(SKIP_1) | instid1(VALU_DEP_1)
	s_and_b32 vcc_lo, s2, vcc_lo
	v_add_co_ci_u32_e32 v35, vcc_lo, 0, v1, vcc_lo
	v_lshlrev_b32_e32 v36, 23, v35
	s_delay_alu instid0(VALU_DEP_1) | instskip(SKIP_1) | instid1(VALU_DEP_2)
	v_div_scale_f32 v0, null, v36, v36, 1.0
	v_div_scale_f32 v38, vcc_lo, 1.0, v36, 1.0
	v_rcp_f32_e32 v1, v0
	s_waitcnt_depctr 0xfff
	v_fma_f32 v37, -v0, v1, 1.0
	s_delay_alu instid0(VALU_DEP_1) | instskip(NEXT) | instid1(VALU_DEP_1)
	v_fmac_f32_e32 v1, v37, v1
	v_mul_f32_e32 v37, v38, v1
	s_delay_alu instid0(VALU_DEP_1) | instskip(NEXT) | instid1(VALU_DEP_1)
	v_fma_f32 v39, -v0, v37, v38
	v_fmac_f32_e32 v37, v39, v1
	v_mov_b32_e32 v39, s3
	s_delay_alu instid0(VALU_DEP_2) | instskip(NEXT) | instid1(VALU_DEP_1)
	v_fma_f32 v0, -v0, v37, v38
	v_div_fmas_f32 v37, v0, v1, v37
	v_add_co_u32 v0, vcc_lo, s6, v2
	s_delay_alu instid0(VALU_DEP_4) | instskip(NEXT) | instid1(VALU_DEP_3)
	v_add_co_ci_u32_e32 v1, vcc_lo, s7, v39, vcc_lo
	v_div_fixup_f32 v36, v37, v36, 1.0
	v_lshlrev_b32_e32 v40, 5, v2
	v_mov_b32_e32 v38, 0xc3e00000
	global_store_b8 v[0:1], v35, off
	s_mov_b32 s7, -1
	v_mul_f32_e32 v0, v36, v19
	v_mul_f32_e32 v1, v36, v20
	;; [unrolled: 1-line block ×7, first 2 shown]
	;;#ASMSTART
	v_med3_f32 v0, v0, v38, v41
v_med3_f32 v1, v1, v38, v41
v_cvt_pk_fp8_f32 v30, v0, v1
	;;#ASMEND
	v_mul_f32_e32 v19, v36, v23
	v_mul_f32_e32 v7, v36, v7
	;; [unrolled: 1-line block ×3, first 2 shown]
	;;#ASMSTART
	v_med3_f32 v2, v2, v38, v41
v_med3_f32 v3, v3, v38, v41
v_cvt_pk_fp8_f32 v0, v2, v3
	;;#ASMEND
	;;#ASMSTART
	v_med3_f32 v4, v4, v38, v41
v_med3_f32 v19, v19, v38, v41
v_cvt_pk_fp8_f32 v1, v4, v19
	;;#ASMEND
	;; [unrolled: 5-line block ×3, first 2 shown]
	v_perm_b32 v6, v0, v30, 0x5040100
	v_mul_f32_e32 v20, v36, v24
	v_mul_f32_e32 v5, v36, v5
	;; [unrolled: 1-line block ×7, first 2 shown]
	;;#ASMSTART
	v_med3_f32 v20, v20, v38, v41
v_med3_f32 v5, v5, v38, v41
v_cvt_pk_fp8_f32 v3, v20, v5
	;;#ASMEND
	;;#ASMSTART
	v_med3_f32 v21, v21, v38, v41
v_med3_f32 v8, v8, v38, v41
v_cvt_pk_fp8_f32 v4, v21, v8
	;;#ASMEND
	;; [unrolled: 5-line block ×4, first 2 shown]
	v_perm_b32 v1, v1, v2, 0x1000504
	v_perm_b32 v2, v3, v4, 0x1000504
	v_perm_b32 v3, v5, v7, 0x1000504
	v_perm_b32 v0, v6, v0, 0x1060504
	s_mov_b32 s6, s0
	v_mul_f32_e32 v24, v36, v28
	v_mul_f32_e32 v11, v36, v11
	;; [unrolled: 1-line block ×4, first 2 shown]
	buffer_store_b128 v[0:3], v40, s[4:7], 0 offen
	;;#ASMSTART
	s_nop 0
	;;#ASMEND
	;;#ASMSTART
	v_med3_f32 v24, v24, v38, v41
v_med3_f32 v11, v11, v38, v41
v_cvt_pk_fp8_f32 v0, v24, v11
	;;#ASMEND
	;;#ASMSTART
	v_med3_f32 v25, v25, v38, v41
v_med3_f32 v12, v12, v38, v41
v_cvt_pk_fp8_f32 v8, v25, v12
	;;#ASMEND
	v_perm_b32 v0, v8, v0, 0x5040100
	v_mul_f32_e32 v13, v36, v13
	v_mul_f32_e32 v27, v36, v29
	;; [unrolled: 1-line block ×11, first 2 shown]
	;;#ASMSTART
	v_med3_f32 v26, v26, v38, v41
v_med3_f32 v13, v13, v38, v41
v_cvt_pk_fp8_f32 v1, v26, v13
	;;#ASMEND
	;;#ASMSTART
	v_med3_f32 v27, v27, v38, v41
v_med3_f32 v14, v14, v38, v41
v_cvt_pk_fp8_f32 v2, v27, v14
	;;#ASMEND
	;; [unrolled: 5-line block ×6, first 2 shown]
	v_perm_b32 v1, v1, v2, 0x1000504
	v_perm_b32 v2, v3, v9, 0x1000504
	;; [unrolled: 1-line block ×4, first 2 shown]
	buffer_store_b128 v[0:3], v40, s[4:7], 16 offen
	;;#ASMSTART
	s_nop 0
	;;#ASMEND
.LBB53_9:
	s_nop 0
	s_sendmsg sendmsg(MSG_DEALLOC_VGPRS)
	s_endpgm
	.section	.rodata,"a",@progbits
	.p2align	6, 0x0
	.amdhsa_kernel _ZN5aiter37dynamic_per_group_scaled_quant_kernelItDB8_Li32ELi32ELb0ELi64ELb1EEEvPT0_PfPKT_PKfliilPKii
		.amdhsa_group_segment_fixed_size 0
		.amdhsa_private_segment_fixed_size 0
		.amdhsa_kernarg_size 68
		.amdhsa_user_sgpr_count 15
		.amdhsa_user_sgpr_dispatch_ptr 0
		.amdhsa_user_sgpr_queue_ptr 0
		.amdhsa_user_sgpr_kernarg_segment_ptr 1
		.amdhsa_user_sgpr_dispatch_id 0
		.amdhsa_user_sgpr_private_segment_size 0
		.amdhsa_wavefront_size32 1
		.amdhsa_uses_dynamic_stack 0
		.amdhsa_enable_private_segment 0
		.amdhsa_system_sgpr_workgroup_id_x 1
		.amdhsa_system_sgpr_workgroup_id_y 0
		.amdhsa_system_sgpr_workgroup_id_z 0
		.amdhsa_system_sgpr_workgroup_info 0
		.amdhsa_system_vgpr_workitem_id 0
		.amdhsa_next_free_vgpr 42
		.amdhsa_next_free_sgpr 16
		.amdhsa_reserve_vcc 1
		.amdhsa_float_round_mode_32 0
		.amdhsa_float_round_mode_16_64 0
		.amdhsa_float_denorm_mode_32 3
		.amdhsa_float_denorm_mode_16_64 3
		.amdhsa_dx10_clamp 1
		.amdhsa_ieee_mode 1
		.amdhsa_fp16_overflow 0
		.amdhsa_workgroup_processor_mode 1
		.amdhsa_memory_ordered 1
		.amdhsa_forward_progress 0
		.amdhsa_shared_vgpr_count 0
		.amdhsa_exception_fp_ieee_invalid_op 0
		.amdhsa_exception_fp_denorm_src 0
		.amdhsa_exception_fp_ieee_div_zero 0
		.amdhsa_exception_fp_ieee_overflow 0
		.amdhsa_exception_fp_ieee_underflow 0
		.amdhsa_exception_fp_ieee_inexact 0
		.amdhsa_exception_int_div_zero 0
	.end_amdhsa_kernel
	.section	.text._ZN5aiter37dynamic_per_group_scaled_quant_kernelItDB8_Li32ELi32ELb0ELi64ELb1EEEvPT0_PfPKT_PKfliilPKii,"axG",@progbits,_ZN5aiter37dynamic_per_group_scaled_quant_kernelItDB8_Li32ELi32ELb0ELi64ELb1EEEvPT0_PfPKT_PKfliilPKii,comdat
.Lfunc_end53:
	.size	_ZN5aiter37dynamic_per_group_scaled_quant_kernelItDB8_Li32ELi32ELb0ELi64ELb1EEEvPT0_PfPKT_PKfliilPKii, .Lfunc_end53-_ZN5aiter37dynamic_per_group_scaled_quant_kernelItDB8_Li32ELi32ELb0ELi64ELb1EEEvPT0_PfPKT_PKfliilPKii
                                        ; -- End function
	.section	.AMDGPU.csdata,"",@progbits
; Kernel info:
; codeLenInByte = 3280
; NumSgprs: 18
; NumVgprs: 42
; ScratchSize: 0
; MemoryBound: 0
; FloatMode: 240
; IeeeMode: 1
; LDSByteSize: 0 bytes/workgroup (compile time only)
; SGPRBlocks: 2
; VGPRBlocks: 5
; NumSGPRsForWavesPerEU: 18
; NumVGPRsForWavesPerEU: 42
; Occupancy: 16
; WaveLimiterHint : 0
; COMPUTE_PGM_RSRC2:SCRATCH_EN: 0
; COMPUTE_PGM_RSRC2:USER_SGPR: 15
; COMPUTE_PGM_RSRC2:TRAP_HANDLER: 0
; COMPUTE_PGM_RSRC2:TGID_X_EN: 1
; COMPUTE_PGM_RSRC2:TGID_Y_EN: 0
; COMPUTE_PGM_RSRC2:TGID_Z_EN: 0
; COMPUTE_PGM_RSRC2:TIDIG_COMP_CNT: 0
	.section	.text._ZN5aiter37dynamic_per_group_scaled_quant_kernelIDF16_DB8_Li32ELi64ELb1ELi64ELb1EEEvPT0_PfPKT_PKfliilPKii,"axG",@progbits,_ZN5aiter37dynamic_per_group_scaled_quant_kernelIDF16_DB8_Li32ELi64ELb1ELi64ELb1EEEvPT0_PfPKT_PKfliilPKii,comdat
	.protected	_ZN5aiter37dynamic_per_group_scaled_quant_kernelIDF16_DB8_Li32ELi64ELb1ELi64ELb1EEEvPT0_PfPKT_PKfliilPKii ; -- Begin function _ZN5aiter37dynamic_per_group_scaled_quant_kernelIDF16_DB8_Li32ELi64ELb1ELi64ELb1EEEvPT0_PfPKT_PKfliilPKii
	.globl	_ZN5aiter37dynamic_per_group_scaled_quant_kernelIDF16_DB8_Li32ELi64ELb1ELi64ELb1EEEvPT0_PfPKT_PKfliilPKii
	.p2align	8
	.type	_ZN5aiter37dynamic_per_group_scaled_quant_kernelIDF16_DB8_Li32ELi64ELb1ELi64ELb1EEEvPT0_PfPKT_PKfliilPKii,@function
_ZN5aiter37dynamic_per_group_scaled_quant_kernelIDF16_DB8_Li32ELi64ELb1ELi64ELb1EEEvPT0_PfPKT_PKfliilPKii: ; @_ZN5aiter37dynamic_per_group_scaled_quant_kernelIDF16_DB8_Li32ELi64ELb1ELi64ELb1EEEvPT0_PfPKT_PKfliilPKii
; %bb.0:
	s_load_b64 s[2:3], s[0:1], 0x38
	s_mov_b32 s6, s15
	s_waitcnt lgkmcnt(0)
	s_cmp_eq_u64 s[2:3], 0
	s_cbranch_scc1 .LBB54_2
; %bb.1:
	s_load_b32 s4, s[0:1], 0x40
	s_load_b32 s2, s[2:3], 0x0
	s_waitcnt lgkmcnt(0)
	s_mul_hi_i32 s5, s2, s4
	s_mul_i32 s4, s2, s4
	s_branch .LBB54_3
.LBB54_2:
	s_load_b64 s[4:5], s[0:1], 0x20
.LBB54_3:
	s_load_b64 s[2:3], s[0:1], 0x28
	s_mov_b32 s7, 0
                                        ; implicit-def: $vgpr19_vgpr20
	v_mov_b32_e32 v3, 0
	s_lshl_b64 s[6:7], s[6:7], 6
	s_delay_alu instid0(SALU_CYCLE_1) | instskip(SKIP_2) | instid1(VALU_DEP_1)
	v_or_b32_e32 v1, s6, v0
	v_mov_b32_e32 v2, s7
	s_mov_b32 s6, exec_lo
	v_lshrrev_b64 v[17:18], 1, v[1:2]
	s_waitcnt lgkmcnt(0)
	s_ashr_i32 s8, s2, 31
	s_delay_alu instid0(SALU_CYCLE_1) | instskip(NEXT) | instid1(SALU_CYCLE_1)
	s_lshr_b32 s8, s8, 26
	s_add_i32 s2, s2, s8
	s_delay_alu instid0(SALU_CYCLE_1) | instskip(NEXT) | instid1(SALU_CYCLE_1)
	s_ashr_i32 s11, s2, 6
	s_add_i32 s10, s11, 7
	s_delay_alu instid0(SALU_CYCLE_1) | instskip(NEXT) | instid1(SALU_CYCLE_1)
	s_lshr_b32 s2, s10, 29
	s_add_i32 s10, s10, s2
	s_delay_alu instid0(SALU_CYCLE_1) | instskip(NEXT) | instid1(SALU_CYCLE_1)
	s_and_b32 s12, s10, -8
	s_ashr_i32 s2, s12, 31
	s_delay_alu instid0(SALU_CYCLE_1) | instskip(NEXT) | instid1(VALU_DEP_1)
	v_or_b32_e32 v4, s2, v18
	v_cmpx_ne_u64_e32 0, v[3:4]
	s_xor_b32 s13, exec_lo, s6
	s_cbranch_execz .LBB54_5
; %bb.4:
	s_add_u32 s8, s12, s2
	s_mov_b32 s6, s2
	s_mov_b32 s7, s2
	s_addc_u32 s9, s2, s2
	s_delay_alu instid0(SALU_CYCLE_1) | instskip(NEXT) | instid1(SALU_CYCLE_1)
	s_xor_b64 s[8:9], s[8:9], s[6:7]
	v_cvt_f32_u32_e32 v1, s8
	v_cvt_f32_u32_e32 v2, s9
	s_sub_u32 s2, 0, s8
	s_subb_u32 s14, 0, s9
	s_delay_alu instid0(VALU_DEP_1) | instskip(NEXT) | instid1(VALU_DEP_1)
	v_fmamk_f32 v1, v2, 0x4f800000, v1
	v_rcp_f32_e32 v1, v1
	s_waitcnt_depctr 0xfff
	v_mul_f32_e32 v1, 0x5f7ffffc, v1
	s_delay_alu instid0(VALU_DEP_1) | instskip(NEXT) | instid1(VALU_DEP_1)
	v_mul_f32_e32 v2, 0x2f800000, v1
	v_trunc_f32_e32 v2, v2
	s_delay_alu instid0(VALU_DEP_1) | instskip(SKIP_1) | instid1(VALU_DEP_2)
	v_fmamk_f32 v1, v2, 0xcf800000, v1
	v_cvt_u32_f32_e32 v2, v2
	v_cvt_u32_f32_e32 v1, v1
	s_delay_alu instid0(VALU_DEP_2) | instskip(NEXT) | instid1(VALU_DEP_2)
	v_mul_lo_u32 v3, s2, v2
	v_mul_hi_u32 v4, s2, v1
	v_mul_lo_u32 v5, s14, v1
	s_delay_alu instid0(VALU_DEP_2) | instskip(SKIP_1) | instid1(VALU_DEP_2)
	v_add_nc_u32_e32 v3, v4, v3
	v_mul_lo_u32 v4, s2, v1
	v_add_nc_u32_e32 v3, v3, v5
	s_delay_alu instid0(VALU_DEP_2) | instskip(NEXT) | instid1(VALU_DEP_2)
	v_mul_hi_u32 v5, v1, v4
	v_mul_lo_u32 v6, v1, v3
	v_mul_hi_u32 v7, v1, v3
	v_mul_hi_u32 v8, v2, v4
	v_mul_lo_u32 v4, v2, v4
	v_mul_hi_u32 v9, v2, v3
	v_mul_lo_u32 v3, v2, v3
	v_add_co_u32 v5, vcc_lo, v5, v6
	v_add_co_ci_u32_e32 v6, vcc_lo, 0, v7, vcc_lo
	s_delay_alu instid0(VALU_DEP_2) | instskip(NEXT) | instid1(VALU_DEP_2)
	v_add_co_u32 v4, vcc_lo, v5, v4
	v_add_co_ci_u32_e32 v4, vcc_lo, v6, v8, vcc_lo
	v_add_co_ci_u32_e32 v5, vcc_lo, 0, v9, vcc_lo
	s_delay_alu instid0(VALU_DEP_2) | instskip(NEXT) | instid1(VALU_DEP_2)
	v_add_co_u32 v3, vcc_lo, v4, v3
	v_add_co_ci_u32_e32 v4, vcc_lo, 0, v5, vcc_lo
	s_delay_alu instid0(VALU_DEP_2) | instskip(NEXT) | instid1(VALU_DEP_2)
	v_add_co_u32 v1, vcc_lo, v1, v3
	v_add_co_ci_u32_e32 v2, vcc_lo, v2, v4, vcc_lo
	s_delay_alu instid0(VALU_DEP_2) | instskip(SKIP_1) | instid1(VALU_DEP_3)
	v_mul_hi_u32 v3, s2, v1
	v_mul_lo_u32 v5, s14, v1
	v_mul_lo_u32 v4, s2, v2
	s_delay_alu instid0(VALU_DEP_1) | instskip(SKIP_1) | instid1(VALU_DEP_2)
	v_add_nc_u32_e32 v3, v3, v4
	v_mul_lo_u32 v4, s2, v1
	v_add_nc_u32_e32 v3, v3, v5
	s_delay_alu instid0(VALU_DEP_2) | instskip(NEXT) | instid1(VALU_DEP_2)
	v_mul_hi_u32 v5, v1, v4
	v_mul_lo_u32 v6, v1, v3
	v_mul_hi_u32 v7, v1, v3
	v_mul_hi_u32 v8, v2, v4
	v_mul_lo_u32 v4, v2, v4
	v_mul_hi_u32 v9, v2, v3
	v_mul_lo_u32 v3, v2, v3
	v_add_co_u32 v5, vcc_lo, v5, v6
	v_add_co_ci_u32_e32 v6, vcc_lo, 0, v7, vcc_lo
	s_delay_alu instid0(VALU_DEP_2) | instskip(NEXT) | instid1(VALU_DEP_2)
	v_add_co_u32 v4, vcc_lo, v5, v4
	v_add_co_ci_u32_e32 v4, vcc_lo, v6, v8, vcc_lo
	v_add_co_ci_u32_e32 v5, vcc_lo, 0, v9, vcc_lo
	s_delay_alu instid0(VALU_DEP_2) | instskip(NEXT) | instid1(VALU_DEP_2)
	v_add_co_u32 v3, vcc_lo, v4, v3
	v_add_co_ci_u32_e32 v4, vcc_lo, 0, v5, vcc_lo
	s_delay_alu instid0(VALU_DEP_2) | instskip(NEXT) | instid1(VALU_DEP_2)
	v_add_co_u32 v5, vcc_lo, v1, v3
	v_add_co_ci_u32_e32 v7, vcc_lo, v2, v4, vcc_lo
	s_delay_alu instid0(VALU_DEP_2) | instskip(SKIP_1) | instid1(VALU_DEP_3)
	v_mul_hi_u32 v8, v17, v5
	v_mad_u64_u32 v[3:4], null, v18, v5, 0
	v_mad_u64_u32 v[1:2], null, v17, v7, 0
	;; [unrolled: 1-line block ×3, first 2 shown]
	s_delay_alu instid0(VALU_DEP_2) | instskip(NEXT) | instid1(VALU_DEP_3)
	v_add_co_u32 v1, vcc_lo, v8, v1
	v_add_co_ci_u32_e32 v2, vcc_lo, 0, v2, vcc_lo
	s_delay_alu instid0(VALU_DEP_2) | instskip(NEXT) | instid1(VALU_DEP_2)
	v_add_co_u32 v1, vcc_lo, v1, v3
	v_add_co_ci_u32_e32 v1, vcc_lo, v2, v4, vcc_lo
	v_add_co_ci_u32_e32 v2, vcc_lo, 0, v6, vcc_lo
	s_delay_alu instid0(VALU_DEP_2) | instskip(NEXT) | instid1(VALU_DEP_2)
	v_add_co_u32 v3, vcc_lo, v1, v5
	v_add_co_ci_u32_e32 v4, vcc_lo, 0, v2, vcc_lo
	s_delay_alu instid0(VALU_DEP_2) | instskip(SKIP_1) | instid1(VALU_DEP_3)
	v_mul_lo_u32 v5, s9, v3
	v_mad_u64_u32 v[1:2], null, s8, v3, 0
	v_mul_lo_u32 v6, s8, v4
	s_delay_alu instid0(VALU_DEP_2) | instskip(NEXT) | instid1(VALU_DEP_2)
	v_sub_co_u32 v1, vcc_lo, v17, v1
	v_add3_u32 v2, v2, v6, v5
	s_delay_alu instid0(VALU_DEP_1) | instskip(NEXT) | instid1(VALU_DEP_1)
	v_sub_nc_u32_e32 v5, v18, v2
	v_subrev_co_ci_u32_e64 v5, s2, s9, v5, vcc_lo
	v_add_co_u32 v6, s2, v3, 2
	s_delay_alu instid0(VALU_DEP_1) | instskip(SKIP_3) | instid1(VALU_DEP_3)
	v_add_co_ci_u32_e64 v7, s2, 0, v4, s2
	v_sub_co_u32 v8, s2, v1, s8
	v_sub_co_ci_u32_e32 v2, vcc_lo, v18, v2, vcc_lo
	v_subrev_co_ci_u32_e64 v5, s2, 0, v5, s2
	v_cmp_le_u32_e32 vcc_lo, s8, v8
	s_delay_alu instid0(VALU_DEP_3) | instskip(SKIP_1) | instid1(VALU_DEP_4)
	v_cmp_eq_u32_e64 s2, s9, v2
	v_cndmask_b32_e64 v8, 0, -1, vcc_lo
	v_cmp_le_u32_e32 vcc_lo, s9, v5
	v_cndmask_b32_e64 v9, 0, -1, vcc_lo
	v_cmp_le_u32_e32 vcc_lo, s8, v1
	;; [unrolled: 2-line block ×3, first 2 shown]
	v_cndmask_b32_e64 v10, 0, -1, vcc_lo
	v_cmp_eq_u32_e32 vcc_lo, s9, v5
	s_delay_alu instid0(VALU_DEP_2) | instskip(SKIP_3) | instid1(VALU_DEP_3)
	v_cndmask_b32_e64 v1, v10, v1, s2
	v_cndmask_b32_e32 v5, v9, v8, vcc_lo
	v_add_co_u32 v8, vcc_lo, v3, 1
	v_add_co_ci_u32_e32 v9, vcc_lo, 0, v4, vcc_lo
	v_cmp_ne_u32_e32 vcc_lo, 0, v5
	s_delay_alu instid0(VALU_DEP_2) | instskip(SKIP_1) | instid1(VALU_DEP_2)
	v_dual_cndmask_b32 v2, v9, v7 :: v_dual_cndmask_b32 v5, v8, v6
	v_cmp_ne_u32_e32 vcc_lo, 0, v1
	v_dual_cndmask_b32 v1, v4, v2 :: v_dual_cndmask_b32 v2, v3, v5
	s_delay_alu instid0(VALU_DEP_1) | instskip(NEXT) | instid1(VALU_DEP_2)
	v_xor_b32_e32 v1, s7, v1
	v_xor_b32_e32 v2, s6, v2
	s_delay_alu instid0(VALU_DEP_1) | instskip(NEXT) | instid1(VALU_DEP_3)
	v_sub_co_u32 v19, vcc_lo, v2, s6
	v_subrev_co_ci_u32_e32 v20, vcc_lo, s7, v1, vcc_lo
                                        ; implicit-def: $vgpr1_vgpr2
.LBB54_5:
	s_and_not1_saveexec_b32 s2, s13
	s_cbranch_execz .LBB54_7
; %bb.6:
	v_cvt_f32_u32_e32 v3, s12
	s_sub_i32 s6, 0, s12
	v_alignbit_b32 v1, v2, v1, 1
	v_mov_b32_e32 v20, 0
	s_delay_alu instid0(VALU_DEP_3) | instskip(SKIP_2) | instid1(VALU_DEP_1)
	v_rcp_iflag_f32_e32 v3, v3
	s_waitcnt_depctr 0xfff
	v_mul_f32_e32 v3, 0x4f7ffffe, v3
	v_cvt_u32_f32_e32 v3, v3
	s_delay_alu instid0(VALU_DEP_1) | instskip(NEXT) | instid1(VALU_DEP_1)
	v_mul_lo_u32 v4, s6, v3
	v_mul_hi_u32 v4, v3, v4
	s_delay_alu instid0(VALU_DEP_1) | instskip(NEXT) | instid1(VALU_DEP_1)
	v_add_nc_u32_e32 v2, v3, v4
	v_mul_hi_u32 v2, v1, v2
	s_delay_alu instid0(VALU_DEP_1) | instskip(NEXT) | instid1(VALU_DEP_1)
	v_mul_lo_u32 v3, v2, s12
	v_sub_nc_u32_e32 v1, v1, v3
	v_add_nc_u32_e32 v3, 1, v2
	s_delay_alu instid0(VALU_DEP_2) | instskip(SKIP_1) | instid1(VALU_DEP_2)
	v_subrev_nc_u32_e32 v4, s12, v1
	v_cmp_le_u32_e32 vcc_lo, s12, v1
	v_dual_cndmask_b32 v1, v1, v4 :: v_dual_cndmask_b32 v2, v2, v3
	s_delay_alu instid0(VALU_DEP_1) | instskip(NEXT) | instid1(VALU_DEP_2)
	v_cmp_le_u32_e32 vcc_lo, s12, v1
	v_add_nc_u32_e32 v3, 1, v2
	s_delay_alu instid0(VALU_DEP_1)
	v_cndmask_b32_e32 v19, v2, v3, vcc_lo
.LBB54_7:
	s_or_b32 exec_lo, exec_lo, s2
	s_delay_alu instid0(VALU_DEP_1) | instskip(SKIP_1) | instid1(VALU_DEP_2)
	v_mad_u64_u32 v[1:2], null, v19, s12, 0
	v_cmp_gt_i64_e32 vcc_lo, s[4:5], v[19:20]
	v_sub_co_u32 v28, null, v17, v1
	s_delay_alu instid0(VALU_DEP_1) | instskip(NEXT) | instid1(VALU_DEP_1)
	v_cmp_gt_i32_e64 s2, s11, v28
	s_and_b32 s2, vcc_lo, s2
	s_delay_alu instid0(SALU_CYCLE_1)
	s_and_saveexec_b32 s4, s2
	s_cbranch_execz .LBB54_11
; %bb.8:
	s_ashr_i32 s2, s3, 31
	s_load_b64 s[4:5], s[0:1], 0x10
	v_mul_lo_u32 v3, v20, s3
	v_mad_u64_u32 v[1:2], null, v19, s3, 0
	v_mul_lo_u32 v4, v19, s2
	v_dual_mov_b32 v21, 0 :: v_dual_lshlrev_b32 v20, 6, v28
	v_and_b32_e32 v38, 1, v0
	s_delay_alu instid0(VALU_DEP_1) | instskip(NEXT) | instid1(VALU_DEP_4)
	v_lshlrev_b32_e32 v5, 6, v38
	v_add3_u32 v2, v2, v4, v3
	s_delay_alu instid0(VALU_DEP_4) | instskip(NEXT) | instid1(VALU_DEP_2)
	v_lshlrev_b64 v[3:4], 1, v[20:21]
	v_lshlrev_b64 v[1:2], 1, v[1:2]
	s_waitcnt lgkmcnt(0)
	s_delay_alu instid0(VALU_DEP_1) | instskip(NEXT) | instid1(VALU_DEP_2)
	v_add_co_u32 v1, vcc_lo, s4, v1
	v_add_co_ci_u32_e32 v2, vcc_lo, s5, v2, vcc_lo
	s_load_b64 s[4:5], s[0:1], 0x0
	s_delay_alu instid0(VALU_DEP_2) | instskip(NEXT) | instid1(VALU_DEP_2)
	v_add_co_u32 v1, vcc_lo, v1, v3
	v_add_co_ci_u32_e32 v2, vcc_lo, v2, v4, vcc_lo
	s_delay_alu instid0(VALU_DEP_2) | instskip(NEXT) | instid1(VALU_DEP_2)
	v_add_co_u32 v1, vcc_lo, v1, v5
	v_add_co_ci_u32_e32 v2, vcc_lo, 0, v2, vcc_lo
	s_clause 0x3
	global_load_b128 v[9:12], v[1:2], off
	global_load_b128 v[13:16], v[1:2], off offset:16
	global_load_b128 v[5:8], v[1:2], off offset:32
	;; [unrolled: 1-line block ×3, first 2 shown]
	s_waitcnt vmcnt(3)
	v_lshrrev_b32_e32 v29, 16, v9
	v_cvt_f32_f16_e64 v18, |v9|
	v_lshrrev_b32_e32 v30, 16, v10
	v_cvt_f32_f16_e64 v22, |v10|
	;; [unrolled: 2-line block ×4, first 2 shown]
	s_waitcnt vmcnt(2)
	v_lshrrev_b32_e32 v33, 16, v13
	v_cvt_f32_f16_e64 v24, |v31|
	v_max3_f32 v18, v18, 0x2edbe6ff, v21
	v_cvt_f32_f16_e64 v21, |v11|
	v_lshrrev_b32_e32 v34, 16, v14
	v_lshrrev_b32_e32 v35, 16, v15
	;; [unrolled: 1-line block ×3, first 2 shown]
	v_max3_f32 v18, v18, v22, v23
	v_cvt_f32_f16_e64 v22, |v12|
	v_cvt_f32_f16_e64 v23, |v32|
	s_waitcnt vmcnt(1)
	v_lshrrev_b32_e32 v27, 16, v5
	v_cvt_f32_f16_e64 v25, |v36|
	v_max3_f32 v18, v18, v21, v24
	v_cvt_f32_f16_e64 v21, |v13|
	v_cvt_f32_f16_e64 v24, |v33|
	s_delay_alu instid0(VALU_DEP_3) | instskip(SKIP_2) | instid1(VALU_DEP_3)
	v_max3_f32 v18, v18, v22, v23
	v_cvt_f32_f16_e64 v22, |v14|
	v_cvt_f32_f16_e64 v23, |v34|
	v_max3_f32 v18, v18, v21, v24
	v_cvt_f32_f16_e64 v21, |v15|
	v_cvt_f32_f16_e64 v24, |v35|
	s_delay_alu instid0(VALU_DEP_3) | instskip(SKIP_2) | instid1(VALU_DEP_3)
	v_max3_f32 v18, v18, v22, v23
	v_cvt_f32_f16_e64 v23, |v16|
	v_lshrrev_b32_e32 v22, 16, v6
	v_max3_f32 v18, v18, v21, v24
	v_cvt_f32_f16_e64 v21, |v5|
	v_cvt_f32_f16_e64 v24, |v27|
	s_delay_alu instid0(VALU_DEP_4) | instskip(NEXT) | instid1(VALU_DEP_4)
	v_cvt_f32_f16_e64 v26, |v22|
	v_max3_f32 v18, v18, v23, v25
	v_cvt_f32_f16_e64 v25, |v6|
	v_lshrrev_b32_e32 v23, 16, v7
	s_delay_alu instid0(VALU_DEP_3) | instskip(SKIP_2) | instid1(VALU_DEP_4)
	v_max3_f32 v18, v18, v21, v24
	v_cvt_f32_f16_e64 v21, |v7|
	v_lshrrev_b32_e32 v24, 16, v8
	v_cvt_f32_f16_e64 v37, |v23|
	s_delay_alu instid0(VALU_DEP_4)
	v_max3_f32 v18, v18, v25, v26
	v_cvt_f32_f16_e64 v25, |v8|
	s_waitcnt vmcnt(0)
	v_lshrrev_b32_e32 v26, 16, v1
	v_cvt_f32_f16_e64 v39, |v24|
	v_max3_f32 v18, v18, v21, v37
	v_cvt_f32_f16_e64 v37, |v1|
	v_lshrrev_b32_e32 v21, 16, v2
	v_cvt_f32_f16_e64 v40, |v26|
	s_delay_alu instid0(VALU_DEP_4) | instskip(SKIP_3) | instid1(VALU_DEP_4)
	v_max3_f32 v18, v18, v25, v39
	v_cvt_f32_f16_e64 v39, |v2|
	v_lshrrev_b32_e32 v25, 16, v3
	v_cvt_f32_f16_e64 v41, |v21|
	v_max3_f32 v37, v18, v37, v40
	v_cvt_f32_f16_e64 v40, |v3|
	v_lshrrev_b32_e32 v18, 16, v4
	v_cvt_f32_f16_e64 v42, |v25|
	s_delay_alu instid0(VALU_DEP_4) | instskip(SKIP_1) | instid1(VALU_DEP_4)
	v_max3_f32 v37, v37, v39, v41
	v_cvt_f32_f16_e64 v39, |v4|
	v_cvt_f32_f16_e64 v41, |v18|
	s_delay_alu instid0(VALU_DEP_3) | instskip(NEXT) | instid1(VALU_DEP_1)
	v_max3_f32 v37, v37, v40, v42
	v_max3_f32 v37, v37, v39, v41
	s_delay_alu instid0(VALU_DEP_1) | instskip(NEXT) | instid1(VALU_DEP_1)
	v_mov_b32_dpp v39, v37 quad_perm:[1,0,3,2] row_mask:0xf bank_mask:0xf
	v_cmp_gt_f32_e32 vcc_lo, v37, v39
	v_cndmask_b32_e32 v37, v39, v37, vcc_lo
	s_delay_alu instid0(VALU_DEP_1) | instskip(NEXT) | instid1(VALU_DEP_1)
	v_mul_f32_e32 v37, 0x3b124925, v37
	v_bfe_u32 v39, v37, 23, 8
	v_and_b32_e32 v37, 0x7fffff, v37
	s_delay_alu instid0(VALU_DEP_2) | instskip(NEXT) | instid1(VALU_DEP_2)
	v_cmp_ne_u32_e32 vcc_lo, 0xff, v39
	v_cmp_ne_u32_e64 s2, 0, v37
	s_delay_alu instid0(VALU_DEP_1)
	s_and_b32 vcc_lo, s2, vcc_lo
	s_mov_b32 s2, exec_lo
	v_add_co_ci_u32_e32 v37, vcc_lo, 0, v39, vcc_lo
	v_cmpx_eq_u32_e32 0, v38
	s_cbranch_execz .LBB54_10
; %bb.9:
	v_ashrrev_i32_e32 v38, 31, v19
	s_ashr_i32 s3, s10, 3
	s_load_b64 s[6:7], s[0:1], 0x8
	v_and_b32_e32 v20, 0xc0, v20
	s_delay_alu instid0(VALU_DEP_2) | instskip(SKIP_1) | instid1(VALU_DEP_2)
	v_lshrrev_b32_e32 v39, 27, v38
	v_lshrrev_b32_e32 v38, 28, v38
	v_add_nc_u32_e32 v39, v19, v39
	s_delay_alu instid0(VALU_DEP_2) | instskip(NEXT) | instid1(VALU_DEP_2)
	v_add_nc_u32_e32 v38, v19, v38
	v_and_b32_e32 v40, 0xffe0, v39
	s_delay_alu instid0(VALU_DEP_2) | instskip(SKIP_1) | instid1(VALU_DEP_3)
	v_and_b32_e32 v38, 0x3ffffff0, v38
	v_lshrrev_b32_e32 v39, 5, v39
	v_sub_nc_u32_e32 v40, v19, v40
	s_delay_alu instid0(VALU_DEP_3) | instskip(NEXT) | instid1(VALU_DEP_3)
	v_sub_nc_u32_e32 v19, v19, v38
	v_mul_lo_u32 v39, v39, s3
	s_delay_alu instid0(VALU_DEP_3) | instskip(NEXT) | instid1(VALU_DEP_3)
	v_bfe_i32 v41, v40, 0, 8
	v_lshlrev_b32_e32 v19, 2, v19
	s_delay_alu instid0(VALU_DEP_2) | instskip(NEXT) | instid1(VALU_DEP_1)
	v_lshrrev_b16 v41, 11, v41
	v_and_b32_e32 v41, 15, v41
	s_delay_alu instid0(VALU_DEP_1) | instskip(NEXT) | instid1(VALU_DEP_1)
	v_add_nc_u16 v40, v40, v41
	v_bfe_i32 v40, v40, 0, 8
	s_delay_alu instid0(VALU_DEP_1) | instskip(SKIP_2) | instid1(VALU_DEP_3)
	v_ashrrev_i16 v38, 4, v40
	v_lshrrev_b32_e32 v40, 3, v28
	v_lshrrev_b32_e32 v28, 1, v28
	v_bfe_i32 v38, v38, 0, 16
	s_delay_alu instid0(VALU_DEP_3) | instskip(NEXT) | instid1(VALU_DEP_3)
	v_add_lshl_u32 v39, v40, v39, 8
	v_and_b32_e32 v28, 2, v28
	s_delay_alu instid0(VALU_DEP_3) | instskip(NEXT) | instid1(VALU_DEP_1)
	v_add3_u32 v19, v20, v19, v38
	v_add3_u32 v19, v19, v39, v28
	s_delay_alu instid0(VALU_DEP_1) | instskip(SKIP_2) | instid1(VALU_DEP_2)
	v_ashrrev_i32_e32 v20, 31, v19
	s_waitcnt lgkmcnt(0)
	v_add_co_u32 v19, vcc_lo, s6, v19
	v_add_co_ci_u32_e32 v20, vcc_lo, s7, v20, vcc_lo
	global_store_b8 v[19:20], v37, off
.LBB54_10:
	s_or_b32 exec_lo, exec_lo, s2
	s_delay_alu instid0(VALU_DEP_2)
	v_lshlrev_b32_e32 v19, 23, v37
	v_cvt_f32_f16_e32 v9, v9
	v_lshlrev_b32_e32 v17, 6, v17
	v_lshlrev_b32_e32 v0, 5, v0
	s_load_b32 s6, s[0:1], 0x30
	v_div_scale_f32 v20, null, v19, v19, 1.0
	v_cvt_f32_f16_e32 v29, v29
	v_cvt_f32_f16_e32 v10, v10
	;; [unrolled: 1-line block ×3, first 2 shown]
	s_delay_alu instid0(VALU_DEP_4)
	v_rcp_f32_e32 v28, v20
	v_cvt_f32_f16_e32 v32, v32
	v_cvt_f32_f16_e32 v34, v34
	;; [unrolled: 1-line block ×9, first 2 shown]
	v_fma_f32 v37, -v20, v28, 1.0
	v_cvt_f32_f16_e32 v35, v35
	v_cvt_f32_f16_e32 v16, v16
	;; [unrolled: 1-line block ×4, first 2 shown]
	v_fmac_f32_e32 v28, v37, v28
	v_div_scale_f32 v38, vcc_lo, 1.0, v19, 1.0
	s_waitcnt lgkmcnt(0)
	s_and_b32 s5, s5, 0xffff
	s_mov_b32 s7, -1
	v_cvt_f32_f16_e32 v7, v7
	v_mul_f32_e32 v37, v38, v28
	v_cvt_f32_f16_e32 v8, v8
	v_cvt_f32_f16_e32 v2, v2
	;; [unrolled: 1-line block ×4, first 2 shown]
	v_fma_f32 v39, -v20, v37, v38
	s_delay_alu instid0(VALU_DEP_1) | instskip(NEXT) | instid1(VALU_DEP_1)
	v_fmac_f32_e32 v37, v39, v28
	v_fma_f32 v20, -v20, v37, v38
	s_delay_alu instid0(VALU_DEP_1)
	v_div_fmas_f32 v20, v20, v28, v37
	v_cvt_f32_f16_e32 v28, v36
	v_mov_b32_e32 v36, 0xc3e00000
	v_mov_b32_e32 v37, 0x43e00000
	v_and_or_b32 v17, v0, 32, v17
	v_div_fixup_f32 v19, v20, v19, 1.0
	v_cvt_f32_f16_e32 v20, v27
	s_delay_alu instid0(VALU_DEP_2)
	v_mul_f32_e32 v0, v19, v9
	v_mul_f32_e32 v9, v19, v29
	;; [unrolled: 1-line block ×6, first 2 shown]
	;;#ASMSTART
	v_med3_f32 v0, v0, v36, v37
v_med3_f32 v9, v9, v36, v37
v_cvt_pk_fp8_f32 v34, v0, v9
	;;#ASMEND
	v_mul_f32_e32 v11, v19, v11
	v_mul_f32_e32 v29, v19, v31
	;; [unrolled: 1-line block ×3, first 2 shown]
	;;#ASMSTART
	v_med3_f32 v10, v10, v36, v37
v_med3_f32 v27, v27, v36, v37
v_cvt_pk_fp8_f32 v0, v10, v27
	;;#ASMEND
	v_mul_f32_e32 v13, v19, v13
	v_mul_f32_e32 v31, v19, v33
	;; [unrolled: 1-line block ×3, first 2 shown]
	;;#ASMSTART
	v_med3_f32 v11, v11, v36, v37
v_med3_f32 v29, v29, v36, v37
v_cvt_pk_fp8_f32 v9, v11, v29
	;;#ASMEND
	;;#ASMSTART
	v_med3_f32 v12, v12, v36, v37
v_med3_f32 v30, v30, v36, v37
v_cvt_pk_fp8_f32 v10, v12, v30
	;;#ASMEND
	;; [unrolled: 5-line block ×4, first 2 shown]
	v_perm_b32 v14, v0, v34, 0x5040100
	v_mul_f32_e32 v15, v19, v15
	v_mul_f32_e32 v33, v19, v35
	;; [unrolled: 1-line block ×4, first 2 shown]
	;;#ASMSTART
	v_med3_f32 v15, v15, v36, v37
v_med3_f32 v33, v33, v36, v37
v_cvt_pk_fp8_f32 v13, v15, v33
	;;#ASMEND
	;;#ASMSTART
	v_med3_f32 v16, v16, v36, v37
v_med3_f32 v28, v28, v36, v37
v_cvt_pk_fp8_f32 v15, v16, v28
	;;#ASMEND
	v_perm_b32 v10, v9, v10, 0x1000504
	v_perm_b32 v11, v11, v12, 0x1000504
	;; [unrolled: 1-line block ×4, first 2 shown]
	v_cvt_f32_f16_e32 v0, v22
	v_mul_f32_e32 v6, v19, v6
	v_cvt_f32_f16_e32 v13, v23
	v_cvt_f32_f16_e32 v14, v25
	buffer_store_b128 v[9:12], v17, s[4:7], 0 offen
	v_cvt_f32_f16_e32 v10, v1
	v_mul_f32_e32 v1, v19, v5
	v_mul_f32_e32 v5, v19, v20
	;;#ASMSTART
	s_nop 0
	;;#ASMEND
	v_mul_f32_e32 v0, v19, v0
	;;#ASMSTART
	v_med3_f32 v1, v1, v36, v37
v_med3_f32 v5, v5, v36, v37
v_cvt_pk_fp8_f32 v15, v1, v5
	;;#ASMEND
	;;#ASMSTART
	v_med3_f32 v6, v6, v36, v37
v_med3_f32 v0, v0, v36, v37
v_cvt_pk_fp8_f32 v1, v6, v0
	;;#ASMEND
	v_cvt_f32_f16_e32 v9, v24
	v_perm_b32 v0, v1, v15, 0x5040100
	v_cvt_f32_f16_e32 v11, v26
	v_cvt_f32_f16_e32 v12, v21
	v_mul_f32_e32 v5, v19, v7
	v_mul_f32_e32 v6, v19, v13
	;; [unrolled: 1-line block ×4, first 2 shown]
	v_cvt_f32_f16_e32 v9, v18
	v_perm_b32 v0, v0, v1, 0x1060504
	;;#ASMSTART
	v_med3_f32 v5, v5, v36, v37
v_med3_f32 v6, v6, v36, v37
v_cvt_pk_fp8_f32 v1, v5, v6
	;;#ASMEND
	;;#ASMSTART
	v_med3_f32 v7, v7, v36, v37
v_med3_f32 v8, v8, v36, v37
v_cvt_pk_fp8_f32 v5, v7, v8
	;;#ASMEND
	v_perm_b32 v1, v1, v5, 0x1000504
	v_mul_f32_e32 v5, v19, v10
	v_mul_f32_e32 v6, v19, v11
	;; [unrolled: 1-line block ×4, first 2 shown]
	;;#ASMSTART
	v_med3_f32 v5, v5, v36, v37
v_med3_f32 v6, v6, v36, v37
v_cvt_pk_fp8_f32 v10, v5, v6
	;;#ASMEND
	v_mul_f32_e32 v3, v19, v3
	v_mul_f32_e32 v8, v19, v14
	;;#ASMSTART
	v_med3_f32 v2, v2, v36, v37
v_med3_f32 v7, v7, v36, v37
v_cvt_pk_fp8_f32 v5, v2, v7
	;;#ASMEND
	v_mul_f32_e32 v4, v19, v4
	v_mul_f32_e32 v9, v19, v9
	v_perm_b32 v2, v10, v5, 0x1000504
	;;#ASMSTART
	v_med3_f32 v3, v3, v36, v37
v_med3_f32 v8, v8, v36, v37
v_cvt_pk_fp8_f32 v5, v3, v8
	;;#ASMEND
	;;#ASMSTART
	v_med3_f32 v4, v4, v36, v37
v_med3_f32 v9, v9, v36, v37
v_cvt_pk_fp8_f32 v3, v4, v9
	;;#ASMEND
	v_perm_b32 v3, v5, v3, 0x1000504
	buffer_store_b128 v[0:3], v17, s[4:7], 16 offen
	;;#ASMSTART
	s_nop 0
	;;#ASMEND
.LBB54_11:
	s_nop 0
	s_sendmsg sendmsg(MSG_DEALLOC_VGPRS)
	s_endpgm
	.section	.rodata,"a",@progbits
	.p2align	6, 0x0
	.amdhsa_kernel _ZN5aiter37dynamic_per_group_scaled_quant_kernelIDF16_DB8_Li32ELi64ELb1ELi64ELb1EEEvPT0_PfPKT_PKfliilPKii
		.amdhsa_group_segment_fixed_size 0
		.amdhsa_private_segment_fixed_size 0
		.amdhsa_kernarg_size 68
		.amdhsa_user_sgpr_count 15
		.amdhsa_user_sgpr_dispatch_ptr 0
		.amdhsa_user_sgpr_queue_ptr 0
		.amdhsa_user_sgpr_kernarg_segment_ptr 1
		.amdhsa_user_sgpr_dispatch_id 0
		.amdhsa_user_sgpr_private_segment_size 0
		.amdhsa_wavefront_size32 1
		.amdhsa_uses_dynamic_stack 0
		.amdhsa_enable_private_segment 0
		.amdhsa_system_sgpr_workgroup_id_x 1
		.amdhsa_system_sgpr_workgroup_id_y 0
		.amdhsa_system_sgpr_workgroup_id_z 0
		.amdhsa_system_sgpr_workgroup_info 0
		.amdhsa_system_vgpr_workitem_id 0
		.amdhsa_next_free_vgpr 43
		.amdhsa_next_free_sgpr 16
		.amdhsa_reserve_vcc 1
		.amdhsa_float_round_mode_32 0
		.amdhsa_float_round_mode_16_64 0
		.amdhsa_float_denorm_mode_32 3
		.amdhsa_float_denorm_mode_16_64 3
		.amdhsa_dx10_clamp 1
		.amdhsa_ieee_mode 1
		.amdhsa_fp16_overflow 0
		.amdhsa_workgroup_processor_mode 1
		.amdhsa_memory_ordered 1
		.amdhsa_forward_progress 0
		.amdhsa_shared_vgpr_count 0
		.amdhsa_exception_fp_ieee_invalid_op 0
		.amdhsa_exception_fp_denorm_src 0
		.amdhsa_exception_fp_ieee_div_zero 0
		.amdhsa_exception_fp_ieee_overflow 0
		.amdhsa_exception_fp_ieee_underflow 0
		.amdhsa_exception_fp_ieee_inexact 0
		.amdhsa_exception_int_div_zero 0
	.end_amdhsa_kernel
	.section	.text._ZN5aiter37dynamic_per_group_scaled_quant_kernelIDF16_DB8_Li32ELi64ELb1ELi64ELb1EEEvPT0_PfPKT_PKfliilPKii,"axG",@progbits,_ZN5aiter37dynamic_per_group_scaled_quant_kernelIDF16_DB8_Li32ELi64ELb1ELi64ELb1EEEvPT0_PfPKT_PKfliilPKii,comdat
.Lfunc_end54:
	.size	_ZN5aiter37dynamic_per_group_scaled_quant_kernelIDF16_DB8_Li32ELi64ELb1ELi64ELb1EEEvPT0_PfPKT_PKfliilPKii, .Lfunc_end54-_ZN5aiter37dynamic_per_group_scaled_quant_kernelIDF16_DB8_Li32ELi64ELb1ELi64ELb1EEEvPT0_PfPKT_PKfliilPKii
                                        ; -- End function
	.section	.AMDGPU.csdata,"",@progbits
; Kernel info:
; codeLenInByte = 3748
; NumSgprs: 18
; NumVgprs: 43
; ScratchSize: 0
; MemoryBound: 0
; FloatMode: 240
; IeeeMode: 1
; LDSByteSize: 0 bytes/workgroup (compile time only)
; SGPRBlocks: 2
; VGPRBlocks: 5
; NumSGPRsForWavesPerEU: 18
; NumVGPRsForWavesPerEU: 43
; Occupancy: 16
; WaveLimiterHint : 0
; COMPUTE_PGM_RSRC2:SCRATCH_EN: 0
; COMPUTE_PGM_RSRC2:USER_SGPR: 15
; COMPUTE_PGM_RSRC2:TRAP_HANDLER: 0
; COMPUTE_PGM_RSRC2:TGID_X_EN: 1
; COMPUTE_PGM_RSRC2:TGID_Y_EN: 0
; COMPUTE_PGM_RSRC2:TGID_Z_EN: 0
; COMPUTE_PGM_RSRC2:TIDIG_COMP_CNT: 0
	.section	.text._ZN5aiter37dynamic_per_group_scaled_quant_kernelItDB8_Li32ELi64ELb1ELi64ELb1EEEvPT0_PfPKT_PKfliilPKii,"axG",@progbits,_ZN5aiter37dynamic_per_group_scaled_quant_kernelItDB8_Li32ELi64ELb1ELi64ELb1EEEvPT0_PfPKT_PKfliilPKii,comdat
	.protected	_ZN5aiter37dynamic_per_group_scaled_quant_kernelItDB8_Li32ELi64ELb1ELi64ELb1EEEvPT0_PfPKT_PKfliilPKii ; -- Begin function _ZN5aiter37dynamic_per_group_scaled_quant_kernelItDB8_Li32ELi64ELb1ELi64ELb1EEEvPT0_PfPKT_PKfliilPKii
	.globl	_ZN5aiter37dynamic_per_group_scaled_quant_kernelItDB8_Li32ELi64ELb1ELi64ELb1EEEvPT0_PfPKT_PKfliilPKii
	.p2align	8
	.type	_ZN5aiter37dynamic_per_group_scaled_quant_kernelItDB8_Li32ELi64ELb1ELi64ELb1EEEvPT0_PfPKT_PKfliilPKii,@function
_ZN5aiter37dynamic_per_group_scaled_quant_kernelItDB8_Li32ELi64ELb1ELi64ELb1EEEvPT0_PfPKT_PKfliilPKii: ; @_ZN5aiter37dynamic_per_group_scaled_quant_kernelItDB8_Li32ELi64ELb1ELi64ELb1EEEvPT0_PfPKT_PKfliilPKii
; %bb.0:
	s_load_b64 s[2:3], s[0:1], 0x38
	s_mov_b32 s6, s15
	s_waitcnt lgkmcnt(0)
	s_cmp_eq_u64 s[2:3], 0
	s_cbranch_scc1 .LBB55_2
; %bb.1:
	s_load_b32 s4, s[0:1], 0x40
	s_load_b32 s2, s[2:3], 0x0
	s_waitcnt lgkmcnt(0)
	s_mul_hi_i32 s5, s2, s4
	s_mul_i32 s4, s2, s4
	s_branch .LBB55_3
.LBB55_2:
	s_load_b64 s[4:5], s[0:1], 0x20
.LBB55_3:
	s_load_b64 s[2:3], s[0:1], 0x28
	s_mov_b32 s7, 0
	v_mov_b32_e32 v3, 0
	s_lshl_b64 s[6:7], s[6:7], 6
	s_delay_alu instid0(SALU_CYCLE_1) | instskip(SKIP_1) | instid1(VALU_DEP_1)
	v_or_b32_e32 v5, s6, v0
	v_mov_b32_e32 v6, s7
	v_lshrrev_b64 v[1:2], 1, v[5:6]
	s_waitcnt lgkmcnt(0)
	s_ashr_i32 s8, s2, 31
	s_delay_alu instid0(SALU_CYCLE_1) | instskip(NEXT) | instid1(SALU_CYCLE_1)
	s_lshr_b32 s8, s8, 26
	s_add_i32 s2, s2, s8
	s_delay_alu instid0(SALU_CYCLE_1) | instskip(NEXT) | instid1(SALU_CYCLE_1)
	s_ashr_i32 s11, s2, 6
	s_add_i32 s10, s11, 7
	s_delay_alu instid0(SALU_CYCLE_1) | instskip(NEXT) | instid1(SALU_CYCLE_1)
	s_lshr_b32 s2, s10, 29
	s_add_i32 s10, s10, s2
	s_delay_alu instid0(SALU_CYCLE_1) | instskip(NEXT) | instid1(SALU_CYCLE_1)
	s_and_b32 s12, s10, -8
	s_ashr_i32 s2, s12, 31
	s_delay_alu instid0(SALU_CYCLE_1) | instskip(NEXT) | instid1(VALU_DEP_1)
	v_or_b32_e32 v4, s2, v2
	v_cmp_ne_u64_e32 vcc_lo, 0, v[3:4]
                                        ; implicit-def: $vgpr3_vgpr4
	s_and_saveexec_b32 s6, vcc_lo
	s_delay_alu instid0(SALU_CYCLE_1)
	s_xor_b32 s13, exec_lo, s6
	s_cbranch_execz .LBB55_5
; %bb.4:
	s_add_u32 s8, s12, s2
	s_mov_b32 s6, s2
	s_mov_b32 s7, s2
	s_addc_u32 s9, s2, s2
	s_delay_alu instid0(SALU_CYCLE_1) | instskip(NEXT) | instid1(SALU_CYCLE_1)
	s_xor_b64 s[8:9], s[8:9], s[6:7]
	v_cvt_f32_u32_e32 v3, s8
	v_cvt_f32_u32_e32 v4, s9
	s_sub_u32 s2, 0, s8
	s_subb_u32 s14, 0, s9
	s_delay_alu instid0(VALU_DEP_1) | instskip(NEXT) | instid1(VALU_DEP_1)
	v_fmamk_f32 v3, v4, 0x4f800000, v3
	v_rcp_f32_e32 v3, v3
	s_waitcnt_depctr 0xfff
	v_mul_f32_e32 v3, 0x5f7ffffc, v3
	s_delay_alu instid0(VALU_DEP_1) | instskip(NEXT) | instid1(VALU_DEP_1)
	v_mul_f32_e32 v4, 0x2f800000, v3
	v_trunc_f32_e32 v4, v4
	s_delay_alu instid0(VALU_DEP_1) | instskip(SKIP_1) | instid1(VALU_DEP_2)
	v_fmamk_f32 v3, v4, 0xcf800000, v3
	v_cvt_u32_f32_e32 v4, v4
	v_cvt_u32_f32_e32 v3, v3
	s_delay_alu instid0(VALU_DEP_2) | instskip(NEXT) | instid1(VALU_DEP_2)
	v_mul_lo_u32 v5, s2, v4
	v_mul_hi_u32 v6, s2, v3
	v_mul_lo_u32 v7, s14, v3
	s_delay_alu instid0(VALU_DEP_2) | instskip(SKIP_1) | instid1(VALU_DEP_2)
	v_add_nc_u32_e32 v5, v6, v5
	v_mul_lo_u32 v6, s2, v3
	v_add_nc_u32_e32 v5, v5, v7
	s_delay_alu instid0(VALU_DEP_2) | instskip(NEXT) | instid1(VALU_DEP_2)
	v_mul_hi_u32 v7, v3, v6
	v_mul_lo_u32 v8, v3, v5
	v_mul_hi_u32 v9, v3, v5
	v_mul_hi_u32 v10, v4, v6
	v_mul_lo_u32 v6, v4, v6
	v_mul_hi_u32 v11, v4, v5
	v_mul_lo_u32 v5, v4, v5
	v_add_co_u32 v7, vcc_lo, v7, v8
	v_add_co_ci_u32_e32 v8, vcc_lo, 0, v9, vcc_lo
	s_delay_alu instid0(VALU_DEP_2) | instskip(NEXT) | instid1(VALU_DEP_2)
	v_add_co_u32 v6, vcc_lo, v7, v6
	v_add_co_ci_u32_e32 v6, vcc_lo, v8, v10, vcc_lo
	v_add_co_ci_u32_e32 v7, vcc_lo, 0, v11, vcc_lo
	s_delay_alu instid0(VALU_DEP_2) | instskip(NEXT) | instid1(VALU_DEP_2)
	v_add_co_u32 v5, vcc_lo, v6, v5
	v_add_co_ci_u32_e32 v6, vcc_lo, 0, v7, vcc_lo
	s_delay_alu instid0(VALU_DEP_2) | instskip(NEXT) | instid1(VALU_DEP_2)
	v_add_co_u32 v3, vcc_lo, v3, v5
	v_add_co_ci_u32_e32 v4, vcc_lo, v4, v6, vcc_lo
	s_delay_alu instid0(VALU_DEP_2) | instskip(SKIP_1) | instid1(VALU_DEP_3)
	v_mul_hi_u32 v5, s2, v3
	v_mul_lo_u32 v7, s14, v3
	v_mul_lo_u32 v6, s2, v4
	s_delay_alu instid0(VALU_DEP_1) | instskip(SKIP_1) | instid1(VALU_DEP_2)
	v_add_nc_u32_e32 v5, v5, v6
	v_mul_lo_u32 v6, s2, v3
	v_add_nc_u32_e32 v5, v5, v7
	s_delay_alu instid0(VALU_DEP_2) | instskip(NEXT) | instid1(VALU_DEP_2)
	v_mul_hi_u32 v7, v3, v6
	v_mul_lo_u32 v8, v3, v5
	v_mul_hi_u32 v9, v3, v5
	v_mul_hi_u32 v10, v4, v6
	v_mul_lo_u32 v6, v4, v6
	v_mul_hi_u32 v11, v4, v5
	v_mul_lo_u32 v5, v4, v5
	v_add_co_u32 v7, vcc_lo, v7, v8
	v_add_co_ci_u32_e32 v8, vcc_lo, 0, v9, vcc_lo
	s_delay_alu instid0(VALU_DEP_2) | instskip(NEXT) | instid1(VALU_DEP_2)
	v_add_co_u32 v6, vcc_lo, v7, v6
	v_add_co_ci_u32_e32 v6, vcc_lo, v8, v10, vcc_lo
	v_add_co_ci_u32_e32 v7, vcc_lo, 0, v11, vcc_lo
	s_delay_alu instid0(VALU_DEP_2) | instskip(NEXT) | instid1(VALU_DEP_2)
	v_add_co_u32 v5, vcc_lo, v6, v5
	v_add_co_ci_u32_e32 v6, vcc_lo, 0, v7, vcc_lo
	s_delay_alu instid0(VALU_DEP_2) | instskip(NEXT) | instid1(VALU_DEP_2)
	v_add_co_u32 v7, vcc_lo, v3, v5
	v_add_co_ci_u32_e32 v9, vcc_lo, v4, v6, vcc_lo
	s_delay_alu instid0(VALU_DEP_2) | instskip(SKIP_1) | instid1(VALU_DEP_3)
	v_mul_hi_u32 v10, v1, v7
	v_mad_u64_u32 v[5:6], null, v2, v7, 0
	v_mad_u64_u32 v[3:4], null, v1, v9, 0
	;; [unrolled: 1-line block ×3, first 2 shown]
	s_delay_alu instid0(VALU_DEP_2) | instskip(NEXT) | instid1(VALU_DEP_3)
	v_add_co_u32 v3, vcc_lo, v10, v3
	v_add_co_ci_u32_e32 v4, vcc_lo, 0, v4, vcc_lo
	s_delay_alu instid0(VALU_DEP_2) | instskip(NEXT) | instid1(VALU_DEP_2)
	v_add_co_u32 v3, vcc_lo, v3, v5
	v_add_co_ci_u32_e32 v3, vcc_lo, v4, v6, vcc_lo
	v_add_co_ci_u32_e32 v4, vcc_lo, 0, v8, vcc_lo
	s_delay_alu instid0(VALU_DEP_2) | instskip(NEXT) | instid1(VALU_DEP_2)
	v_add_co_u32 v5, vcc_lo, v3, v7
	v_add_co_ci_u32_e32 v6, vcc_lo, 0, v4, vcc_lo
	s_delay_alu instid0(VALU_DEP_2) | instskip(SKIP_1) | instid1(VALU_DEP_3)
	v_mul_lo_u32 v7, s9, v5
	v_mad_u64_u32 v[3:4], null, s8, v5, 0
	v_mul_lo_u32 v8, s8, v6
	s_delay_alu instid0(VALU_DEP_2) | instskip(NEXT) | instid1(VALU_DEP_2)
	v_sub_co_u32 v3, vcc_lo, v1, v3
	v_add3_u32 v4, v4, v8, v7
	s_delay_alu instid0(VALU_DEP_1) | instskip(NEXT) | instid1(VALU_DEP_1)
	v_sub_nc_u32_e32 v7, v2, v4
	v_subrev_co_ci_u32_e64 v7, s2, s9, v7, vcc_lo
	v_add_co_u32 v8, s2, v5, 2
	s_delay_alu instid0(VALU_DEP_1) | instskip(SKIP_3) | instid1(VALU_DEP_3)
	v_add_co_ci_u32_e64 v9, s2, 0, v6, s2
	v_sub_co_u32 v10, s2, v3, s8
	v_sub_co_ci_u32_e32 v2, vcc_lo, v2, v4, vcc_lo
	v_subrev_co_ci_u32_e64 v7, s2, 0, v7, s2
	v_cmp_le_u32_e32 vcc_lo, s8, v10
	s_delay_alu instid0(VALU_DEP_3) | instskip(SKIP_1) | instid1(VALU_DEP_4)
	v_cmp_eq_u32_e64 s2, s9, v2
	v_cndmask_b32_e64 v4, 0, -1, vcc_lo
	v_cmp_le_u32_e32 vcc_lo, s9, v7
	v_cndmask_b32_e64 v10, 0, -1, vcc_lo
	v_cmp_le_u32_e32 vcc_lo, s8, v3
	;; [unrolled: 2-line block ×3, first 2 shown]
	v_cndmask_b32_e64 v11, 0, -1, vcc_lo
	v_cmp_eq_u32_e32 vcc_lo, s9, v7
	s_delay_alu instid0(VALU_DEP_2) | instskip(SKIP_3) | instid1(VALU_DEP_3)
	v_cndmask_b32_e64 v2, v11, v3, s2
	v_cndmask_b32_e32 v4, v10, v4, vcc_lo
	v_add_co_u32 v7, vcc_lo, v5, 1
	v_add_co_ci_u32_e32 v10, vcc_lo, 0, v6, vcc_lo
	v_cmp_ne_u32_e32 vcc_lo, 0, v4
	s_delay_alu instid0(VALU_DEP_2) | instskip(SKIP_1) | instid1(VALU_DEP_2)
	v_dual_cndmask_b32 v3, v10, v9 :: v_dual_cndmask_b32 v4, v7, v8
	v_cmp_ne_u32_e32 vcc_lo, 0, v2
	v_dual_cndmask_b32 v2, v6, v3 :: v_dual_cndmask_b32 v3, v5, v4
                                        ; implicit-def: $vgpr5_vgpr6
	s_delay_alu instid0(VALU_DEP_1) | instskip(NEXT) | instid1(VALU_DEP_2)
	v_xor_b32_e32 v2, s7, v2
	v_xor_b32_e32 v3, s6, v3
	s_delay_alu instid0(VALU_DEP_1) | instskip(NEXT) | instid1(VALU_DEP_3)
	v_sub_co_u32 v3, vcc_lo, v3, s6
	v_subrev_co_ci_u32_e32 v4, vcc_lo, s7, v2, vcc_lo
.LBB55_5:
	s_and_not1_saveexec_b32 s2, s13
	s_cbranch_execz .LBB55_7
; %bb.6:
	v_cvt_f32_u32_e32 v2, s12
	s_sub_i32 s6, 0, s12
	v_alignbit_b32 v4, v6, v5, 1
	s_delay_alu instid0(VALU_DEP_2) | instskip(SKIP_2) | instid1(VALU_DEP_1)
	v_rcp_iflag_f32_e32 v2, v2
	s_waitcnt_depctr 0xfff
	v_mul_f32_e32 v2, 0x4f7ffffe, v2
	v_cvt_u32_f32_e32 v2, v2
	s_delay_alu instid0(VALU_DEP_1) | instskip(NEXT) | instid1(VALU_DEP_1)
	v_mul_lo_u32 v3, s6, v2
	v_mul_hi_u32 v3, v2, v3
	s_delay_alu instid0(VALU_DEP_1) | instskip(NEXT) | instid1(VALU_DEP_1)
	v_add_nc_u32_e32 v2, v2, v3
	v_mul_hi_u32 v2, v4, v2
	s_delay_alu instid0(VALU_DEP_1) | instskip(NEXT) | instid1(VALU_DEP_1)
	v_mul_lo_u32 v3, v2, s12
	v_sub_nc_u32_e32 v3, v4, v3
	v_add_nc_u32_e32 v4, 1, v2
	s_delay_alu instid0(VALU_DEP_2) | instskip(SKIP_1) | instid1(VALU_DEP_2)
	v_subrev_nc_u32_e32 v5, s12, v3
	v_cmp_le_u32_e32 vcc_lo, s12, v3
	v_dual_cndmask_b32 v3, v3, v5 :: v_dual_cndmask_b32 v2, v2, v4
	s_delay_alu instid0(VALU_DEP_1) | instskip(NEXT) | instid1(VALU_DEP_2)
	v_cmp_le_u32_e32 vcc_lo, s12, v3
	v_add_nc_u32_e32 v4, 1, v2
	s_delay_alu instid0(VALU_DEP_1)
	v_dual_cndmask_b32 v3, v2, v4 :: v_dual_mov_b32 v4, 0
.LBB55_7:
	s_or_b32 exec_lo, exec_lo, s2
	s_delay_alu instid0(VALU_DEP_1) | instskip(NEXT) | instid1(VALU_DEP_2)
	v_mad_u64_u32 v[5:6], null, v3, s12, 0
	v_cmp_gt_i64_e32 vcc_lo, s[4:5], v[3:4]
	s_delay_alu instid0(VALU_DEP_2) | instskip(NEXT) | instid1(VALU_DEP_1)
	v_sub_co_u32 v2, null, v1, v5
	v_cmp_gt_i32_e64 s2, s11, v2
	s_delay_alu instid0(VALU_DEP_1) | instskip(NEXT) | instid1(SALU_CYCLE_1)
	s_and_b32 s2, vcc_lo, s2
	s_and_saveexec_b32 s4, s2
	s_cbranch_execz .LBB55_11
; %bb.8:
	s_ashr_i32 s2, s3, 31
	s_load_b64 s[4:5], s[0:1], 0x10
	v_mul_lo_u32 v4, v4, s3
	v_mad_u64_u32 v[6:7], null, v3, s3, 0
	v_mul_lo_u32 v5, v3, s2
	v_and_b32_e32 v41, 1, v0
	s_delay_alu instid0(VALU_DEP_2) | instskip(SKIP_1) | instid1(VALU_DEP_2)
	v_add3_u32 v7, v7, v5, v4
	v_dual_mov_b32 v5, 0 :: v_dual_lshlrev_b32 v4, 6, v2
	v_lshlrev_b64 v[6:7], 1, v[6:7]
	s_delay_alu instid0(VALU_DEP_2) | instskip(SKIP_1) | instid1(VALU_DEP_2)
	v_lshlrev_b64 v[8:9], 1, v[4:5]
	s_waitcnt lgkmcnt(0)
	v_add_co_u32 v5, vcc_lo, s4, v6
	s_delay_alu instid0(VALU_DEP_3) | instskip(SKIP_1) | instid1(VALU_DEP_3)
	v_add_co_ci_u32_e32 v6, vcc_lo, s5, v7, vcc_lo
	v_lshlrev_b32_e32 v7, 6, v41
	v_add_co_u32 v5, vcc_lo, v5, v8
	s_delay_alu instid0(VALU_DEP_3) | instskip(SKIP_1) | instid1(VALU_DEP_2)
	v_add_co_ci_u32_e32 v6, vcc_lo, v6, v9, vcc_lo
	s_load_b64 s[4:5], s[0:1], 0x0
	v_add_co_u32 v18, vcc_lo, v5, v7
	s_delay_alu instid0(VALU_DEP_2)
	v_add_co_ci_u32_e32 v19, vcc_lo, 0, v6, vcc_lo
	s_clause 0x3
	global_load_b128 v[5:8], v[18:19], off
	global_load_b128 v[9:12], v[18:19], off offset:16
	global_load_b128 v[14:17], v[18:19], off offset:32
	global_load_b128 v[37:40], v[18:19], off offset:48
	s_waitcnt vmcnt(3)
	v_and_b32_e32 v13, 0xffff, v5
	v_lshrrev_b32_e32 v5, 16, v5
	v_and_b32_e32 v18, 0xffff, v6
	v_lshrrev_b32_e32 v6, 16, v6
	s_waitcnt vmcnt(0)
	v_lshrrev_b32_e32 v20, 16, v38
	v_cvt_f32_u32_e32 v35, v13
	v_cvt_f32_u32_e32 v36, v5
	v_and_b32_e32 v5, 0xffff, v7
	v_lshrrev_b32_e32 v7, 16, v7
	v_cvt_f32_u32_e32 v33, v18
	v_cvt_f32_u32_e32 v34, v6
	v_max3_f32 v6, v35, 0x2edbe6ff, v36
	v_and_b32_e32 v13, 0xffff, v8
	v_lshrrev_b32_e32 v8, 16, v8
	v_cvt_f32_u32_e32 v29, v5
	v_cvt_f32_u32_e32 v30, v7
	v_max3_f32 v5, v6, v33, v34
	;; [unrolled: 5-line block ×11, first 2 shown]
	v_and_b32_e32 v8, 0xffff, v38
	v_cvt_f32_u32_e32 v17, v6
	v_cvt_f32_u32_e32 v18, v7
	v_and_b32_e32 v6, 0xffff, v39
	v_max3_f32 v5, v5, v11, v12
	v_lshrrev_b32_e32 v37, 16, v39
	v_cvt_f32_u32_e32 v19, v8
	v_cvt_f32_u32_e32 v20, v20
	v_and_b32_e32 v38, 0xffff, v40
	v_max3_f32 v5, v5, v17, v18
	v_lshrrev_b32_e32 v39, 16, v40
	v_cvt_f32_u32_e32 v7, v6
	v_cvt_f32_u32_e32 v8, v37
	s_delay_alu instid0(VALU_DEP_4) | instskip(SKIP_2) | instid1(VALU_DEP_3)
	v_max3_f32 v37, v5, v19, v20
	v_cvt_f32_u32_e32 v5, v38
	v_cvt_f32_u32_e32 v6, v39
	v_max3_f32 v37, v37, v7, v8
	s_delay_alu instid0(VALU_DEP_1) | instskip(NEXT) | instid1(VALU_DEP_1)
	v_max3_f32 v37, v37, v5, v6
	v_mov_b32_dpp v38, v37 quad_perm:[1,0,3,2] row_mask:0xf bank_mask:0xf
	s_delay_alu instid0(VALU_DEP_1) | instskip(SKIP_1) | instid1(VALU_DEP_1)
	v_cmp_gt_f32_e32 vcc_lo, v37, v38
	v_cndmask_b32_e32 v37, v38, v37, vcc_lo
	v_mul_f32_e32 v37, 0x3b124925, v37
	s_delay_alu instid0(VALU_DEP_1) | instskip(SKIP_1) | instid1(VALU_DEP_2)
	v_bfe_u32 v38, v37, 23, 8
	v_and_b32_e32 v37, 0x7fffff, v37
	v_cmp_ne_u32_e32 vcc_lo, 0xff, v38
	s_delay_alu instid0(VALU_DEP_2) | instskip(NEXT) | instid1(VALU_DEP_1)
	v_cmp_ne_u32_e64 s2, 0, v37
	s_and_b32 vcc_lo, s2, vcc_lo
	s_mov_b32 s2, exec_lo
	v_add_co_ci_u32_e32 v37, vcc_lo, 0, v38, vcc_lo
	v_cmpx_eq_u32_e32 0, v41
	s_cbranch_execz .LBB55_10
; %bb.9:
	v_ashrrev_i32_e32 v38, 31, v3
	s_ashr_i32 s3, s10, 3
	s_load_b64 s[6:7], s[0:1], 0x8
	v_and_b32_e32 v4, 0xc0, v4
	s_delay_alu instid0(VALU_DEP_2) | instskip(SKIP_1) | instid1(VALU_DEP_2)
	v_lshrrev_b32_e32 v39, 27, v38
	v_lshrrev_b32_e32 v38, 28, v38
	v_add_nc_u32_e32 v39, v3, v39
	s_delay_alu instid0(VALU_DEP_2) | instskip(NEXT) | instid1(VALU_DEP_2)
	v_add_nc_u32_e32 v38, v3, v38
	v_and_b32_e32 v40, 0xffe0, v39
	s_delay_alu instid0(VALU_DEP_2) | instskip(SKIP_1) | instid1(VALU_DEP_3)
	v_and_b32_e32 v38, 0x3ffffff0, v38
	v_lshrrev_b32_e32 v39, 5, v39
	v_sub_nc_u32_e32 v40, v3, v40
	s_delay_alu instid0(VALU_DEP_3) | instskip(NEXT) | instid1(VALU_DEP_3)
	v_sub_nc_u32_e32 v3, v3, v38
	v_mul_lo_u32 v39, v39, s3
	s_delay_alu instid0(VALU_DEP_3) | instskip(NEXT) | instid1(VALU_DEP_3)
	v_bfe_i32 v41, v40, 0, 8
	v_lshlrev_b32_e32 v3, 2, v3
	s_delay_alu instid0(VALU_DEP_2) | instskip(NEXT) | instid1(VALU_DEP_1)
	v_lshrrev_b16 v41, 11, v41
	v_and_b32_e32 v41, 15, v41
	s_delay_alu instid0(VALU_DEP_1) | instskip(NEXT) | instid1(VALU_DEP_1)
	v_add_nc_u16 v40, v40, v41
	v_bfe_i32 v40, v40, 0, 8
	s_delay_alu instid0(VALU_DEP_1) | instskip(SKIP_2) | instid1(VALU_DEP_3)
	v_ashrrev_i16 v38, 4, v40
	v_lshrrev_b32_e32 v40, 3, v2
	v_lshrrev_b32_e32 v2, 1, v2
	v_bfe_i32 v38, v38, 0, 16
	s_delay_alu instid0(VALU_DEP_3) | instskip(NEXT) | instid1(VALU_DEP_3)
	v_add_lshl_u32 v39, v40, v39, 8
	v_and_b32_e32 v2, 2, v2
	s_delay_alu instid0(VALU_DEP_3) | instskip(NEXT) | instid1(VALU_DEP_1)
	v_add3_u32 v3, v4, v3, v38
	v_add3_u32 v2, v3, v39, v2
	s_delay_alu instid0(VALU_DEP_1) | instskip(SKIP_2) | instid1(VALU_DEP_2)
	v_ashrrev_i32_e32 v3, 31, v2
	s_waitcnt lgkmcnt(0)
	v_add_co_u32 v2, vcc_lo, s6, v2
	v_add_co_ci_u32_e32 v3, vcc_lo, s7, v3, vcc_lo
	global_store_b8 v[2:3], v37, off
.LBB55_10:
	s_or_b32 exec_lo, exec_lo, s2
	s_delay_alu instid0(VALU_DEP_2)
	v_lshlrev_b32_e32 v2, 23, v37
	v_lshlrev_b32_e32 v0, 5, v0
	s_load_b32 s6, s[0:1], 0x30
	s_waitcnt lgkmcnt(0)
	s_and_b32 s5, s5, 0xffff
	s_mov_b32 s7, -1
	v_div_scale_f32 v3, null, v2, v2, 1.0
	v_div_scale_f32 v38, vcc_lo, 1.0, v2, 1.0
	v_lshlrev_b32_e32 v1, 6, v1
	s_delay_alu instid0(VALU_DEP_3) | instskip(SKIP_2) | instid1(VALU_DEP_1)
	v_rcp_f32_e32 v4, v3
	s_waitcnt_depctr 0xfff
	v_fma_f32 v37, -v3, v4, 1.0
	v_fmac_f32_e32 v4, v37, v4
	s_delay_alu instid0(VALU_DEP_1) | instskip(NEXT) | instid1(VALU_DEP_1)
	v_mul_f32_e32 v37, v38, v4
	v_fma_f32 v39, -v3, v37, v38
	s_delay_alu instid0(VALU_DEP_1) | instskip(NEXT) | instid1(VALU_DEP_1)
	v_fmac_f32_e32 v37, v39, v4
	v_fma_f32 v3, -v3, v37, v38
	v_mov_b32_e32 v38, 0x43e00000
	s_delay_alu instid0(VALU_DEP_2) | instskip(SKIP_2) | instid1(VALU_DEP_3)
	v_div_fmas_f32 v3, v3, v4, v37
	v_mov_b32_e32 v37, 0xc3e00000
	v_and_or_b32 v39, v0, 32, v1
	v_div_fixup_f32 v4, v3, v2, 1.0
	s_delay_alu instid0(VALU_DEP_1)
	v_mul_f32_e32 v0, v4, v35
	v_mul_f32_e32 v1, v4, v36
	;; [unrolled: 1-line block ×4, first 2 shown]
	;;#ASMSTART
	v_med3_f32 v0, v0, v37, v38
v_med3_f32 v1, v1, v37, v38
v_cvt_pk_fp8_f32 v33, v0, v1
	;;#ASMEND
	v_mul_f32_e32 v29, v4, v29
	v_mul_f32_e32 v30, v4, v30
	;; [unrolled: 1-line block ×6, first 2 shown]
	;;#ASMSTART
	v_med3_f32 v2, v2, v37, v38
v_med3_f32 v3, v3, v37, v38
v_cvt_pk_fp8_f32 v0, v2, v3
	;;#ASMEND
	v_mul_f32_e32 v27, v4, v27
	v_mul_f32_e32 v28, v4, v28
	;; [unrolled: 1-line block ×4, first 2 shown]
	;;#ASMSTART
	v_med3_f32 v29, v29, v37, v38
v_med3_f32 v30, v30, v37, v38
v_cvt_pk_fp8_f32 v1, v29, v30
	;;#ASMEND
	;;#ASMSTART
	v_med3_f32 v31, v31, v37, v38
v_med3_f32 v32, v32, v37, v38
v_cvt_pk_fp8_f32 v2, v31, v32
	;;#ASMEND
	;; [unrolled: 5-line block ×5, first 2 shown]
	v_perm_b32 v21, v0, v33, 0x5040100
	v_mul_f32_e32 v23, v4, v23
	v_mul_f32_e32 v24, v4, v24
	;;#ASMSTART
	v_med3_f32 v23, v23, v37, v38
v_med3_f32 v24, v24, v37, v38
v_cvt_pk_fp8_f32 v22, v23, v24
	;;#ASMEND
	v_perm_b32 v1, v1, v2, 0x1000504
	v_perm_b32 v2, v3, v25, 0x1000504
	v_perm_b32 v3, v26, v22, 0x1000504
	v_perm_b32 v0, v21, v0, 0x1060504
	v_mul_f32_e32 v13, v4, v13
	v_mul_f32_e32 v14, v4, v14
	;; [unrolled: 1-line block ×4, first 2 shown]
	buffer_store_b128 v[0:3], v39, s[4:7], 0 offen
	;;#ASMSTART
	s_nop 0
	;;#ASMEND
	;;#ASMSTART
	v_med3_f32 v13, v13, v37, v38
v_med3_f32 v14, v14, v37, v38
v_cvt_pk_fp8_f32 v0, v13, v14
	;;#ASMEND
	v_mul_f32_e32 v9, v4, v9
	v_mul_f32_e32 v10, v4, v10
	;; [unrolled: 1-line block ×12, first 2 shown]
	;;#ASMSTART
	v_med3_f32 v15, v15, v37, v38
v_med3_f32 v16, v16, v37, v38
v_cvt_pk_fp8_f32 v6, v15, v16
	;;#ASMEND
	v_perm_b32 v0, v6, v0, 0x5040100
	;;#ASMSTART
	v_med3_f32 v9, v9, v37, v38
v_med3_f32 v10, v10, v37, v38
v_cvt_pk_fp8_f32 v1, v9, v10
	;;#ASMEND
	;;#ASMSTART
	v_med3_f32 v11, v11, v37, v38
v_med3_f32 v12, v12, v37, v38
v_cvt_pk_fp8_f32 v2, v11, v12
	;;#ASMEND
	;; [unrolled: 5-line block ×6, first 2 shown]
	v_perm_b32 v1, v1, v2, 0x1000504
	v_perm_b32 v2, v3, v9, 0x1000504
	;; [unrolled: 1-line block ×4, first 2 shown]
	buffer_store_b128 v[0:3], v39, s[4:7], 16 offen
	;;#ASMSTART
	s_nop 0
	;;#ASMEND
.LBB55_11:
	s_nop 0
	s_sendmsg sendmsg(MSG_DEALLOC_VGPRS)
	s_endpgm
	.section	.rodata,"a",@progbits
	.p2align	6, 0x0
	.amdhsa_kernel _ZN5aiter37dynamic_per_group_scaled_quant_kernelItDB8_Li32ELi64ELb1ELi64ELb1EEEvPT0_PfPKT_PKfliilPKii
		.amdhsa_group_segment_fixed_size 0
		.amdhsa_private_segment_fixed_size 0
		.amdhsa_kernarg_size 68
		.amdhsa_user_sgpr_count 15
		.amdhsa_user_sgpr_dispatch_ptr 0
		.amdhsa_user_sgpr_queue_ptr 0
		.amdhsa_user_sgpr_kernarg_segment_ptr 1
		.amdhsa_user_sgpr_dispatch_id 0
		.amdhsa_user_sgpr_private_segment_size 0
		.amdhsa_wavefront_size32 1
		.amdhsa_uses_dynamic_stack 0
		.amdhsa_enable_private_segment 0
		.amdhsa_system_sgpr_workgroup_id_x 1
		.amdhsa_system_sgpr_workgroup_id_y 0
		.amdhsa_system_sgpr_workgroup_id_z 0
		.amdhsa_system_sgpr_workgroup_info 0
		.amdhsa_system_vgpr_workitem_id 0
		.amdhsa_next_free_vgpr 42
		.amdhsa_next_free_sgpr 16
		.amdhsa_reserve_vcc 1
		.amdhsa_float_round_mode_32 0
		.amdhsa_float_round_mode_16_64 0
		.amdhsa_float_denorm_mode_32 3
		.amdhsa_float_denorm_mode_16_64 3
		.amdhsa_dx10_clamp 1
		.amdhsa_ieee_mode 1
		.amdhsa_fp16_overflow 0
		.amdhsa_workgroup_processor_mode 1
		.amdhsa_memory_ordered 1
		.amdhsa_forward_progress 0
		.amdhsa_shared_vgpr_count 0
		.amdhsa_exception_fp_ieee_invalid_op 0
		.amdhsa_exception_fp_denorm_src 0
		.amdhsa_exception_fp_ieee_div_zero 0
		.amdhsa_exception_fp_ieee_overflow 0
		.amdhsa_exception_fp_ieee_underflow 0
		.amdhsa_exception_fp_ieee_inexact 0
		.amdhsa_exception_int_div_zero 0
	.end_amdhsa_kernel
	.section	.text._ZN5aiter37dynamic_per_group_scaled_quant_kernelItDB8_Li32ELi64ELb1ELi64ELb1EEEvPT0_PfPKT_PKfliilPKii,"axG",@progbits,_ZN5aiter37dynamic_per_group_scaled_quant_kernelItDB8_Li32ELi64ELb1ELi64ELb1EEEvPT0_PfPKT_PKfliilPKii,comdat
.Lfunc_end55:
	.size	_ZN5aiter37dynamic_per_group_scaled_quant_kernelItDB8_Li32ELi64ELb1ELi64ELb1EEEvPT0_PfPKT_PKfliilPKii, .Lfunc_end55-_ZN5aiter37dynamic_per_group_scaled_quant_kernelItDB8_Li32ELi64ELb1ELi64ELb1EEEvPT0_PfPKT_PKfliilPKii
                                        ; -- End function
	.section	.AMDGPU.csdata,"",@progbits
; Kernel info:
; codeLenInByte = 3596
; NumSgprs: 18
; NumVgprs: 42
; ScratchSize: 0
; MemoryBound: 0
; FloatMode: 240
; IeeeMode: 1
; LDSByteSize: 0 bytes/workgroup (compile time only)
; SGPRBlocks: 2
; VGPRBlocks: 5
; NumSGPRsForWavesPerEU: 18
; NumVGPRsForWavesPerEU: 42
; Occupancy: 16
; WaveLimiterHint : 0
; COMPUTE_PGM_RSRC2:SCRATCH_EN: 0
; COMPUTE_PGM_RSRC2:USER_SGPR: 15
; COMPUTE_PGM_RSRC2:TRAP_HANDLER: 0
; COMPUTE_PGM_RSRC2:TGID_X_EN: 1
; COMPUTE_PGM_RSRC2:TGID_Y_EN: 0
; COMPUTE_PGM_RSRC2:TGID_Z_EN: 0
; COMPUTE_PGM_RSRC2:TIDIG_COMP_CNT: 0
	.section	.text._ZN5aiter37dynamic_per_group_scaled_quant_kernelIDF16_DB8_Li32ELi64ELb0ELi64ELb1EEEvPT0_PfPKT_PKfliilPKii,"axG",@progbits,_ZN5aiter37dynamic_per_group_scaled_quant_kernelIDF16_DB8_Li32ELi64ELb0ELi64ELb1EEEvPT0_PfPKT_PKfliilPKii,comdat
	.protected	_ZN5aiter37dynamic_per_group_scaled_quant_kernelIDF16_DB8_Li32ELi64ELb0ELi64ELb1EEEvPT0_PfPKT_PKfliilPKii ; -- Begin function _ZN5aiter37dynamic_per_group_scaled_quant_kernelIDF16_DB8_Li32ELi64ELb0ELi64ELb1EEEvPT0_PfPKT_PKfliilPKii
	.globl	_ZN5aiter37dynamic_per_group_scaled_quant_kernelIDF16_DB8_Li32ELi64ELb0ELi64ELb1EEEvPT0_PfPKT_PKfliilPKii
	.p2align	8
	.type	_ZN5aiter37dynamic_per_group_scaled_quant_kernelIDF16_DB8_Li32ELi64ELb0ELi64ELb1EEEvPT0_PfPKT_PKfliilPKii,@function
_ZN5aiter37dynamic_per_group_scaled_quant_kernelIDF16_DB8_Li32ELi64ELb0ELi64ELb1EEEvPT0_PfPKT_PKfliilPKii: ; @_ZN5aiter37dynamic_per_group_scaled_quant_kernelIDF16_DB8_Li32ELi64ELb0ELi64ELb1EEEvPT0_PfPKT_PKfliilPKii
; %bb.0:
	s_load_b64 s[2:3], s[0:1], 0x38
	s_mov_b32 s6, s15
	s_waitcnt lgkmcnt(0)
	s_cmp_eq_u64 s[2:3], 0
	s_cbranch_scc1 .LBB56_2
; %bb.1:
	s_load_b32 s4, s[0:1], 0x40
	s_load_b32 s2, s[2:3], 0x0
	s_waitcnt lgkmcnt(0)
	s_mul_hi_i32 s5, s2, s4
	s_mul_i32 s4, s2, s4
	s_branch .LBB56_3
.LBB56_2:
	s_load_b64 s[4:5], s[0:1], 0x20
.LBB56_3:
	s_load_b64 s[2:3], s[0:1], 0x28
	s_mov_b32 s7, 0
	v_mov_b32_e32 v1, 0
	s_lshl_b64 s[6:7], s[6:7], 6
	s_delay_alu instid0(SALU_CYCLE_1) | instskip(SKIP_1) | instid1(VALU_DEP_1)
	v_or_b32_e32 v3, s6, v0
	v_mov_b32_e32 v4, s7
	v_lshrrev_b64 v[17:18], 1, v[3:4]
	s_waitcnt lgkmcnt(0)
	s_ashr_i32 s6, s2, 31
	s_delay_alu instid0(SALU_CYCLE_1) | instskip(NEXT) | instid1(SALU_CYCLE_1)
	s_lshr_b32 s6, s6, 26
	s_add_i32 s2, s2, s6
	s_delay_alu instid0(SALU_CYCLE_1) | instskip(NEXT) | instid1(SALU_CYCLE_1)
	s_ashr_i32 s10, s2, 6
	s_ashr_i32 s2, s10, 31
	s_delay_alu instid0(SALU_CYCLE_1) | instskip(NEXT) | instid1(VALU_DEP_1)
	v_or_b32_e32 v2, s2, v18
	v_cmp_ne_u64_e32 vcc_lo, 0, v[1:2]
                                        ; implicit-def: $vgpr1_vgpr2
	s_and_saveexec_b32 s6, vcc_lo
	s_delay_alu instid0(SALU_CYCLE_1)
	s_xor_b32 s11, exec_lo, s6
	s_cbranch_execz .LBB56_5
; %bb.4:
	s_add_u32 s8, s10, s2
	s_mov_b32 s6, s2
	s_mov_b32 s7, s2
	s_addc_u32 s9, s2, s2
	s_delay_alu instid0(SALU_CYCLE_1) | instskip(NEXT) | instid1(SALU_CYCLE_1)
	s_xor_b64 s[8:9], s[8:9], s[6:7]
	v_cvt_f32_u32_e32 v1, s8
	v_cvt_f32_u32_e32 v2, s9
	s_sub_u32 s2, 0, s8
	s_subb_u32 s12, 0, s9
	s_delay_alu instid0(VALU_DEP_1) | instskip(NEXT) | instid1(VALU_DEP_1)
	v_fmamk_f32 v1, v2, 0x4f800000, v1
	v_rcp_f32_e32 v1, v1
	s_waitcnt_depctr 0xfff
	v_mul_f32_e32 v1, 0x5f7ffffc, v1
	s_delay_alu instid0(VALU_DEP_1) | instskip(NEXT) | instid1(VALU_DEP_1)
	v_mul_f32_e32 v2, 0x2f800000, v1
	v_trunc_f32_e32 v2, v2
	s_delay_alu instid0(VALU_DEP_1) | instskip(SKIP_1) | instid1(VALU_DEP_2)
	v_fmamk_f32 v1, v2, 0xcf800000, v1
	v_cvt_u32_f32_e32 v2, v2
	v_cvt_u32_f32_e32 v1, v1
	s_delay_alu instid0(VALU_DEP_2) | instskip(NEXT) | instid1(VALU_DEP_2)
	v_mul_lo_u32 v3, s2, v2
	v_mul_hi_u32 v4, s2, v1
	v_mul_lo_u32 v5, s12, v1
	s_delay_alu instid0(VALU_DEP_2) | instskip(SKIP_1) | instid1(VALU_DEP_2)
	v_add_nc_u32_e32 v3, v4, v3
	v_mul_lo_u32 v4, s2, v1
	v_add_nc_u32_e32 v3, v3, v5
	s_delay_alu instid0(VALU_DEP_2) | instskip(NEXT) | instid1(VALU_DEP_2)
	v_mul_hi_u32 v5, v1, v4
	v_mul_lo_u32 v6, v1, v3
	v_mul_hi_u32 v7, v1, v3
	v_mul_hi_u32 v8, v2, v4
	v_mul_lo_u32 v4, v2, v4
	v_mul_hi_u32 v9, v2, v3
	v_mul_lo_u32 v3, v2, v3
	v_add_co_u32 v5, vcc_lo, v5, v6
	v_add_co_ci_u32_e32 v6, vcc_lo, 0, v7, vcc_lo
	s_delay_alu instid0(VALU_DEP_2) | instskip(NEXT) | instid1(VALU_DEP_2)
	v_add_co_u32 v4, vcc_lo, v5, v4
	v_add_co_ci_u32_e32 v4, vcc_lo, v6, v8, vcc_lo
	v_add_co_ci_u32_e32 v5, vcc_lo, 0, v9, vcc_lo
	s_delay_alu instid0(VALU_DEP_2) | instskip(NEXT) | instid1(VALU_DEP_2)
	v_add_co_u32 v3, vcc_lo, v4, v3
	v_add_co_ci_u32_e32 v4, vcc_lo, 0, v5, vcc_lo
	s_delay_alu instid0(VALU_DEP_2) | instskip(NEXT) | instid1(VALU_DEP_2)
	v_add_co_u32 v1, vcc_lo, v1, v3
	v_add_co_ci_u32_e32 v2, vcc_lo, v2, v4, vcc_lo
	s_delay_alu instid0(VALU_DEP_2) | instskip(SKIP_1) | instid1(VALU_DEP_3)
	v_mul_hi_u32 v3, s2, v1
	v_mul_lo_u32 v5, s12, v1
	v_mul_lo_u32 v4, s2, v2
	s_delay_alu instid0(VALU_DEP_1) | instskip(SKIP_1) | instid1(VALU_DEP_2)
	v_add_nc_u32_e32 v3, v3, v4
	v_mul_lo_u32 v4, s2, v1
	v_add_nc_u32_e32 v3, v3, v5
	s_delay_alu instid0(VALU_DEP_2) | instskip(NEXT) | instid1(VALU_DEP_2)
	v_mul_hi_u32 v5, v1, v4
	v_mul_lo_u32 v6, v1, v3
	v_mul_hi_u32 v7, v1, v3
	v_mul_hi_u32 v8, v2, v4
	v_mul_lo_u32 v4, v2, v4
	v_mul_hi_u32 v9, v2, v3
	v_mul_lo_u32 v3, v2, v3
	v_add_co_u32 v5, vcc_lo, v5, v6
	v_add_co_ci_u32_e32 v6, vcc_lo, 0, v7, vcc_lo
	s_delay_alu instid0(VALU_DEP_2) | instskip(NEXT) | instid1(VALU_DEP_2)
	v_add_co_u32 v4, vcc_lo, v5, v4
	v_add_co_ci_u32_e32 v4, vcc_lo, v6, v8, vcc_lo
	v_add_co_ci_u32_e32 v5, vcc_lo, 0, v9, vcc_lo
	s_delay_alu instid0(VALU_DEP_2) | instskip(NEXT) | instid1(VALU_DEP_2)
	v_add_co_u32 v3, vcc_lo, v4, v3
	v_add_co_ci_u32_e32 v4, vcc_lo, 0, v5, vcc_lo
	s_delay_alu instid0(VALU_DEP_2) | instskip(NEXT) | instid1(VALU_DEP_2)
	v_add_co_u32 v5, vcc_lo, v1, v3
	v_add_co_ci_u32_e32 v7, vcc_lo, v2, v4, vcc_lo
	s_delay_alu instid0(VALU_DEP_2) | instskip(SKIP_1) | instid1(VALU_DEP_3)
	v_mul_hi_u32 v8, v17, v5
	v_mad_u64_u32 v[3:4], null, v18, v5, 0
	v_mad_u64_u32 v[1:2], null, v17, v7, 0
	;; [unrolled: 1-line block ×3, first 2 shown]
	s_delay_alu instid0(VALU_DEP_2) | instskip(NEXT) | instid1(VALU_DEP_3)
	v_add_co_u32 v1, vcc_lo, v8, v1
	v_add_co_ci_u32_e32 v2, vcc_lo, 0, v2, vcc_lo
	s_delay_alu instid0(VALU_DEP_2) | instskip(NEXT) | instid1(VALU_DEP_2)
	v_add_co_u32 v1, vcc_lo, v1, v3
	v_add_co_ci_u32_e32 v1, vcc_lo, v2, v4, vcc_lo
	v_add_co_ci_u32_e32 v2, vcc_lo, 0, v6, vcc_lo
	s_delay_alu instid0(VALU_DEP_2) | instskip(NEXT) | instid1(VALU_DEP_2)
	v_add_co_u32 v3, vcc_lo, v1, v5
	v_add_co_ci_u32_e32 v4, vcc_lo, 0, v2, vcc_lo
	s_delay_alu instid0(VALU_DEP_2) | instskip(SKIP_1) | instid1(VALU_DEP_3)
	v_mul_lo_u32 v5, s9, v3
	v_mad_u64_u32 v[1:2], null, s8, v3, 0
	v_mul_lo_u32 v6, s8, v4
	s_delay_alu instid0(VALU_DEP_2) | instskip(NEXT) | instid1(VALU_DEP_2)
	v_sub_co_u32 v1, vcc_lo, v17, v1
	v_add3_u32 v2, v2, v6, v5
	s_delay_alu instid0(VALU_DEP_1) | instskip(NEXT) | instid1(VALU_DEP_1)
	v_sub_nc_u32_e32 v5, v18, v2
	v_subrev_co_ci_u32_e64 v5, s2, s9, v5, vcc_lo
	v_add_co_u32 v6, s2, v3, 2
	s_delay_alu instid0(VALU_DEP_1) | instskip(SKIP_3) | instid1(VALU_DEP_3)
	v_add_co_ci_u32_e64 v7, s2, 0, v4, s2
	v_sub_co_u32 v8, s2, v1, s8
	v_sub_co_ci_u32_e32 v2, vcc_lo, v18, v2, vcc_lo
	v_subrev_co_ci_u32_e64 v5, s2, 0, v5, s2
	v_cmp_le_u32_e32 vcc_lo, s8, v8
	s_delay_alu instid0(VALU_DEP_3) | instskip(SKIP_1) | instid1(VALU_DEP_4)
	v_cmp_eq_u32_e64 s2, s9, v2
	v_cndmask_b32_e64 v8, 0, -1, vcc_lo
	v_cmp_le_u32_e32 vcc_lo, s9, v5
	v_cndmask_b32_e64 v9, 0, -1, vcc_lo
	v_cmp_le_u32_e32 vcc_lo, s8, v1
	;; [unrolled: 2-line block ×3, first 2 shown]
	v_cndmask_b32_e64 v10, 0, -1, vcc_lo
	v_cmp_eq_u32_e32 vcc_lo, s9, v5
	s_delay_alu instid0(VALU_DEP_2) | instskip(SKIP_3) | instid1(VALU_DEP_3)
	v_cndmask_b32_e64 v1, v10, v1, s2
	v_cndmask_b32_e32 v5, v9, v8, vcc_lo
	v_add_co_u32 v8, vcc_lo, v3, 1
	v_add_co_ci_u32_e32 v9, vcc_lo, 0, v4, vcc_lo
	v_cmp_ne_u32_e32 vcc_lo, 0, v5
	s_delay_alu instid0(VALU_DEP_2) | instskip(SKIP_1) | instid1(VALU_DEP_2)
	v_dual_cndmask_b32 v2, v9, v7 :: v_dual_cndmask_b32 v5, v8, v6
	v_cmp_ne_u32_e32 vcc_lo, 0, v1
	v_dual_cndmask_b32 v1, v4, v2 :: v_dual_cndmask_b32 v2, v3, v5
	s_delay_alu instid0(VALU_DEP_1) | instskip(NEXT) | instid1(VALU_DEP_2)
	v_xor_b32_e32 v3, s7, v1
	v_xor_b32_e32 v2, s6, v2
	s_delay_alu instid0(VALU_DEP_1) | instskip(NEXT) | instid1(VALU_DEP_3)
	v_sub_co_u32 v1, vcc_lo, v2, s6
	v_subrev_co_ci_u32_e32 v2, vcc_lo, s7, v3, vcc_lo
                                        ; implicit-def: $vgpr3_vgpr4
.LBB56_5:
	s_and_not1_saveexec_b32 s2, s11
	s_cbranch_execz .LBB56_7
; %bb.6:
	v_cvt_f32_u32_e32 v1, s10
	s_sub_i32 s6, 0, s10
	v_alignbit_b32 v3, v4, v3, 1
	s_delay_alu instid0(VALU_DEP_2) | instskip(SKIP_2) | instid1(VALU_DEP_1)
	v_rcp_iflag_f32_e32 v1, v1
	s_waitcnt_depctr 0xfff
	v_mul_f32_e32 v1, 0x4f7ffffe, v1
	v_cvt_u32_f32_e32 v1, v1
	s_delay_alu instid0(VALU_DEP_1) | instskip(NEXT) | instid1(VALU_DEP_1)
	v_mul_lo_u32 v2, s6, v1
	v_mul_hi_u32 v2, v1, v2
	s_delay_alu instid0(VALU_DEP_1) | instskip(NEXT) | instid1(VALU_DEP_1)
	v_add_nc_u32_e32 v1, v1, v2
	v_mul_hi_u32 v1, v3, v1
	s_delay_alu instid0(VALU_DEP_1) | instskip(NEXT) | instid1(VALU_DEP_1)
	v_mul_lo_u32 v2, v1, s10
	v_sub_nc_u32_e32 v2, v3, v2
	v_add_nc_u32_e32 v3, 1, v1
	s_delay_alu instid0(VALU_DEP_2) | instskip(SKIP_1) | instid1(VALU_DEP_2)
	v_subrev_nc_u32_e32 v4, s10, v2
	v_cmp_le_u32_e32 vcc_lo, s10, v2
	v_dual_cndmask_b32 v2, v2, v4 :: v_dual_cndmask_b32 v1, v1, v3
	s_delay_alu instid0(VALU_DEP_1) | instskip(NEXT) | instid1(VALU_DEP_2)
	v_cmp_le_u32_e32 vcc_lo, s10, v2
	v_dual_mov_b32 v2, 0 :: v_dual_add_nc_u32 v3, 1, v1
	s_delay_alu instid0(VALU_DEP_1)
	v_cndmask_b32_e32 v1, v1, v3, vcc_lo
.LBB56_7:
	s_or_b32 exec_lo, exec_lo, s2
	s_delay_alu instid0(VALU_DEP_1) | instskip(NEXT) | instid1(VALU_DEP_2)
	v_mad_u64_u32 v[3:4], null, v1, s10, 0
	v_cmp_gt_i64_e32 vcc_lo, s[4:5], v[1:2]
	s_delay_alu instid0(VALU_DEP_2) | instskip(NEXT) | instid1(VALU_DEP_1)
	v_sub_co_u32 v3, null, v17, v3
	v_cmp_gt_i32_e64 s2, s10, v3
	s_delay_alu instid0(VALU_DEP_1) | instskip(NEXT) | instid1(SALU_CYCLE_1)
	s_and_b32 s2, vcc_lo, s2
	s_and_saveexec_b32 s4, s2
	s_cbranch_execz .LBB56_11
; %bb.8:
	s_ashr_i32 s2, s3, 31
	s_load_b64 s[4:5], s[0:1], 0x10
	v_mul_lo_u32 v2, v2, s3
	v_mad_u64_u32 v[4:5], null, v1, s3, 0
	v_mul_lo_u32 v1, v1, s2
	v_and_b32_e32 v36, 1, v0
	s_delay_alu instid0(VALU_DEP_2) | instskip(SKIP_1) | instid1(VALU_DEP_2)
	v_add3_u32 v5, v5, v1, v2
	v_dual_mov_b32 v2, 0 :: v_dual_lshlrev_b32 v1, 6, v3
	v_lshlrev_b64 v[3:4], 1, v[4:5]
	s_delay_alu instid0(VALU_DEP_4) | instskip(NEXT) | instid1(VALU_DEP_3)
	v_lshlrev_b32_e32 v5, 6, v36
	v_lshlrev_b64 v[1:2], 1, v[1:2]
	s_waitcnt lgkmcnt(0)
	s_delay_alu instid0(VALU_DEP_3) | instskip(NEXT) | instid1(VALU_DEP_4)
	v_add_co_u32 v3, vcc_lo, s4, v3
	v_add_co_ci_u32_e32 v4, vcc_lo, s5, v4, vcc_lo
	s_load_b64 s[4:5], s[0:1], 0x0
	s_delay_alu instid0(VALU_DEP_2) | instskip(NEXT) | instid1(VALU_DEP_2)
	v_add_co_u32 v1, vcc_lo, v3, v1
	v_add_co_ci_u32_e32 v2, vcc_lo, v4, v2, vcc_lo
	s_delay_alu instid0(VALU_DEP_2) | instskip(NEXT) | instid1(VALU_DEP_2)
	v_add_co_u32 v1, vcc_lo, v1, v5
	v_add_co_ci_u32_e32 v2, vcc_lo, 0, v2, vcc_lo
	s_clause 0x3
	global_load_b128 v[9:12], v[1:2], off
	global_load_b128 v[13:16], v[1:2], off offset:16
	global_load_b128 v[5:8], v[1:2], off offset:32
	;; [unrolled: 1-line block ×3, first 2 shown]
	s_waitcnt vmcnt(3)
	v_lshrrev_b32_e32 v27, 16, v9
	v_cvt_f32_f16_e64 v19, |v9|
	v_lshrrev_b32_e32 v28, 16, v10
	v_cvt_f32_f16_e64 v21, |v10|
	;; [unrolled: 2-line block ×4, first 2 shown]
	s_waitcnt vmcnt(2)
	v_lshrrev_b32_e32 v31, 16, v13
	v_cvt_f32_f16_e64 v23, |v29|
	v_max3_f32 v19, v19, 0x2edbe6ff, v20
	v_cvt_f32_f16_e64 v20, |v11|
	v_lshrrev_b32_e32 v32, 16, v14
	v_lshrrev_b32_e32 v33, 16, v15
	;; [unrolled: 1-line block ×3, first 2 shown]
	v_max3_f32 v19, v19, v21, v22
	v_cvt_f32_f16_e64 v21, |v12|
	v_cvt_f32_f16_e64 v22, |v30|
	s_waitcnt vmcnt(1)
	v_lshrrev_b32_e32 v26, 16, v5
	v_cvt_f32_f16_e64 v24, |v34|
	v_max3_f32 v19, v19, v20, v23
	v_cvt_f32_f16_e64 v20, |v13|
	v_cvt_f32_f16_e64 v23, |v31|
	s_delay_alu instid0(VALU_DEP_3) | instskip(SKIP_2) | instid1(VALU_DEP_3)
	v_max3_f32 v19, v19, v21, v22
	v_cvt_f32_f16_e64 v21, |v14|
	v_cvt_f32_f16_e64 v22, |v32|
	v_max3_f32 v19, v19, v20, v23
	v_cvt_f32_f16_e64 v20, |v15|
	v_cvt_f32_f16_e64 v23, |v33|
	s_delay_alu instid0(VALU_DEP_3) | instskip(SKIP_2) | instid1(VALU_DEP_3)
	v_max3_f32 v19, v19, v21, v22
	v_cvt_f32_f16_e64 v22, |v16|
	v_lshrrev_b32_e32 v21, 16, v6
	v_max3_f32 v19, v19, v20, v23
	v_cvt_f32_f16_e64 v20, |v5|
	v_cvt_f32_f16_e64 v23, |v26|
	s_delay_alu instid0(VALU_DEP_4) | instskip(NEXT) | instid1(VALU_DEP_4)
	v_cvt_f32_f16_e64 v25, |v21|
	v_max3_f32 v19, v19, v22, v24
	v_cvt_f32_f16_e64 v24, |v6|
	v_lshrrev_b32_e32 v22, 16, v7
	s_delay_alu instid0(VALU_DEP_3) | instskip(SKIP_2) | instid1(VALU_DEP_4)
	v_max3_f32 v19, v19, v20, v23
	v_cvt_f32_f16_e64 v20, |v7|
	v_lshrrev_b32_e32 v23, 16, v8
	v_cvt_f32_f16_e64 v35, |v22|
	s_delay_alu instid0(VALU_DEP_4)
	v_max3_f32 v19, v19, v24, v25
	v_cvt_f32_f16_e64 v24, |v8|
	s_waitcnt vmcnt(0)
	v_lshrrev_b32_e32 v25, 16, v1
	v_cvt_f32_f16_e64 v37, |v23|
	v_max3_f32 v19, v19, v20, v35
	v_cvt_f32_f16_e64 v35, |v1|
	v_lshrrev_b32_e32 v20, 16, v2
	v_cvt_f32_f16_e64 v38, |v25|
	s_delay_alu instid0(VALU_DEP_4) | instskip(SKIP_3) | instid1(VALU_DEP_4)
	v_max3_f32 v19, v19, v24, v37
	v_cvt_f32_f16_e64 v37, |v2|
	v_lshrrev_b32_e32 v24, 16, v3
	v_cvt_f32_f16_e64 v39, |v20|
	v_max3_f32 v35, v19, v35, v38
	v_cvt_f32_f16_e64 v38, |v3|
	v_lshrrev_b32_e32 v19, 16, v4
	v_cvt_f32_f16_e64 v40, |v24|
	s_delay_alu instid0(VALU_DEP_4) | instskip(SKIP_1) | instid1(VALU_DEP_4)
	v_max3_f32 v35, v35, v37, v39
	v_cvt_f32_f16_e64 v37, |v4|
	v_cvt_f32_f16_e64 v39, |v19|
	s_delay_alu instid0(VALU_DEP_3) | instskip(NEXT) | instid1(VALU_DEP_1)
	v_max3_f32 v35, v35, v38, v40
	v_max3_f32 v35, v35, v37, v39
	s_delay_alu instid0(VALU_DEP_1) | instskip(NEXT) | instid1(VALU_DEP_1)
	v_mov_b32_dpp v37, v35 quad_perm:[1,0,3,2] row_mask:0xf bank_mask:0xf
	v_cmp_gt_f32_e32 vcc_lo, v35, v37
	v_cndmask_b32_e32 v35, v37, v35, vcc_lo
	s_delay_alu instid0(VALU_DEP_1) | instskip(NEXT) | instid1(VALU_DEP_1)
	v_mul_f32_e32 v35, 0x3b124925, v35
	v_bfe_u32 v37, v35, 23, 8
	v_and_b32_e32 v35, 0x7fffff, v35
	s_delay_alu instid0(VALU_DEP_2) | instskip(NEXT) | instid1(VALU_DEP_2)
	v_cmp_ne_u32_e32 vcc_lo, 0xff, v37
	v_cmp_ne_u32_e64 s2, 0, v35
	s_delay_alu instid0(VALU_DEP_1)
	s_and_b32 vcc_lo, s2, vcc_lo
	s_mov_b32 s2, exec_lo
	v_add_co_ci_u32_e32 v35, vcc_lo, 0, v37, vcc_lo
	v_cmpx_eq_u32_e32 0, v36
	s_cbranch_execz .LBB56_10
; %bb.9:
	s_load_b64 s[6:7], s[0:1], 0x8
	s_waitcnt lgkmcnt(0)
	v_add_co_u32 v36, vcc_lo, s6, v17
	v_add_co_ci_u32_e32 v37, vcc_lo, s7, v18, vcc_lo
	global_store_b8 v[36:37], v35, off
.LBB56_10:
	s_or_b32 exec_lo, exec_lo, s2
	s_delay_alu instid0(VALU_DEP_2)
	v_lshlrev_b32_e32 v18, 23, v35
	v_lshlrev_b32_e32 v0, 5, v0
	s_load_b32 s6, s[0:1], 0x30
	v_cvt_f32_f16_e32 v9, v9
	v_cvt_f32_f16_e32 v27, v27
	v_div_scale_f32 v35, null, v18, v18, 1.0
	v_div_scale_f32 v38, vcc_lo, 1.0, v18, 1.0
	v_cvt_f32_f16_e32 v10, v10
	s_delay_alu instid0(VALU_DEP_3)
	v_rcp_f32_e32 v36, v35
	v_cvt_f32_f16_e32 v28, v28
	v_cvt_f32_f16_e32 v29, v29
	;; [unrolled: 1-line block ×9, first 2 shown]
	v_fma_f32 v37, -v35, v36, 1.0
	v_lshlrev_b32_e32 v17, 6, v17
	v_cvt_f32_f16_e32 v13, v13
	v_cvt_f32_f16_e32 v14, v14
	;; [unrolled: 1-line block ×3, first 2 shown]
	v_fmac_f32_e32 v36, v37, v36
	v_cvt_f32_f16_e32 v16, v16
	v_cvt_f32_f16_e32 v5, v5
	v_cvt_f32_f16_e32 v26, v26
	v_cvt_f32_f16_e32 v6, v6
	v_mul_f32_e32 v37, v38, v36
	s_waitcnt lgkmcnt(0)
	s_and_b32 s5, s5, 0xffff
	s_mov_b32 s7, -1
	v_cvt_f32_f16_e32 v7, v7
	v_cvt_f32_f16_e32 v8, v8
	v_fma_f32 v39, -v35, v37, v38
	v_cvt_f32_f16_e32 v2, v2
	v_cvt_f32_f16_e32 v3, v3
	;; [unrolled: 1-line block ×3, first 2 shown]
	s_delay_alu instid0(VALU_DEP_4) | instskip(NEXT) | instid1(VALU_DEP_1)
	v_fmac_f32_e32 v37, v39, v36
	v_fma_f32 v35, -v35, v37, v38
	s_delay_alu instid0(VALU_DEP_1) | instskip(SKIP_3) | instid1(VALU_DEP_4)
	v_div_fmas_f32 v35, v35, v36, v37
	v_mov_b32_e32 v36, 0xc3e00000
	v_mov_b32_e32 v37, 0x43e00000
	v_and_or_b32 v17, v0, 32, v17
	v_div_fixup_f32 v18, v35, v18, 1.0
	s_delay_alu instid0(VALU_DEP_1)
	v_mul_f32_e32 v0, v18, v9
	v_mul_f32_e32 v9, v18, v27
	;; [unrolled: 1-line block ×10, first 2 shown]
	;;#ASMSTART
	v_med3_f32 v0, v0, v36, v37
v_med3_f32 v9, v9, v36, v37
v_cvt_pk_fp8_f32 v34, v0, v9
	;;#ASMEND
	v_mul_f32_e32 v11, v18, v11
	v_mul_f32_e32 v12, v18, v12
	;;#ASMSTART
	v_med3_f32 v10, v10, v36, v37
v_med3_f32 v27, v27, v36, v37
v_cvt_pk_fp8_f32 v0, v10, v27
	;;#ASMEND
	v_mul_f32_e32 v13, v18, v13
	v_mul_f32_e32 v14, v18, v14
	;;#ASMSTART
	v_med3_f32 v11, v11, v36, v37
v_med3_f32 v28, v28, v36, v37
v_cvt_pk_fp8_f32 v9, v11, v28
	;;#ASMEND
	;;#ASMSTART
	v_med3_f32 v12, v12, v36, v37
v_med3_f32 v29, v29, v36, v37
v_cvt_pk_fp8_f32 v10, v12, v29
	;;#ASMEND
	;; [unrolled: 5-line block ×4, first 2 shown]
	v_perm_b32 v14, v0, v34, 0x5040100
	v_mul_f32_e32 v15, v18, v15
	v_mul_f32_e32 v16, v18, v16
	;;#ASMSTART
	v_med3_f32 v15, v15, v36, v37
v_med3_f32 v32, v32, v36, v37
v_cvt_pk_fp8_f32 v13, v15, v32
	;;#ASMEND
	;;#ASMSTART
	v_med3_f32 v16, v16, v36, v37
v_med3_f32 v33, v33, v36, v37
v_cvt_pk_fp8_f32 v15, v16, v33
	;;#ASMEND
	v_perm_b32 v10, v9, v10, 0x1000504
	v_perm_b32 v11, v11, v12, 0x1000504
	;; [unrolled: 1-line block ×4, first 2 shown]
	v_cvt_f32_f16_e32 v0, v21
	v_mul_f32_e32 v6, v18, v6
	v_cvt_f32_f16_e32 v13, v22
	v_cvt_f32_f16_e32 v14, v24
	buffer_store_b128 v[9:12], v17, s[4:7], 0 offen
	v_cvt_f32_f16_e32 v10, v1
	v_mul_f32_e32 v1, v18, v5
	v_mul_f32_e32 v5, v18, v26
	;;#ASMSTART
	s_nop 0
	;;#ASMEND
	v_mul_f32_e32 v0, v18, v0
	;;#ASMSTART
	v_med3_f32 v1, v1, v36, v37
v_med3_f32 v5, v5, v36, v37
v_cvt_pk_fp8_f32 v15, v1, v5
	;;#ASMEND
	;;#ASMSTART
	v_med3_f32 v6, v6, v36, v37
v_med3_f32 v0, v0, v36, v37
v_cvt_pk_fp8_f32 v1, v6, v0
	;;#ASMEND
	v_cvt_f32_f16_e32 v9, v23
	v_perm_b32 v0, v1, v15, 0x5040100
	v_cvt_f32_f16_e32 v11, v25
	v_cvt_f32_f16_e32 v12, v20
	v_mul_f32_e32 v5, v18, v7
	v_mul_f32_e32 v6, v18, v13
	v_mul_f32_e32 v7, v18, v8
	v_mul_f32_e32 v8, v18, v9
	v_cvt_f32_f16_e32 v9, v19
	v_perm_b32 v0, v0, v1, 0x1060504
	;;#ASMSTART
	v_med3_f32 v5, v5, v36, v37
v_med3_f32 v6, v6, v36, v37
v_cvt_pk_fp8_f32 v1, v5, v6
	;;#ASMEND
	;;#ASMSTART
	v_med3_f32 v7, v7, v36, v37
v_med3_f32 v8, v8, v36, v37
v_cvt_pk_fp8_f32 v5, v7, v8
	;;#ASMEND
	v_perm_b32 v1, v1, v5, 0x1000504
	v_mul_f32_e32 v5, v18, v10
	v_mul_f32_e32 v6, v18, v11
	;; [unrolled: 1-line block ×4, first 2 shown]
	;;#ASMSTART
	v_med3_f32 v5, v5, v36, v37
v_med3_f32 v6, v6, v36, v37
v_cvt_pk_fp8_f32 v10, v5, v6
	;;#ASMEND
	v_mul_f32_e32 v3, v18, v3
	v_mul_f32_e32 v8, v18, v14
	;;#ASMSTART
	v_med3_f32 v2, v2, v36, v37
v_med3_f32 v7, v7, v36, v37
v_cvt_pk_fp8_f32 v5, v2, v7
	;;#ASMEND
	v_mul_f32_e32 v4, v18, v4
	v_mul_f32_e32 v9, v18, v9
	v_perm_b32 v2, v10, v5, 0x1000504
	;;#ASMSTART
	v_med3_f32 v3, v3, v36, v37
v_med3_f32 v8, v8, v36, v37
v_cvt_pk_fp8_f32 v5, v3, v8
	;;#ASMEND
	;;#ASMSTART
	v_med3_f32 v4, v4, v36, v37
v_med3_f32 v9, v9, v36, v37
v_cvt_pk_fp8_f32 v3, v4, v9
	;;#ASMEND
	v_perm_b32 v3, v5, v3, 0x1000504
	buffer_store_b128 v[0:3], v17, s[4:7], 16 offen
	;;#ASMSTART
	s_nop 0
	;;#ASMEND
.LBB56_11:
	s_nop 0
	s_sendmsg sendmsg(MSG_DEALLOC_VGPRS)
	s_endpgm
	.section	.rodata,"a",@progbits
	.p2align	6, 0x0
	.amdhsa_kernel _ZN5aiter37dynamic_per_group_scaled_quant_kernelIDF16_DB8_Li32ELi64ELb0ELi64ELb1EEEvPT0_PfPKT_PKfliilPKii
		.amdhsa_group_segment_fixed_size 0
		.amdhsa_private_segment_fixed_size 0
		.amdhsa_kernarg_size 68
		.amdhsa_user_sgpr_count 15
		.amdhsa_user_sgpr_dispatch_ptr 0
		.amdhsa_user_sgpr_queue_ptr 0
		.amdhsa_user_sgpr_kernarg_segment_ptr 1
		.amdhsa_user_sgpr_dispatch_id 0
		.amdhsa_user_sgpr_private_segment_size 0
		.amdhsa_wavefront_size32 1
		.amdhsa_uses_dynamic_stack 0
		.amdhsa_enable_private_segment 0
		.amdhsa_system_sgpr_workgroup_id_x 1
		.amdhsa_system_sgpr_workgroup_id_y 0
		.amdhsa_system_sgpr_workgroup_id_z 0
		.amdhsa_system_sgpr_workgroup_info 0
		.amdhsa_system_vgpr_workitem_id 0
		.amdhsa_next_free_vgpr 41
		.amdhsa_next_free_sgpr 16
		.amdhsa_reserve_vcc 1
		.amdhsa_float_round_mode_32 0
		.amdhsa_float_round_mode_16_64 0
		.amdhsa_float_denorm_mode_32 3
		.amdhsa_float_denorm_mode_16_64 3
		.amdhsa_dx10_clamp 1
		.amdhsa_ieee_mode 1
		.amdhsa_fp16_overflow 0
		.amdhsa_workgroup_processor_mode 1
		.amdhsa_memory_ordered 1
		.amdhsa_forward_progress 0
		.amdhsa_shared_vgpr_count 0
		.amdhsa_exception_fp_ieee_invalid_op 0
		.amdhsa_exception_fp_denorm_src 0
		.amdhsa_exception_fp_ieee_div_zero 0
		.amdhsa_exception_fp_ieee_overflow 0
		.amdhsa_exception_fp_ieee_underflow 0
		.amdhsa_exception_fp_ieee_inexact 0
		.amdhsa_exception_int_div_zero 0
	.end_amdhsa_kernel
	.section	.text._ZN5aiter37dynamic_per_group_scaled_quant_kernelIDF16_DB8_Li32ELi64ELb0ELi64ELb1EEEvPT0_PfPKT_PKfliilPKii,"axG",@progbits,_ZN5aiter37dynamic_per_group_scaled_quant_kernelIDF16_DB8_Li32ELi64ELb0ELi64ELb1EEEvPT0_PfPKT_PKfliilPKii,comdat
.Lfunc_end56:
	.size	_ZN5aiter37dynamic_per_group_scaled_quant_kernelIDF16_DB8_Li32ELi64ELb0ELi64ELb1EEEvPT0_PfPKT_PKfliilPKii, .Lfunc_end56-_ZN5aiter37dynamic_per_group_scaled_quant_kernelIDF16_DB8_Li32ELi64ELb0ELi64ELb1EEEvPT0_PfPKT_PKfliilPKii
                                        ; -- End function
	.section	.AMDGPU.csdata,"",@progbits
; Kernel info:
; codeLenInByte = 3520
; NumSgprs: 18
; NumVgprs: 41
; ScratchSize: 0
; MemoryBound: 0
; FloatMode: 240
; IeeeMode: 1
; LDSByteSize: 0 bytes/workgroup (compile time only)
; SGPRBlocks: 2
; VGPRBlocks: 5
; NumSGPRsForWavesPerEU: 18
; NumVGPRsForWavesPerEU: 41
; Occupancy: 16
; WaveLimiterHint : 0
; COMPUTE_PGM_RSRC2:SCRATCH_EN: 0
; COMPUTE_PGM_RSRC2:USER_SGPR: 15
; COMPUTE_PGM_RSRC2:TRAP_HANDLER: 0
; COMPUTE_PGM_RSRC2:TGID_X_EN: 1
; COMPUTE_PGM_RSRC2:TGID_Y_EN: 0
; COMPUTE_PGM_RSRC2:TGID_Z_EN: 0
; COMPUTE_PGM_RSRC2:TIDIG_COMP_CNT: 0
	.section	.text._ZN5aiter37dynamic_per_group_scaled_quant_kernelItDB8_Li32ELi64ELb0ELi64ELb1EEEvPT0_PfPKT_PKfliilPKii,"axG",@progbits,_ZN5aiter37dynamic_per_group_scaled_quant_kernelItDB8_Li32ELi64ELb0ELi64ELb1EEEvPT0_PfPKT_PKfliilPKii,comdat
	.protected	_ZN5aiter37dynamic_per_group_scaled_quant_kernelItDB8_Li32ELi64ELb0ELi64ELb1EEEvPT0_PfPKT_PKfliilPKii ; -- Begin function _ZN5aiter37dynamic_per_group_scaled_quant_kernelItDB8_Li32ELi64ELb0ELi64ELb1EEEvPT0_PfPKT_PKfliilPKii
	.globl	_ZN5aiter37dynamic_per_group_scaled_quant_kernelItDB8_Li32ELi64ELb0ELi64ELb1EEEvPT0_PfPKT_PKfliilPKii
	.p2align	8
	.type	_ZN5aiter37dynamic_per_group_scaled_quant_kernelItDB8_Li32ELi64ELb0ELi64ELb1EEEvPT0_PfPKT_PKfliilPKii,@function
_ZN5aiter37dynamic_per_group_scaled_quant_kernelItDB8_Li32ELi64ELb0ELi64ELb1EEEvPT0_PfPKT_PKfliilPKii: ; @_ZN5aiter37dynamic_per_group_scaled_quant_kernelItDB8_Li32ELi64ELb0ELi64ELb1EEEvPT0_PfPKT_PKfliilPKii
; %bb.0:
	s_load_b64 s[2:3], s[0:1], 0x38
	s_mov_b32 s6, s15
	s_waitcnt lgkmcnt(0)
	s_cmp_eq_u64 s[2:3], 0
	s_cbranch_scc1 .LBB57_2
; %bb.1:
	s_load_b32 s4, s[0:1], 0x40
	s_load_b32 s2, s[2:3], 0x0
	s_waitcnt lgkmcnt(0)
	s_mul_hi_i32 s5, s2, s4
	s_mul_i32 s4, s2, s4
	s_branch .LBB57_3
.LBB57_2:
	s_load_b64 s[4:5], s[0:1], 0x20
.LBB57_3:
	s_load_b64 s[2:3], s[0:1], 0x28
	s_mov_b32 s7, 0
	v_mov_b32_e32 v3, 0
	s_lshl_b64 s[6:7], s[6:7], 6
	s_delay_alu instid0(SALU_CYCLE_1) | instskip(SKIP_1) | instid1(VALU_DEP_1)
	v_or_b32_e32 v5, s6, v0
	v_mov_b32_e32 v6, s7
	v_lshrrev_b64 v[1:2], 1, v[5:6]
	s_waitcnt lgkmcnt(0)
	s_ashr_i32 s6, s2, 31
	s_delay_alu instid0(SALU_CYCLE_1) | instskip(NEXT) | instid1(SALU_CYCLE_1)
	s_lshr_b32 s6, s6, 26
	s_add_i32 s2, s2, s6
	s_delay_alu instid0(SALU_CYCLE_1) | instskip(NEXT) | instid1(SALU_CYCLE_1)
	s_ashr_i32 s10, s2, 6
	s_ashr_i32 s2, s10, 31
	s_delay_alu instid0(SALU_CYCLE_1) | instskip(NEXT) | instid1(VALU_DEP_1)
	v_or_b32_e32 v4, s2, v2
	v_cmp_ne_u64_e32 vcc_lo, 0, v[3:4]
                                        ; implicit-def: $vgpr3_vgpr4
	s_and_saveexec_b32 s6, vcc_lo
	s_delay_alu instid0(SALU_CYCLE_1)
	s_xor_b32 s11, exec_lo, s6
	s_cbranch_execz .LBB57_5
; %bb.4:
	s_add_u32 s8, s10, s2
	s_mov_b32 s6, s2
	s_mov_b32 s7, s2
	s_addc_u32 s9, s2, s2
	s_delay_alu instid0(SALU_CYCLE_1) | instskip(NEXT) | instid1(SALU_CYCLE_1)
	s_xor_b64 s[8:9], s[8:9], s[6:7]
	v_cvt_f32_u32_e32 v3, s8
	v_cvt_f32_u32_e32 v4, s9
	s_sub_u32 s2, 0, s8
	s_subb_u32 s12, 0, s9
	s_delay_alu instid0(VALU_DEP_1) | instskip(NEXT) | instid1(VALU_DEP_1)
	v_fmamk_f32 v3, v4, 0x4f800000, v3
	v_rcp_f32_e32 v3, v3
	s_waitcnt_depctr 0xfff
	v_mul_f32_e32 v3, 0x5f7ffffc, v3
	s_delay_alu instid0(VALU_DEP_1) | instskip(NEXT) | instid1(VALU_DEP_1)
	v_mul_f32_e32 v4, 0x2f800000, v3
	v_trunc_f32_e32 v4, v4
	s_delay_alu instid0(VALU_DEP_1) | instskip(SKIP_1) | instid1(VALU_DEP_2)
	v_fmamk_f32 v3, v4, 0xcf800000, v3
	v_cvt_u32_f32_e32 v4, v4
	v_cvt_u32_f32_e32 v3, v3
	s_delay_alu instid0(VALU_DEP_2) | instskip(NEXT) | instid1(VALU_DEP_2)
	v_mul_lo_u32 v5, s2, v4
	v_mul_hi_u32 v6, s2, v3
	v_mul_lo_u32 v7, s12, v3
	s_delay_alu instid0(VALU_DEP_2) | instskip(SKIP_1) | instid1(VALU_DEP_2)
	v_add_nc_u32_e32 v5, v6, v5
	v_mul_lo_u32 v6, s2, v3
	v_add_nc_u32_e32 v5, v5, v7
	s_delay_alu instid0(VALU_DEP_2) | instskip(NEXT) | instid1(VALU_DEP_2)
	v_mul_hi_u32 v7, v3, v6
	v_mul_lo_u32 v8, v3, v5
	v_mul_hi_u32 v9, v3, v5
	v_mul_hi_u32 v10, v4, v6
	v_mul_lo_u32 v6, v4, v6
	v_mul_hi_u32 v11, v4, v5
	v_mul_lo_u32 v5, v4, v5
	v_add_co_u32 v7, vcc_lo, v7, v8
	v_add_co_ci_u32_e32 v8, vcc_lo, 0, v9, vcc_lo
	s_delay_alu instid0(VALU_DEP_2) | instskip(NEXT) | instid1(VALU_DEP_2)
	v_add_co_u32 v6, vcc_lo, v7, v6
	v_add_co_ci_u32_e32 v6, vcc_lo, v8, v10, vcc_lo
	v_add_co_ci_u32_e32 v7, vcc_lo, 0, v11, vcc_lo
	s_delay_alu instid0(VALU_DEP_2) | instskip(NEXT) | instid1(VALU_DEP_2)
	v_add_co_u32 v5, vcc_lo, v6, v5
	v_add_co_ci_u32_e32 v6, vcc_lo, 0, v7, vcc_lo
	s_delay_alu instid0(VALU_DEP_2) | instskip(NEXT) | instid1(VALU_DEP_2)
	v_add_co_u32 v3, vcc_lo, v3, v5
	v_add_co_ci_u32_e32 v4, vcc_lo, v4, v6, vcc_lo
	s_delay_alu instid0(VALU_DEP_2) | instskip(SKIP_1) | instid1(VALU_DEP_3)
	v_mul_hi_u32 v5, s2, v3
	v_mul_lo_u32 v7, s12, v3
	v_mul_lo_u32 v6, s2, v4
	s_delay_alu instid0(VALU_DEP_1) | instskip(SKIP_1) | instid1(VALU_DEP_2)
	v_add_nc_u32_e32 v5, v5, v6
	v_mul_lo_u32 v6, s2, v3
	v_add_nc_u32_e32 v5, v5, v7
	s_delay_alu instid0(VALU_DEP_2) | instskip(NEXT) | instid1(VALU_DEP_2)
	v_mul_hi_u32 v7, v3, v6
	v_mul_lo_u32 v8, v3, v5
	v_mul_hi_u32 v9, v3, v5
	v_mul_hi_u32 v10, v4, v6
	v_mul_lo_u32 v6, v4, v6
	v_mul_hi_u32 v11, v4, v5
	v_mul_lo_u32 v5, v4, v5
	v_add_co_u32 v7, vcc_lo, v7, v8
	v_add_co_ci_u32_e32 v8, vcc_lo, 0, v9, vcc_lo
	s_delay_alu instid0(VALU_DEP_2) | instskip(NEXT) | instid1(VALU_DEP_2)
	v_add_co_u32 v6, vcc_lo, v7, v6
	v_add_co_ci_u32_e32 v6, vcc_lo, v8, v10, vcc_lo
	v_add_co_ci_u32_e32 v7, vcc_lo, 0, v11, vcc_lo
	s_delay_alu instid0(VALU_DEP_2) | instskip(NEXT) | instid1(VALU_DEP_2)
	v_add_co_u32 v5, vcc_lo, v6, v5
	v_add_co_ci_u32_e32 v6, vcc_lo, 0, v7, vcc_lo
	s_delay_alu instid0(VALU_DEP_2) | instskip(NEXT) | instid1(VALU_DEP_2)
	v_add_co_u32 v7, vcc_lo, v3, v5
	v_add_co_ci_u32_e32 v9, vcc_lo, v4, v6, vcc_lo
	s_delay_alu instid0(VALU_DEP_2) | instskip(SKIP_1) | instid1(VALU_DEP_3)
	v_mul_hi_u32 v10, v1, v7
	v_mad_u64_u32 v[5:6], null, v2, v7, 0
	v_mad_u64_u32 v[3:4], null, v1, v9, 0
	;; [unrolled: 1-line block ×3, first 2 shown]
	s_delay_alu instid0(VALU_DEP_2) | instskip(NEXT) | instid1(VALU_DEP_3)
	v_add_co_u32 v3, vcc_lo, v10, v3
	v_add_co_ci_u32_e32 v4, vcc_lo, 0, v4, vcc_lo
	s_delay_alu instid0(VALU_DEP_2) | instskip(NEXT) | instid1(VALU_DEP_2)
	v_add_co_u32 v3, vcc_lo, v3, v5
	v_add_co_ci_u32_e32 v3, vcc_lo, v4, v6, vcc_lo
	v_add_co_ci_u32_e32 v4, vcc_lo, 0, v8, vcc_lo
	s_delay_alu instid0(VALU_DEP_2) | instskip(NEXT) | instid1(VALU_DEP_2)
	v_add_co_u32 v5, vcc_lo, v3, v7
	v_add_co_ci_u32_e32 v6, vcc_lo, 0, v4, vcc_lo
	s_delay_alu instid0(VALU_DEP_2) | instskip(SKIP_1) | instid1(VALU_DEP_3)
	v_mul_lo_u32 v7, s9, v5
	v_mad_u64_u32 v[3:4], null, s8, v5, 0
	v_mul_lo_u32 v8, s8, v6
	s_delay_alu instid0(VALU_DEP_2) | instskip(NEXT) | instid1(VALU_DEP_2)
	v_sub_co_u32 v3, vcc_lo, v1, v3
	v_add3_u32 v4, v4, v8, v7
	s_delay_alu instid0(VALU_DEP_1) | instskip(NEXT) | instid1(VALU_DEP_1)
	v_sub_nc_u32_e32 v7, v2, v4
	v_subrev_co_ci_u32_e64 v7, s2, s9, v7, vcc_lo
	v_add_co_u32 v8, s2, v5, 2
	s_delay_alu instid0(VALU_DEP_1) | instskip(SKIP_3) | instid1(VALU_DEP_3)
	v_add_co_ci_u32_e64 v9, s2, 0, v6, s2
	v_sub_co_u32 v10, s2, v3, s8
	v_sub_co_ci_u32_e32 v4, vcc_lo, v2, v4, vcc_lo
	v_subrev_co_ci_u32_e64 v7, s2, 0, v7, s2
	v_cmp_le_u32_e32 vcc_lo, s8, v10
	s_delay_alu instid0(VALU_DEP_3) | instskip(SKIP_1) | instid1(VALU_DEP_4)
	v_cmp_eq_u32_e64 s2, s9, v4
	v_cndmask_b32_e64 v10, 0, -1, vcc_lo
	v_cmp_le_u32_e32 vcc_lo, s9, v7
	v_cndmask_b32_e64 v11, 0, -1, vcc_lo
	v_cmp_le_u32_e32 vcc_lo, s8, v3
	;; [unrolled: 2-line block ×3, first 2 shown]
	v_cndmask_b32_e64 v12, 0, -1, vcc_lo
	v_cmp_eq_u32_e32 vcc_lo, s9, v7
	s_delay_alu instid0(VALU_DEP_2) | instskip(SKIP_3) | instid1(VALU_DEP_3)
	v_cndmask_b32_e64 v3, v12, v3, s2
	v_cndmask_b32_e32 v7, v11, v10, vcc_lo
	v_add_co_u32 v10, vcc_lo, v5, 1
	v_add_co_ci_u32_e32 v11, vcc_lo, 0, v6, vcc_lo
	v_cmp_ne_u32_e32 vcc_lo, 0, v7
	s_delay_alu instid0(VALU_DEP_2) | instskip(SKIP_1) | instid1(VALU_DEP_2)
	v_dual_cndmask_b32 v4, v11, v9 :: v_dual_cndmask_b32 v7, v10, v8
	v_cmp_ne_u32_e32 vcc_lo, 0, v3
	v_dual_cndmask_b32 v3, v6, v4 :: v_dual_cndmask_b32 v4, v5, v7
	s_delay_alu instid0(VALU_DEP_1) | instskip(NEXT) | instid1(VALU_DEP_2)
	v_xor_b32_e32 v5, s7, v3
	v_xor_b32_e32 v4, s6, v4
	s_delay_alu instid0(VALU_DEP_1) | instskip(NEXT) | instid1(VALU_DEP_3)
	v_sub_co_u32 v3, vcc_lo, v4, s6
	v_subrev_co_ci_u32_e32 v4, vcc_lo, s7, v5, vcc_lo
                                        ; implicit-def: $vgpr5_vgpr6
.LBB57_5:
	s_and_not1_saveexec_b32 s2, s11
	s_cbranch_execz .LBB57_7
; %bb.6:
	v_cvt_f32_u32_e32 v3, s10
	s_sub_i32 s6, 0, s10
	v_alignbit_b32 v5, v6, v5, 1
	s_delay_alu instid0(VALU_DEP_2) | instskip(SKIP_2) | instid1(VALU_DEP_1)
	v_rcp_iflag_f32_e32 v3, v3
	s_waitcnt_depctr 0xfff
	v_mul_f32_e32 v3, 0x4f7ffffe, v3
	v_cvt_u32_f32_e32 v3, v3
	s_delay_alu instid0(VALU_DEP_1) | instskip(NEXT) | instid1(VALU_DEP_1)
	v_mul_lo_u32 v4, s6, v3
	v_mul_hi_u32 v4, v3, v4
	s_delay_alu instid0(VALU_DEP_1) | instskip(NEXT) | instid1(VALU_DEP_1)
	v_add_nc_u32_e32 v3, v3, v4
	v_mul_hi_u32 v3, v5, v3
	s_delay_alu instid0(VALU_DEP_1) | instskip(NEXT) | instid1(VALU_DEP_1)
	v_mul_lo_u32 v4, v3, s10
	v_sub_nc_u32_e32 v4, v5, v4
	v_add_nc_u32_e32 v5, 1, v3
	s_delay_alu instid0(VALU_DEP_2) | instskip(SKIP_1) | instid1(VALU_DEP_2)
	v_subrev_nc_u32_e32 v6, s10, v4
	v_cmp_le_u32_e32 vcc_lo, s10, v4
	v_dual_cndmask_b32 v4, v4, v6 :: v_dual_cndmask_b32 v3, v3, v5
	s_delay_alu instid0(VALU_DEP_1) | instskip(NEXT) | instid1(VALU_DEP_2)
	v_cmp_le_u32_e32 vcc_lo, s10, v4
	v_dual_mov_b32 v4, 0 :: v_dual_add_nc_u32 v5, 1, v3
	s_delay_alu instid0(VALU_DEP_1)
	v_cndmask_b32_e32 v3, v3, v5, vcc_lo
.LBB57_7:
	s_or_b32 exec_lo, exec_lo, s2
	s_delay_alu instid0(VALU_DEP_1) | instskip(NEXT) | instid1(VALU_DEP_2)
	v_mad_u64_u32 v[5:6], null, v3, s10, 0
	v_cmp_gt_i64_e32 vcc_lo, s[4:5], v[3:4]
	s_delay_alu instid0(VALU_DEP_2) | instskip(NEXT) | instid1(VALU_DEP_1)
	v_sub_co_u32 v5, null, v1, v5
	v_cmp_gt_i32_e64 s2, s10, v5
	s_delay_alu instid0(VALU_DEP_1) | instskip(NEXT) | instid1(SALU_CYCLE_1)
	s_and_b32 s2, vcc_lo, s2
	s_and_saveexec_b32 s4, s2
	s_cbranch_execz .LBB57_11
; %bb.8:
	s_ashr_i32 s2, s3, 31
	s_load_b64 s[4:5], s[0:1], 0x10
	v_mul_lo_u32 v4, v4, s3
	v_mad_u64_u32 v[6:7], null, v3, s3, 0
	v_mul_lo_u32 v3, v3, s2
	v_and_b32_e32 v39, 1, v0
	s_delay_alu instid0(VALU_DEP_2) | instskip(SKIP_1) | instid1(VALU_DEP_2)
	v_add3_u32 v7, v7, v3, v4
	v_dual_mov_b32 v4, 0 :: v_dual_lshlrev_b32 v3, 6, v5
	v_lshlrev_b64 v[5:6], 1, v[6:7]
	s_delay_alu instid0(VALU_DEP_4) | instskip(NEXT) | instid1(VALU_DEP_3)
	v_lshlrev_b32_e32 v7, 6, v39
	v_lshlrev_b64 v[3:4], 1, v[3:4]
	s_waitcnt lgkmcnt(0)
	s_delay_alu instid0(VALU_DEP_3) | instskip(NEXT) | instid1(VALU_DEP_4)
	v_add_co_u32 v5, vcc_lo, s4, v5
	v_add_co_ci_u32_e32 v6, vcc_lo, s5, v6, vcc_lo
	s_load_b64 s[4:5], s[0:1], 0x0
	s_delay_alu instid0(VALU_DEP_2) | instskip(NEXT) | instid1(VALU_DEP_2)
	v_add_co_u32 v3, vcc_lo, v5, v3
	v_add_co_ci_u32_e32 v4, vcc_lo, v6, v4, vcc_lo
	s_delay_alu instid0(VALU_DEP_2) | instskip(NEXT) | instid1(VALU_DEP_2)
	v_add_co_u32 v16, vcc_lo, v3, v7
	v_add_co_ci_u32_e32 v17, vcc_lo, 0, v4, vcc_lo
	s_clause 0x3
	global_load_b128 v[3:6], v[16:17], off
	global_load_b128 v[7:10], v[16:17], off offset:16
	global_load_b128 v[12:15], v[16:17], off offset:32
	;; [unrolled: 1-line block ×3, first 2 shown]
	s_waitcnt vmcnt(3)
	v_and_b32_e32 v11, 0xffff, v3
	v_lshrrev_b32_e32 v3, 16, v3
	v_and_b32_e32 v16, 0xffff, v4
	v_lshrrev_b32_e32 v4, 16, v4
	s_waitcnt vmcnt(0)
	v_lshrrev_b32_e32 v18, 16, v36
	v_cvt_f32_u32_e32 v33, v11
	v_cvt_f32_u32_e32 v34, v3
	v_and_b32_e32 v3, 0xffff, v5
	v_lshrrev_b32_e32 v5, 16, v5
	v_cvt_f32_u32_e32 v31, v16
	v_cvt_f32_u32_e32 v32, v4
	v_max3_f32 v4, v33, 0x2edbe6ff, v34
	v_and_b32_e32 v11, 0xffff, v6
	v_lshrrev_b32_e32 v6, 16, v6
	v_cvt_f32_u32_e32 v27, v3
	v_cvt_f32_u32_e32 v28, v5
	v_max3_f32 v3, v4, v31, v32
	;; [unrolled: 5-line block ×11, first 2 shown]
	v_and_b32_e32 v6, 0xffff, v36
	v_cvt_f32_u32_e32 v15, v4
	v_cvt_f32_u32_e32 v16, v5
	v_and_b32_e32 v4, 0xffff, v37
	v_max3_f32 v3, v3, v9, v10
	v_lshrrev_b32_e32 v35, 16, v37
	v_cvt_f32_u32_e32 v17, v6
	v_cvt_f32_u32_e32 v18, v18
	v_and_b32_e32 v36, 0xffff, v38
	v_max3_f32 v3, v3, v15, v16
	v_lshrrev_b32_e32 v37, 16, v38
	v_cvt_f32_u32_e32 v5, v4
	v_cvt_f32_u32_e32 v6, v35
	s_delay_alu instid0(VALU_DEP_4) | instskip(SKIP_2) | instid1(VALU_DEP_3)
	v_max3_f32 v35, v3, v17, v18
	v_cvt_f32_u32_e32 v3, v36
	v_cvt_f32_u32_e32 v4, v37
	v_max3_f32 v35, v35, v5, v6
	s_delay_alu instid0(VALU_DEP_1) | instskip(NEXT) | instid1(VALU_DEP_1)
	v_max3_f32 v35, v35, v3, v4
	v_mov_b32_dpp v36, v35 quad_perm:[1,0,3,2] row_mask:0xf bank_mask:0xf
	s_delay_alu instid0(VALU_DEP_1) | instskip(SKIP_1) | instid1(VALU_DEP_1)
	v_cmp_gt_f32_e32 vcc_lo, v35, v36
	v_cndmask_b32_e32 v35, v36, v35, vcc_lo
	v_mul_f32_e32 v35, 0x3b124925, v35
	s_delay_alu instid0(VALU_DEP_1) | instskip(SKIP_1) | instid1(VALU_DEP_2)
	v_bfe_u32 v36, v35, 23, 8
	v_and_b32_e32 v35, 0x7fffff, v35
	v_cmp_ne_u32_e32 vcc_lo, 0xff, v36
	s_delay_alu instid0(VALU_DEP_2) | instskip(NEXT) | instid1(VALU_DEP_1)
	v_cmp_ne_u32_e64 s2, 0, v35
	s_and_b32 vcc_lo, s2, vcc_lo
	s_mov_b32 s2, exec_lo
	v_add_co_ci_u32_e32 v35, vcc_lo, 0, v36, vcc_lo
	v_cmpx_eq_u32_e32 0, v39
	s_cbranch_execz .LBB57_10
; %bb.9:
	s_load_b64 s[6:7], s[0:1], 0x8
	s_waitcnt lgkmcnt(0)
	v_add_co_u32 v36, vcc_lo, s6, v1
	v_add_co_ci_u32_e32 v37, vcc_lo, s7, v2, vcc_lo
	global_store_b8 v[36:37], v35, off
.LBB57_10:
	s_or_b32 exec_lo, exec_lo, s2
	s_delay_alu instid0(VALU_DEP_2)
	v_lshlrev_b32_e32 v2, 23, v35
	s_load_b32 s6, s[0:1], 0x30
	v_lshlrev_b32_e32 v0, 5, v0
	s_waitcnt lgkmcnt(0)
	s_and_b32 s5, s5, 0xffff
	s_mov_b32 s7, -1
	v_div_scale_f32 v35, null, v2, v2, 1.0
	v_div_scale_f32 v38, vcc_lo, 1.0, v2, 1.0
	v_lshlrev_b32_e32 v1, 6, v1
	s_delay_alu instid0(VALU_DEP_3) | instskip(SKIP_2) | instid1(VALU_DEP_1)
	v_rcp_f32_e32 v36, v35
	s_waitcnt_depctr 0xfff
	v_fma_f32 v37, -v35, v36, 1.0
	v_fmac_f32_e32 v36, v37, v36
	s_delay_alu instid0(VALU_DEP_1) | instskip(NEXT) | instid1(VALU_DEP_1)
	v_mul_f32_e32 v37, v38, v36
	v_fma_f32 v39, -v35, v37, v38
	s_delay_alu instid0(VALU_DEP_1) | instskip(NEXT) | instid1(VALU_DEP_1)
	v_fmac_f32_e32 v37, v39, v36
	v_fma_f32 v35, -v35, v37, v38
	s_delay_alu instid0(VALU_DEP_1) | instskip(SKIP_1) | instid1(VALU_DEP_2)
	v_div_fmas_f32 v35, v35, v36, v37
	v_mov_b32_e32 v36, 0x43e00000
	v_div_fixup_f32 v2, v35, v2, 1.0
	v_mov_b32_e32 v35, 0xc3e00000
	v_and_or_b32 v37, v0, 32, v1
	s_delay_alu instid0(VALU_DEP_3)
	v_mul_f32_e32 v0, v2, v33
	v_mul_f32_e32 v1, v2, v34
	;; [unrolled: 1-line block ×5, first 2 shown]
	;;#ASMSTART
	v_med3_f32 v0, v0, v35, v36
v_med3_f32 v1, v1, v35, v36
v_cvt_pk_fp8_f32 v7, v0, v1
	;;#ASMEND
	;;#ASMSTART
	v_med3_f32 v31, v31, v35, v36
v_med3_f32 v32, v32, v35, v36
v_cvt_pk_fp8_f32 v0, v31, v32
	;;#ASMEND
	v_perm_b32 v7, v0, v7, 0x5040100
	v_mul_f32_e32 v27, v2, v27
	v_mul_f32_e32 v28, v2, v28
	;; [unrolled: 1-line block ×12, first 2 shown]
	;;#ASMSTART
	v_med3_f32 v27, v27, v35, v36
v_med3_f32 v28, v28, v35, v36
v_cvt_pk_fp8_f32 v1, v27, v28
	;;#ASMEND
	;;#ASMSTART
	v_med3_f32 v29, v29, v35, v36
v_med3_f32 v30, v30, v35, v36
v_cvt_pk_fp8_f32 v8, v29, v30
	;;#ASMEND
	;; [unrolled: 5-line block ×3, first 2 shown]
	v_mul_f32_e32 v21, v2, v21
	v_mul_f32_e32 v22, v2, v22
	;; [unrolled: 1-line block ×3, first 2 shown]
	;;#ASMSTART
	v_med3_f32 v25, v25, v35, v36
v_med3_f32 v26, v26, v35, v36
v_cvt_pk_fp8_f32 v10, v25, v26
	;;#ASMEND
	;;#ASMSTART
	v_med3_f32 v19, v19, v35, v36
v_med3_f32 v20, v20, v35, v36
v_cvt_pk_fp8_f32 v23, v19, v20
	;;#ASMEND
	;; [unrolled: 5-line block ×3, first 2 shown]
	v_perm_b32 v8, v1, v8, 0x1000504
	v_perm_b32 v9, v9, v10, 0x1000504
	;; [unrolled: 1-line block ×4, first 2 shown]
	v_mul_f32_e32 v11, v2, v11
	v_mul_f32_e32 v12, v2, v12
	v_mul_f32_e32 v13, v2, v13
	v_mul_f32_e32 v14, v2, v14
	v_mul_f32_e32 v15, v2, v15
	v_mul_f32_e32 v16, v2, v16
	v_mul_f32_e32 v17, v2, v17
	v_mul_f32_e32 v18, v2, v18
	v_mul_f32_e32 v0, v2, v5
	v_mul_f32_e32 v1, v2, v6
	v_mul_f32_e32 v3, v2, v3
	v_mul_f32_e32 v2, v2, v4
	buffer_store_b128 v[7:10], v37, s[4:7], 0 offen
	;;#ASMSTART
	s_nop 0
	;;#ASMEND
	;;#ASMSTART
	v_med3_f32 v11, v11, v35, v36
v_med3_f32 v12, v12, v35, v36
v_cvt_pk_fp8_f32 v4, v11, v12
	;;#ASMEND
	;;#ASMSTART
	v_med3_f32 v13, v13, v35, v36
v_med3_f32 v14, v14, v35, v36
v_cvt_pk_fp8_f32 v5, v13, v14
	;; [unrolled: 5-line block ×7, first 2 shown]
	;;#ASMEND
	v_perm_b32 v0, v5, v4, 0x5040100
	;;#ASMSTART
	v_med3_f32 v3, v3, v35, v36
v_med3_f32 v2, v2, v35, v36
v_cvt_pk_fp8_f32 v4, v3, v2
	;;#ASMEND
	v_perm_b32 v1, v6, v7, 0x1000504
	v_perm_b32 v2, v8, v9, 0x1000504
	;; [unrolled: 1-line block ×4, first 2 shown]
	buffer_store_b128 v[0:3], v37, s[4:7], 16 offen
	;;#ASMSTART
	s_nop 0
	;;#ASMEND
.LBB57_11:
	s_nop 0
	s_sendmsg sendmsg(MSG_DEALLOC_VGPRS)
	s_endpgm
	.section	.rodata,"a",@progbits
	.p2align	6, 0x0
	.amdhsa_kernel _ZN5aiter37dynamic_per_group_scaled_quant_kernelItDB8_Li32ELi64ELb0ELi64ELb1EEEvPT0_PfPKT_PKfliilPKii
		.amdhsa_group_segment_fixed_size 0
		.amdhsa_private_segment_fixed_size 0
		.amdhsa_kernarg_size 68
		.amdhsa_user_sgpr_count 15
		.amdhsa_user_sgpr_dispatch_ptr 0
		.amdhsa_user_sgpr_queue_ptr 0
		.amdhsa_user_sgpr_kernarg_segment_ptr 1
		.amdhsa_user_sgpr_dispatch_id 0
		.amdhsa_user_sgpr_private_segment_size 0
		.amdhsa_wavefront_size32 1
		.amdhsa_uses_dynamic_stack 0
		.amdhsa_enable_private_segment 0
		.amdhsa_system_sgpr_workgroup_id_x 1
		.amdhsa_system_sgpr_workgroup_id_y 0
		.amdhsa_system_sgpr_workgroup_id_z 0
		.amdhsa_system_sgpr_workgroup_info 0
		.amdhsa_system_vgpr_workitem_id 0
		.amdhsa_next_free_vgpr 40
		.amdhsa_next_free_sgpr 16
		.amdhsa_reserve_vcc 1
		.amdhsa_float_round_mode_32 0
		.amdhsa_float_round_mode_16_64 0
		.amdhsa_float_denorm_mode_32 3
		.amdhsa_float_denorm_mode_16_64 3
		.amdhsa_dx10_clamp 1
		.amdhsa_ieee_mode 1
		.amdhsa_fp16_overflow 0
		.amdhsa_workgroup_processor_mode 1
		.amdhsa_memory_ordered 1
		.amdhsa_forward_progress 0
		.amdhsa_shared_vgpr_count 0
		.amdhsa_exception_fp_ieee_invalid_op 0
		.amdhsa_exception_fp_denorm_src 0
		.amdhsa_exception_fp_ieee_div_zero 0
		.amdhsa_exception_fp_ieee_overflow 0
		.amdhsa_exception_fp_ieee_underflow 0
		.amdhsa_exception_fp_ieee_inexact 0
		.amdhsa_exception_int_div_zero 0
	.end_amdhsa_kernel
	.section	.text._ZN5aiter37dynamic_per_group_scaled_quant_kernelItDB8_Li32ELi64ELb0ELi64ELb1EEEvPT0_PfPKT_PKfliilPKii,"axG",@progbits,_ZN5aiter37dynamic_per_group_scaled_quant_kernelItDB8_Li32ELi64ELb0ELi64ELb1EEEvPT0_PfPKT_PKfliilPKii,comdat
.Lfunc_end57:
	.size	_ZN5aiter37dynamic_per_group_scaled_quant_kernelItDB8_Li32ELi64ELb0ELi64ELb1EEEvPT0_PfPKT_PKfliilPKii, .Lfunc_end57-_ZN5aiter37dynamic_per_group_scaled_quant_kernelItDB8_Li32ELi64ELb0ELi64ELb1EEEvPT0_PfPKT_PKfliilPKii
                                        ; -- End function
	.section	.AMDGPU.csdata,"",@progbits
; Kernel info:
; codeLenInByte = 3364
; NumSgprs: 18
; NumVgprs: 40
; ScratchSize: 0
; MemoryBound: 0
; FloatMode: 240
; IeeeMode: 1
; LDSByteSize: 0 bytes/workgroup (compile time only)
; SGPRBlocks: 2
; VGPRBlocks: 4
; NumSGPRsForWavesPerEU: 18
; NumVGPRsForWavesPerEU: 40
; Occupancy: 16
; WaveLimiterHint : 0
; COMPUTE_PGM_RSRC2:SCRATCH_EN: 0
; COMPUTE_PGM_RSRC2:USER_SGPR: 15
; COMPUTE_PGM_RSRC2:TRAP_HANDLER: 0
; COMPUTE_PGM_RSRC2:TGID_X_EN: 1
; COMPUTE_PGM_RSRC2:TGID_Y_EN: 0
; COMPUTE_PGM_RSRC2:TGID_Z_EN: 0
; COMPUTE_PGM_RSRC2:TIDIG_COMP_CNT: 0
	.section	.text._ZN5aiter37dynamic_per_group_scaled_quant_kernelIDF16_DB8_Li32ELi128ELb1ELi64ELb1EEEvPT0_PfPKT_PKfliilPKii,"axG",@progbits,_ZN5aiter37dynamic_per_group_scaled_quant_kernelIDF16_DB8_Li32ELi128ELb1ELi64ELb1EEEvPT0_PfPKT_PKfliilPKii,comdat
	.protected	_ZN5aiter37dynamic_per_group_scaled_quant_kernelIDF16_DB8_Li32ELi128ELb1ELi64ELb1EEEvPT0_PfPKT_PKfliilPKii ; -- Begin function _ZN5aiter37dynamic_per_group_scaled_quant_kernelIDF16_DB8_Li32ELi128ELb1ELi64ELb1EEEvPT0_PfPKT_PKfliilPKii
	.globl	_ZN5aiter37dynamic_per_group_scaled_quant_kernelIDF16_DB8_Li32ELi128ELb1ELi64ELb1EEEvPT0_PfPKT_PKfliilPKii
	.p2align	8
	.type	_ZN5aiter37dynamic_per_group_scaled_quant_kernelIDF16_DB8_Li32ELi128ELb1ELi64ELb1EEEvPT0_PfPKT_PKfliilPKii,@function
_ZN5aiter37dynamic_per_group_scaled_quant_kernelIDF16_DB8_Li32ELi128ELb1ELi64ELb1EEEvPT0_PfPKT_PKfliilPKii: ; @_ZN5aiter37dynamic_per_group_scaled_quant_kernelIDF16_DB8_Li32ELi128ELb1ELi64ELb1EEEvPT0_PfPKT_PKfliilPKii
; %bb.0:
	s_load_b64 s[2:3], s[0:1], 0x38
	s_mov_b32 s6, s15
	s_waitcnt lgkmcnt(0)
	s_cmp_eq_u64 s[2:3], 0
	s_cbranch_scc1 .LBB58_2
; %bb.1:
	s_load_b32 s4, s[0:1], 0x40
	s_load_b32 s2, s[2:3], 0x0
	s_waitcnt lgkmcnt(0)
	s_mul_hi_i32 s5, s2, s4
	s_mul_i32 s4, s2, s4
	s_branch .LBB58_3
.LBB58_2:
	s_load_b64 s[4:5], s[0:1], 0x20
.LBB58_3:
	s_load_b64 s[2:3], s[0:1], 0x28
	s_mov_b32 s7, 0
                                        ; implicit-def: $vgpr19_vgpr20
	v_mov_b32_e32 v3, 0
	s_lshl_b64 s[6:7], s[6:7], 6
	s_delay_alu instid0(SALU_CYCLE_1) | instskip(SKIP_2) | instid1(VALU_DEP_1)
	v_or_b32_e32 v1, s6, v0
	v_mov_b32_e32 v2, s7
	s_mov_b32 s6, exec_lo
	v_lshrrev_b64 v[17:18], 2, v[1:2]
	s_waitcnt lgkmcnt(0)
	s_ashr_i32 s8, s2, 31
	s_delay_alu instid0(SALU_CYCLE_1) | instskip(NEXT) | instid1(SALU_CYCLE_1)
	s_lshr_b32 s8, s8, 25
	s_add_i32 s2, s2, s8
	s_delay_alu instid0(SALU_CYCLE_1) | instskip(NEXT) | instid1(SALU_CYCLE_1)
	s_ashr_i32 s11, s2, 7
	s_add_i32 s10, s11, 7
	s_delay_alu instid0(SALU_CYCLE_1) | instskip(NEXT) | instid1(SALU_CYCLE_1)
	s_lshr_b32 s2, s10, 29
	s_add_i32 s10, s10, s2
	s_delay_alu instid0(SALU_CYCLE_1) | instskip(NEXT) | instid1(SALU_CYCLE_1)
	s_and_b32 s12, s10, -8
	s_ashr_i32 s2, s12, 31
	s_delay_alu instid0(SALU_CYCLE_1) | instskip(NEXT) | instid1(VALU_DEP_1)
	v_or_b32_e32 v4, s2, v18
	v_cmpx_ne_u64_e32 0, v[3:4]
	s_xor_b32 s13, exec_lo, s6
	s_cbranch_execz .LBB58_5
; %bb.4:
	s_add_u32 s8, s12, s2
	s_mov_b32 s6, s2
	s_mov_b32 s7, s2
	s_addc_u32 s9, s2, s2
	s_delay_alu instid0(SALU_CYCLE_1) | instskip(NEXT) | instid1(SALU_CYCLE_1)
	s_xor_b64 s[8:9], s[8:9], s[6:7]
	v_cvt_f32_u32_e32 v1, s8
	v_cvt_f32_u32_e32 v2, s9
	s_sub_u32 s2, 0, s8
	s_subb_u32 s14, 0, s9
	s_delay_alu instid0(VALU_DEP_1) | instskip(NEXT) | instid1(VALU_DEP_1)
	v_fmamk_f32 v1, v2, 0x4f800000, v1
	v_rcp_f32_e32 v1, v1
	s_waitcnt_depctr 0xfff
	v_mul_f32_e32 v1, 0x5f7ffffc, v1
	s_delay_alu instid0(VALU_DEP_1) | instskip(NEXT) | instid1(VALU_DEP_1)
	v_mul_f32_e32 v2, 0x2f800000, v1
	v_trunc_f32_e32 v2, v2
	s_delay_alu instid0(VALU_DEP_1) | instskip(SKIP_1) | instid1(VALU_DEP_2)
	v_fmamk_f32 v1, v2, 0xcf800000, v1
	v_cvt_u32_f32_e32 v2, v2
	v_cvt_u32_f32_e32 v1, v1
	s_delay_alu instid0(VALU_DEP_2) | instskip(NEXT) | instid1(VALU_DEP_2)
	v_mul_lo_u32 v3, s2, v2
	v_mul_hi_u32 v4, s2, v1
	v_mul_lo_u32 v5, s14, v1
	s_delay_alu instid0(VALU_DEP_2) | instskip(SKIP_1) | instid1(VALU_DEP_2)
	v_add_nc_u32_e32 v3, v4, v3
	v_mul_lo_u32 v4, s2, v1
	v_add_nc_u32_e32 v3, v3, v5
	s_delay_alu instid0(VALU_DEP_2) | instskip(NEXT) | instid1(VALU_DEP_2)
	v_mul_hi_u32 v5, v1, v4
	v_mul_lo_u32 v6, v1, v3
	v_mul_hi_u32 v7, v1, v3
	v_mul_hi_u32 v8, v2, v4
	v_mul_lo_u32 v4, v2, v4
	v_mul_hi_u32 v9, v2, v3
	v_mul_lo_u32 v3, v2, v3
	v_add_co_u32 v5, vcc_lo, v5, v6
	v_add_co_ci_u32_e32 v6, vcc_lo, 0, v7, vcc_lo
	s_delay_alu instid0(VALU_DEP_2) | instskip(NEXT) | instid1(VALU_DEP_2)
	v_add_co_u32 v4, vcc_lo, v5, v4
	v_add_co_ci_u32_e32 v4, vcc_lo, v6, v8, vcc_lo
	v_add_co_ci_u32_e32 v5, vcc_lo, 0, v9, vcc_lo
	s_delay_alu instid0(VALU_DEP_2) | instskip(NEXT) | instid1(VALU_DEP_2)
	v_add_co_u32 v3, vcc_lo, v4, v3
	v_add_co_ci_u32_e32 v4, vcc_lo, 0, v5, vcc_lo
	s_delay_alu instid0(VALU_DEP_2) | instskip(NEXT) | instid1(VALU_DEP_2)
	v_add_co_u32 v1, vcc_lo, v1, v3
	v_add_co_ci_u32_e32 v2, vcc_lo, v2, v4, vcc_lo
	s_delay_alu instid0(VALU_DEP_2) | instskip(SKIP_1) | instid1(VALU_DEP_3)
	v_mul_hi_u32 v3, s2, v1
	v_mul_lo_u32 v5, s14, v1
	v_mul_lo_u32 v4, s2, v2
	s_delay_alu instid0(VALU_DEP_1) | instskip(SKIP_1) | instid1(VALU_DEP_2)
	v_add_nc_u32_e32 v3, v3, v4
	v_mul_lo_u32 v4, s2, v1
	v_add_nc_u32_e32 v3, v3, v5
	s_delay_alu instid0(VALU_DEP_2) | instskip(NEXT) | instid1(VALU_DEP_2)
	v_mul_hi_u32 v5, v1, v4
	v_mul_lo_u32 v6, v1, v3
	v_mul_hi_u32 v7, v1, v3
	v_mul_hi_u32 v8, v2, v4
	v_mul_lo_u32 v4, v2, v4
	v_mul_hi_u32 v9, v2, v3
	v_mul_lo_u32 v3, v2, v3
	v_add_co_u32 v5, vcc_lo, v5, v6
	v_add_co_ci_u32_e32 v6, vcc_lo, 0, v7, vcc_lo
	s_delay_alu instid0(VALU_DEP_2) | instskip(NEXT) | instid1(VALU_DEP_2)
	v_add_co_u32 v4, vcc_lo, v5, v4
	v_add_co_ci_u32_e32 v4, vcc_lo, v6, v8, vcc_lo
	v_add_co_ci_u32_e32 v5, vcc_lo, 0, v9, vcc_lo
	s_delay_alu instid0(VALU_DEP_2) | instskip(NEXT) | instid1(VALU_DEP_2)
	v_add_co_u32 v3, vcc_lo, v4, v3
	v_add_co_ci_u32_e32 v4, vcc_lo, 0, v5, vcc_lo
	s_delay_alu instid0(VALU_DEP_2) | instskip(NEXT) | instid1(VALU_DEP_2)
	v_add_co_u32 v5, vcc_lo, v1, v3
	v_add_co_ci_u32_e32 v7, vcc_lo, v2, v4, vcc_lo
	s_delay_alu instid0(VALU_DEP_2) | instskip(SKIP_1) | instid1(VALU_DEP_3)
	v_mul_hi_u32 v8, v17, v5
	v_mad_u64_u32 v[3:4], null, v18, v5, 0
	v_mad_u64_u32 v[1:2], null, v17, v7, 0
	;; [unrolled: 1-line block ×3, first 2 shown]
	s_delay_alu instid0(VALU_DEP_2) | instskip(NEXT) | instid1(VALU_DEP_3)
	v_add_co_u32 v1, vcc_lo, v8, v1
	v_add_co_ci_u32_e32 v2, vcc_lo, 0, v2, vcc_lo
	s_delay_alu instid0(VALU_DEP_2) | instskip(NEXT) | instid1(VALU_DEP_2)
	v_add_co_u32 v1, vcc_lo, v1, v3
	v_add_co_ci_u32_e32 v1, vcc_lo, v2, v4, vcc_lo
	v_add_co_ci_u32_e32 v2, vcc_lo, 0, v6, vcc_lo
	s_delay_alu instid0(VALU_DEP_2) | instskip(NEXT) | instid1(VALU_DEP_2)
	v_add_co_u32 v3, vcc_lo, v1, v5
	v_add_co_ci_u32_e32 v4, vcc_lo, 0, v2, vcc_lo
	s_delay_alu instid0(VALU_DEP_2) | instskip(SKIP_1) | instid1(VALU_DEP_3)
	v_mul_lo_u32 v5, s9, v3
	v_mad_u64_u32 v[1:2], null, s8, v3, 0
	v_mul_lo_u32 v6, s8, v4
	s_delay_alu instid0(VALU_DEP_2) | instskip(NEXT) | instid1(VALU_DEP_2)
	v_sub_co_u32 v1, vcc_lo, v17, v1
	v_add3_u32 v2, v2, v6, v5
	s_delay_alu instid0(VALU_DEP_1) | instskip(NEXT) | instid1(VALU_DEP_1)
	v_sub_nc_u32_e32 v5, v18, v2
	v_subrev_co_ci_u32_e64 v5, s2, s9, v5, vcc_lo
	v_add_co_u32 v6, s2, v3, 2
	s_delay_alu instid0(VALU_DEP_1) | instskip(SKIP_3) | instid1(VALU_DEP_3)
	v_add_co_ci_u32_e64 v7, s2, 0, v4, s2
	v_sub_co_u32 v8, s2, v1, s8
	v_sub_co_ci_u32_e32 v2, vcc_lo, v18, v2, vcc_lo
	v_subrev_co_ci_u32_e64 v5, s2, 0, v5, s2
	v_cmp_le_u32_e32 vcc_lo, s8, v8
	s_delay_alu instid0(VALU_DEP_3) | instskip(SKIP_1) | instid1(VALU_DEP_4)
	v_cmp_eq_u32_e64 s2, s9, v2
	v_cndmask_b32_e64 v8, 0, -1, vcc_lo
	v_cmp_le_u32_e32 vcc_lo, s9, v5
	v_cndmask_b32_e64 v9, 0, -1, vcc_lo
	v_cmp_le_u32_e32 vcc_lo, s8, v1
	;; [unrolled: 2-line block ×3, first 2 shown]
	v_cndmask_b32_e64 v10, 0, -1, vcc_lo
	v_cmp_eq_u32_e32 vcc_lo, s9, v5
	s_delay_alu instid0(VALU_DEP_2) | instskip(SKIP_3) | instid1(VALU_DEP_3)
	v_cndmask_b32_e64 v1, v10, v1, s2
	v_cndmask_b32_e32 v5, v9, v8, vcc_lo
	v_add_co_u32 v8, vcc_lo, v3, 1
	v_add_co_ci_u32_e32 v9, vcc_lo, 0, v4, vcc_lo
	v_cmp_ne_u32_e32 vcc_lo, 0, v5
	s_delay_alu instid0(VALU_DEP_2) | instskip(SKIP_1) | instid1(VALU_DEP_2)
	v_dual_cndmask_b32 v2, v9, v7 :: v_dual_cndmask_b32 v5, v8, v6
	v_cmp_ne_u32_e32 vcc_lo, 0, v1
	v_dual_cndmask_b32 v1, v4, v2 :: v_dual_cndmask_b32 v2, v3, v5
	s_delay_alu instid0(VALU_DEP_1) | instskip(NEXT) | instid1(VALU_DEP_2)
	v_xor_b32_e32 v1, s7, v1
	v_xor_b32_e32 v2, s6, v2
	s_delay_alu instid0(VALU_DEP_1) | instskip(NEXT) | instid1(VALU_DEP_3)
	v_sub_co_u32 v19, vcc_lo, v2, s6
	v_subrev_co_ci_u32_e32 v20, vcc_lo, s7, v1, vcc_lo
                                        ; implicit-def: $vgpr1_vgpr2
.LBB58_5:
	s_and_not1_saveexec_b32 s2, s13
	s_cbranch_execz .LBB58_7
; %bb.6:
	v_cvt_f32_u32_e32 v3, s12
	s_sub_i32 s6, 0, s12
	v_alignbit_b32 v1, v2, v1, 2
	v_mov_b32_e32 v20, 0
	s_delay_alu instid0(VALU_DEP_3) | instskip(SKIP_2) | instid1(VALU_DEP_1)
	v_rcp_iflag_f32_e32 v3, v3
	s_waitcnt_depctr 0xfff
	v_mul_f32_e32 v3, 0x4f7ffffe, v3
	v_cvt_u32_f32_e32 v3, v3
	s_delay_alu instid0(VALU_DEP_1) | instskip(NEXT) | instid1(VALU_DEP_1)
	v_mul_lo_u32 v4, s6, v3
	v_mul_hi_u32 v4, v3, v4
	s_delay_alu instid0(VALU_DEP_1) | instskip(NEXT) | instid1(VALU_DEP_1)
	v_add_nc_u32_e32 v2, v3, v4
	v_mul_hi_u32 v2, v1, v2
	s_delay_alu instid0(VALU_DEP_1) | instskip(NEXT) | instid1(VALU_DEP_1)
	v_mul_lo_u32 v3, v2, s12
	v_sub_nc_u32_e32 v1, v1, v3
	v_add_nc_u32_e32 v3, 1, v2
	s_delay_alu instid0(VALU_DEP_2) | instskip(SKIP_1) | instid1(VALU_DEP_2)
	v_subrev_nc_u32_e32 v4, s12, v1
	v_cmp_le_u32_e32 vcc_lo, s12, v1
	v_dual_cndmask_b32 v1, v1, v4 :: v_dual_cndmask_b32 v2, v2, v3
	s_delay_alu instid0(VALU_DEP_1) | instskip(NEXT) | instid1(VALU_DEP_2)
	v_cmp_le_u32_e32 vcc_lo, s12, v1
	v_add_nc_u32_e32 v3, 1, v2
	s_delay_alu instid0(VALU_DEP_1)
	v_cndmask_b32_e32 v19, v2, v3, vcc_lo
.LBB58_7:
	s_or_b32 exec_lo, exec_lo, s2
	s_delay_alu instid0(VALU_DEP_1) | instskip(SKIP_1) | instid1(VALU_DEP_2)
	v_mad_u64_u32 v[1:2], null, v19, s12, 0
	v_cmp_gt_i64_e32 vcc_lo, s[4:5], v[19:20]
	v_sub_co_u32 v27, null, v17, v1
	s_delay_alu instid0(VALU_DEP_1) | instskip(NEXT) | instid1(VALU_DEP_1)
	v_cmp_gt_i32_e64 s2, s11, v27
	s_and_b32 s2, vcc_lo, s2
	s_delay_alu instid0(SALU_CYCLE_1)
	s_and_saveexec_b32 s4, s2
	s_cbranch_execz .LBB58_11
; %bb.8:
	s_ashr_i32 s2, s3, 31
	s_load_b64 s[4:5], s[0:1], 0x10
	v_mul_lo_u32 v3, v20, s3
	v_mad_u64_u32 v[1:2], null, v19, s3, 0
	v_mul_lo_u32 v4, v19, s2
	v_and_b32_e32 v37, 3, v0
	s_delay_alu instid0(VALU_DEP_1) | instskip(NEXT) | instid1(VALU_DEP_3)
	v_lshlrev_b32_e32 v5, 6, v37
	v_add3_u32 v2, v2, v4, v3
	v_dual_mov_b32 v4, 0 :: v_dual_lshlrev_b32 v3, 7, v27
	s_delay_alu instid0(VALU_DEP_2) | instskip(NEXT) | instid1(VALU_DEP_2)
	v_lshlrev_b64 v[1:2], 1, v[1:2]
	v_lshlrev_b64 v[3:4], 1, v[3:4]
	s_waitcnt lgkmcnt(0)
	s_delay_alu instid0(VALU_DEP_2) | instskip(NEXT) | instid1(VALU_DEP_3)
	v_add_co_u32 v1, vcc_lo, s4, v1
	v_add_co_ci_u32_e32 v2, vcc_lo, s5, v2, vcc_lo
	s_load_b64 s[4:5], s[0:1], 0x0
	s_delay_alu instid0(VALU_DEP_2) | instskip(NEXT) | instid1(VALU_DEP_2)
	v_add_co_u32 v1, vcc_lo, v1, v3
	v_add_co_ci_u32_e32 v2, vcc_lo, v2, v4, vcc_lo
	s_delay_alu instid0(VALU_DEP_2) | instskip(NEXT) | instid1(VALU_DEP_2)
	v_add_co_u32 v1, vcc_lo, v1, v5
	v_add_co_ci_u32_e32 v2, vcc_lo, 0, v2, vcc_lo
	s_clause 0x3
	global_load_b128 v[9:12], v[1:2], off
	global_load_b128 v[13:16], v[1:2], off offset:16
	global_load_b128 v[5:8], v[1:2], off offset:32
	;; [unrolled: 1-line block ×3, first 2 shown]
	s_waitcnt vmcnt(3)
	v_lshrrev_b32_e32 v28, 16, v9
	v_cvt_f32_f16_e64 v18, |v9|
	v_lshrrev_b32_e32 v29, 16, v10
	v_cvt_f32_f16_e64 v21, |v10|
	;; [unrolled: 2-line block ×4, first 2 shown]
	s_waitcnt vmcnt(2)
	v_lshrrev_b32_e32 v32, 16, v13
	v_cvt_f32_f16_e64 v23, |v30|
	v_max3_f32 v18, v18, 0x2edbe6ff, v20
	v_cvt_f32_f16_e64 v20, |v11|
	v_lshrrev_b32_e32 v33, 16, v14
	v_lshrrev_b32_e32 v34, 16, v15
	;; [unrolled: 1-line block ×3, first 2 shown]
	v_max3_f32 v18, v18, v21, v22
	v_cvt_f32_f16_e64 v21, |v12|
	v_cvt_f32_f16_e64 v22, |v31|
	s_waitcnt vmcnt(1)
	v_lshrrev_b32_e32 v26, 16, v5
	v_cvt_f32_f16_e64 v24, |v35|
	v_max3_f32 v18, v18, v20, v23
	v_cvt_f32_f16_e64 v20, |v13|
	v_cvt_f32_f16_e64 v23, |v32|
	s_delay_alu instid0(VALU_DEP_3) | instskip(SKIP_2) | instid1(VALU_DEP_3)
	v_max3_f32 v18, v18, v21, v22
	v_cvt_f32_f16_e64 v21, |v14|
	v_cvt_f32_f16_e64 v22, |v33|
	v_max3_f32 v18, v18, v20, v23
	v_cvt_f32_f16_e64 v20, |v15|
	v_cvt_f32_f16_e64 v23, |v34|
	s_delay_alu instid0(VALU_DEP_3) | instskip(SKIP_2) | instid1(VALU_DEP_3)
	v_max3_f32 v18, v18, v21, v22
	v_cvt_f32_f16_e64 v22, |v16|
	v_lshrrev_b32_e32 v21, 16, v6
	v_max3_f32 v18, v18, v20, v23
	v_cvt_f32_f16_e64 v20, |v5|
	v_cvt_f32_f16_e64 v23, |v26|
	s_delay_alu instid0(VALU_DEP_4) | instskip(NEXT) | instid1(VALU_DEP_4)
	v_cvt_f32_f16_e64 v25, |v21|
	v_max3_f32 v18, v18, v22, v24
	v_cvt_f32_f16_e64 v24, |v6|
	v_lshrrev_b32_e32 v22, 16, v7
	s_delay_alu instid0(VALU_DEP_3) | instskip(SKIP_2) | instid1(VALU_DEP_4)
	v_max3_f32 v18, v18, v20, v23
	v_cvt_f32_f16_e64 v20, |v7|
	v_lshrrev_b32_e32 v23, 16, v8
	v_cvt_f32_f16_e64 v36, |v22|
	s_delay_alu instid0(VALU_DEP_4)
	v_max3_f32 v18, v18, v24, v25
	v_cvt_f32_f16_e64 v24, |v8|
	s_waitcnt vmcnt(0)
	v_lshrrev_b32_e32 v25, 16, v1
	v_cvt_f32_f16_e64 v38, |v23|
	v_max3_f32 v18, v18, v20, v36
	v_cvt_f32_f16_e64 v36, |v1|
	v_lshrrev_b32_e32 v20, 16, v2
	v_cvt_f32_f16_e64 v39, |v25|
	s_delay_alu instid0(VALU_DEP_4) | instskip(SKIP_3) | instid1(VALU_DEP_4)
	v_max3_f32 v18, v18, v24, v38
	v_cvt_f32_f16_e64 v38, |v2|
	v_lshrrev_b32_e32 v24, 16, v3
	v_cvt_f32_f16_e64 v40, |v20|
	v_max3_f32 v36, v18, v36, v39
	v_cvt_f32_f16_e64 v39, |v3|
	v_lshrrev_b32_e32 v18, 16, v4
	v_cvt_f32_f16_e64 v41, |v24|
	s_delay_alu instid0(VALU_DEP_4) | instskip(SKIP_1) | instid1(VALU_DEP_4)
	v_max3_f32 v36, v36, v38, v40
	v_cvt_f32_f16_e64 v38, |v4|
	v_cvt_f32_f16_e64 v40, |v18|
	s_delay_alu instid0(VALU_DEP_3) | instskip(NEXT) | instid1(VALU_DEP_1)
	v_max3_f32 v36, v36, v39, v41
	v_max3_f32 v36, v36, v38, v40
	s_delay_alu instid0(VALU_DEP_1) | instskip(NEXT) | instid1(VALU_DEP_1)
	v_mov_b32_dpp v38, v36 quad_perm:[1,0,3,2] row_mask:0xf bank_mask:0xf
	v_cmp_gt_f32_e32 vcc_lo, v36, v38
	v_cndmask_b32_e32 v36, v38, v36, vcc_lo
	s_delay_alu instid0(VALU_DEP_1) | instskip(NEXT) | instid1(VALU_DEP_1)
	v_mov_b32_dpp v38, v36 quad_perm:[2,3,0,1] row_mask:0xf bank_mask:0xf
	v_cmp_gt_f32_e32 vcc_lo, v36, v38
	v_cndmask_b32_e32 v36, v38, v36, vcc_lo
	s_delay_alu instid0(VALU_DEP_1) | instskip(NEXT) | instid1(VALU_DEP_1)
	v_mul_f32_e32 v36, 0x3b124925, v36
	v_bfe_u32 v38, v36, 23, 8
	v_and_b32_e32 v36, 0x7fffff, v36
	s_delay_alu instid0(VALU_DEP_2) | instskip(NEXT) | instid1(VALU_DEP_2)
	v_cmp_ne_u32_e32 vcc_lo, 0xff, v38
	v_cmp_ne_u32_e64 s2, 0, v36
	s_delay_alu instid0(VALU_DEP_1)
	s_and_b32 vcc_lo, s2, vcc_lo
	s_mov_b32 s2, exec_lo
	v_add_co_ci_u32_e32 v36, vcc_lo, 0, v38, vcc_lo
	v_cmpx_eq_u32_e32 0, v37
	s_cbranch_execz .LBB58_10
; %bb.9:
	v_ashrrev_i32_e32 v37, 31, v19
	s_ashr_i32 s3, s10, 3
	s_load_b64 s[6:7], s[0:1], 0x8
	s_delay_alu instid0(VALU_DEP_1) | instskip(SKIP_1) | instid1(VALU_DEP_2)
	v_lshrrev_b32_e32 v38, 27, v37
	v_lshrrev_b32_e32 v37, 28, v37
	v_add_nc_u32_e32 v38, v19, v38
	s_delay_alu instid0(VALU_DEP_2) | instskip(NEXT) | instid1(VALU_DEP_2)
	v_add_nc_u32_e32 v37, v19, v37
	v_and_b32_e32 v39, 0xffe0, v38
	s_delay_alu instid0(VALU_DEP_2) | instskip(SKIP_1) | instid1(VALU_DEP_3)
	v_and_b32_e32 v37, 0x3ffffff0, v37
	v_lshrrev_b32_e32 v38, 5, v38
	v_sub_nc_u32_e32 v39, v19, v39
	s_delay_alu instid0(VALU_DEP_3) | instskip(NEXT) | instid1(VALU_DEP_3)
	v_sub_nc_u32_e32 v19, v19, v37
	v_mul_lo_u32 v38, v38, s3
	s_delay_alu instid0(VALU_DEP_3) | instskip(NEXT) | instid1(VALU_DEP_3)
	v_bfe_i32 v40, v39, 0, 8
	v_lshlrev_b32_e32 v19, 2, v19
	s_delay_alu instid0(VALU_DEP_2) | instskip(NEXT) | instid1(VALU_DEP_1)
	v_lshrrev_b16 v40, 11, v40
	v_and_b32_e32 v40, 15, v40
	s_delay_alu instid0(VALU_DEP_1) | instskip(SKIP_1) | instid1(VALU_DEP_2)
	v_add_nc_u16 v39, v39, v40
	v_lshlrev_b32_e32 v40, 6, v27
	v_bfe_i32 v39, v39, 0, 8
	s_delay_alu instid0(VALU_DEP_2) | instskip(NEXT) | instid1(VALU_DEP_2)
	v_and_b32_e32 v40, 0xc0, v40
	v_ashrrev_i16 v37, 4, v39
	v_lshrrev_b32_e32 v39, 3, v27
	v_lshrrev_b32_e32 v27, 1, v27
	s_delay_alu instid0(VALU_DEP_3) | instskip(NEXT) | instid1(VALU_DEP_3)
	v_bfe_i32 v37, v37, 0, 16
	v_add_lshl_u32 v38, v39, v38, 8
	s_delay_alu instid0(VALU_DEP_3) | instskip(NEXT) | instid1(VALU_DEP_3)
	v_and_b32_e32 v27, 2, v27
	v_add3_u32 v19, v40, v19, v37
	s_delay_alu instid0(VALU_DEP_1) | instskip(NEXT) | instid1(VALU_DEP_1)
	v_add3_u32 v19, v19, v38, v27
	v_ashrrev_i32_e32 v27, 31, v19
	s_waitcnt lgkmcnt(0)
	v_add_co_u32 v37, vcc_lo, s6, v19
	s_delay_alu instid0(VALU_DEP_2)
	v_add_co_ci_u32_e32 v38, vcc_lo, s7, v27, vcc_lo
	global_store_b8 v[37:38], v36, off
.LBB58_10:
	s_or_b32 exec_lo, exec_lo, s2
	s_delay_alu instid0(VALU_DEP_2)
	v_lshlrev_b32_e32 v19, 23, v36
	v_cvt_f32_f16_e32 v9, v9
	v_lshlrev_b32_e32 v0, 5, v0
	s_load_b32 s6, s[0:1], 0x30
	v_cvt_f32_f16_e32 v28, v28
	v_div_scale_f32 v27, null, v19, v19, 1.0
	v_div_scale_f32 v38, vcc_lo, 1.0, v19, 1.0
	v_cvt_f32_f16_e32 v10, v10
	s_delay_alu instid0(VALU_DEP_3)
	v_rcp_f32_e32 v36, v27
	v_cvt_f32_f16_e32 v29, v29
	v_cvt_f32_f16_e32 v30, v30
	;; [unrolled: 1-line block ×9, first 2 shown]
	v_fma_f32 v37, -v27, v36, 1.0
	v_lshlrev_b32_e32 v17, 7, v17
	v_cvt_f32_f16_e32 v33, v33
	v_cvt_f32_f16_e32 v15, v15
	;; [unrolled: 1-line block ×3, first 2 shown]
	v_fmac_f32_e32 v36, v37, v36
	v_cvt_f32_f16_e32 v35, v35
	v_cvt_f32_f16_e32 v5, v5
	;; [unrolled: 1-line block ×4, first 2 shown]
	v_mul_f32_e32 v37, v38, v36
	s_waitcnt lgkmcnt(0)
	s_and_b32 s5, s5, 0xffff
	s_mov_b32 s7, -1
	v_cvt_f32_f16_e32 v7, v7
	v_cvt_f32_f16_e32 v8, v8
	v_fma_f32 v39, -v27, v37, v38
	v_cvt_f32_f16_e32 v2, v2
	v_cvt_f32_f16_e32 v3, v3
	;; [unrolled: 1-line block ×3, first 2 shown]
	s_delay_alu instid0(VALU_DEP_4) | instskip(NEXT) | instid1(VALU_DEP_1)
	v_fmac_f32_e32 v37, v39, v36
	v_fma_f32 v27, -v27, v37, v38
	s_delay_alu instid0(VALU_DEP_1) | instskip(SKIP_3) | instid1(VALU_DEP_4)
	v_div_fmas_f32 v27, v27, v36, v37
	v_mov_b32_e32 v36, 0xc3e00000
	v_mov_b32_e32 v37, 0x43e00000
	v_and_or_b32 v17, 0x60, v0, v17
	v_div_fixup_f32 v19, v27, v19, 1.0
	s_delay_alu instid0(VALU_DEP_1)
	v_mul_f32_e32 v0, v19, v9
	v_mul_f32_e32 v9, v19, v28
	v_mul_f32_e32 v10, v19, v10
	v_mul_f32_e32 v27, v19, v29
	v_mul_f32_e32 v28, v19, v30
	v_mul_f32_e32 v30, v19, v32
	v_mul_f32_e32 v32, v19, v34
	;;#ASMSTART
	v_med3_f32 v0, v0, v36, v37
v_med3_f32 v9, v9, v36, v37
v_cvt_pk_fp8_f32 v34, v0, v9
	;;#ASMEND
	v_mul_f32_e32 v11, v19, v11
	v_mul_f32_e32 v12, v19, v12
	;; [unrolled: 1-line block ×3, first 2 shown]
	;;#ASMSTART
	v_med3_f32 v10, v10, v36, v37
v_med3_f32 v27, v27, v36, v37
v_cvt_pk_fp8_f32 v0, v10, v27
	;;#ASMEND
	v_mul_f32_e32 v13, v19, v13
	v_mul_f32_e32 v14, v19, v14
	;; [unrolled: 1-line block ×3, first 2 shown]
	;;#ASMSTART
	v_med3_f32 v11, v11, v36, v37
v_med3_f32 v28, v28, v36, v37
v_cvt_pk_fp8_f32 v9, v11, v28
	;;#ASMEND
	;;#ASMSTART
	v_med3_f32 v12, v12, v36, v37
v_med3_f32 v29, v29, v36, v37
v_cvt_pk_fp8_f32 v10, v12, v29
	;;#ASMEND
	;; [unrolled: 5-line block ×4, first 2 shown]
	v_perm_b32 v14, v0, v34, 0x5040100
	v_mul_f32_e32 v15, v19, v15
	v_mul_f32_e32 v16, v19, v16
	;; [unrolled: 1-line block ×3, first 2 shown]
	;;#ASMSTART
	v_med3_f32 v15, v15, v36, v37
v_med3_f32 v32, v32, v36, v37
v_cvt_pk_fp8_f32 v13, v15, v32
	;;#ASMEND
	;;#ASMSTART
	v_med3_f32 v16, v16, v36, v37
v_med3_f32 v33, v33, v36, v37
v_cvt_pk_fp8_f32 v15, v16, v33
	;;#ASMEND
	v_perm_b32 v10, v9, v10, 0x1000504
	v_perm_b32 v11, v11, v12, 0x1000504
	v_perm_b32 v12, v13, v15, 0x1000504
	v_perm_b32 v9, v14, v0, 0x1060504
	v_cvt_f32_f16_e32 v0, v21
	v_mul_f32_e32 v6, v19, v6
	v_cvt_f32_f16_e32 v13, v22
	v_cvt_f32_f16_e32 v14, v24
	buffer_store_b128 v[9:12], v17, s[4:7], 0 offen
	v_cvt_f32_f16_e32 v10, v1
	v_mul_f32_e32 v1, v19, v5
	v_mul_f32_e32 v5, v19, v26
	;;#ASMSTART
	s_nop 0
	;;#ASMEND
	v_mul_f32_e32 v0, v19, v0
	;;#ASMSTART
	v_med3_f32 v1, v1, v36, v37
v_med3_f32 v5, v5, v36, v37
v_cvt_pk_fp8_f32 v15, v1, v5
	;;#ASMEND
	;;#ASMSTART
	v_med3_f32 v6, v6, v36, v37
v_med3_f32 v0, v0, v36, v37
v_cvt_pk_fp8_f32 v1, v6, v0
	;;#ASMEND
	v_cvt_f32_f16_e32 v9, v23
	v_perm_b32 v0, v1, v15, 0x5040100
	v_cvt_f32_f16_e32 v11, v25
	v_cvt_f32_f16_e32 v12, v20
	v_mul_f32_e32 v5, v19, v7
	v_mul_f32_e32 v6, v19, v13
	v_mul_f32_e32 v7, v19, v8
	v_mul_f32_e32 v8, v19, v9
	v_cvt_f32_f16_e32 v9, v18
	v_perm_b32 v0, v0, v1, 0x1060504
	;;#ASMSTART
	v_med3_f32 v5, v5, v36, v37
v_med3_f32 v6, v6, v36, v37
v_cvt_pk_fp8_f32 v1, v5, v6
	;;#ASMEND
	;;#ASMSTART
	v_med3_f32 v7, v7, v36, v37
v_med3_f32 v8, v8, v36, v37
v_cvt_pk_fp8_f32 v5, v7, v8
	;;#ASMEND
	v_perm_b32 v1, v1, v5, 0x1000504
	v_mul_f32_e32 v5, v19, v10
	v_mul_f32_e32 v6, v19, v11
	;; [unrolled: 1-line block ×4, first 2 shown]
	;;#ASMSTART
	v_med3_f32 v5, v5, v36, v37
v_med3_f32 v6, v6, v36, v37
v_cvt_pk_fp8_f32 v10, v5, v6
	;;#ASMEND
	v_mul_f32_e32 v3, v19, v3
	v_mul_f32_e32 v8, v19, v14
	;;#ASMSTART
	v_med3_f32 v2, v2, v36, v37
v_med3_f32 v7, v7, v36, v37
v_cvt_pk_fp8_f32 v5, v2, v7
	;;#ASMEND
	v_mul_f32_e32 v4, v19, v4
	v_mul_f32_e32 v9, v19, v9
	v_perm_b32 v2, v10, v5, 0x1000504
	;;#ASMSTART
	v_med3_f32 v3, v3, v36, v37
v_med3_f32 v8, v8, v36, v37
v_cvt_pk_fp8_f32 v5, v3, v8
	;;#ASMEND
	;;#ASMSTART
	v_med3_f32 v4, v4, v36, v37
v_med3_f32 v9, v9, v36, v37
v_cvt_pk_fp8_f32 v3, v4, v9
	;;#ASMEND
	v_perm_b32 v3, v5, v3, 0x1000504
	buffer_store_b128 v[0:3], v17, s[4:7], 16 offen
	;;#ASMSTART
	s_nop 0
	;;#ASMEND
.LBB58_11:
	s_nop 0
	s_sendmsg sendmsg(MSG_DEALLOC_VGPRS)
	s_endpgm
	.section	.rodata,"a",@progbits
	.p2align	6, 0x0
	.amdhsa_kernel _ZN5aiter37dynamic_per_group_scaled_quant_kernelIDF16_DB8_Li32ELi128ELb1ELi64ELb1EEEvPT0_PfPKT_PKfliilPKii
		.amdhsa_group_segment_fixed_size 0
		.amdhsa_private_segment_fixed_size 0
		.amdhsa_kernarg_size 68
		.amdhsa_user_sgpr_count 15
		.amdhsa_user_sgpr_dispatch_ptr 0
		.amdhsa_user_sgpr_queue_ptr 0
		.amdhsa_user_sgpr_kernarg_segment_ptr 1
		.amdhsa_user_sgpr_dispatch_id 0
		.amdhsa_user_sgpr_private_segment_size 0
		.amdhsa_wavefront_size32 1
		.amdhsa_uses_dynamic_stack 0
		.amdhsa_enable_private_segment 0
		.amdhsa_system_sgpr_workgroup_id_x 1
		.amdhsa_system_sgpr_workgroup_id_y 0
		.amdhsa_system_sgpr_workgroup_id_z 0
		.amdhsa_system_sgpr_workgroup_info 0
		.amdhsa_system_vgpr_workitem_id 0
		.amdhsa_next_free_vgpr 42
		.amdhsa_next_free_sgpr 16
		.amdhsa_reserve_vcc 1
		.amdhsa_float_round_mode_32 0
		.amdhsa_float_round_mode_16_64 0
		.amdhsa_float_denorm_mode_32 3
		.amdhsa_float_denorm_mode_16_64 3
		.amdhsa_dx10_clamp 1
		.amdhsa_ieee_mode 1
		.amdhsa_fp16_overflow 0
		.amdhsa_workgroup_processor_mode 1
		.amdhsa_memory_ordered 1
		.amdhsa_forward_progress 0
		.amdhsa_shared_vgpr_count 0
		.amdhsa_exception_fp_ieee_invalid_op 0
		.amdhsa_exception_fp_denorm_src 0
		.amdhsa_exception_fp_ieee_div_zero 0
		.amdhsa_exception_fp_ieee_overflow 0
		.amdhsa_exception_fp_ieee_underflow 0
		.amdhsa_exception_fp_ieee_inexact 0
		.amdhsa_exception_int_div_zero 0
	.end_amdhsa_kernel
	.section	.text._ZN5aiter37dynamic_per_group_scaled_quant_kernelIDF16_DB8_Li32ELi128ELb1ELi64ELb1EEEvPT0_PfPKT_PKfliilPKii,"axG",@progbits,_ZN5aiter37dynamic_per_group_scaled_quant_kernelIDF16_DB8_Li32ELi128ELb1ELi64ELb1EEEvPT0_PfPKT_PKfliilPKii,comdat
.Lfunc_end58:
	.size	_ZN5aiter37dynamic_per_group_scaled_quant_kernelIDF16_DB8_Li32ELi128ELb1ELi64ELb1EEEvPT0_PfPKT_PKfliilPKii, .Lfunc_end58-_ZN5aiter37dynamic_per_group_scaled_quant_kernelIDF16_DB8_Li32ELi128ELb1ELi64ELb1EEEvPT0_PfPKT_PKfliilPKii
                                        ; -- End function
	.section	.AMDGPU.csdata,"",@progbits
; Kernel info:
; codeLenInByte = 3780
; NumSgprs: 18
; NumVgprs: 42
; ScratchSize: 0
; MemoryBound: 0
; FloatMode: 240
; IeeeMode: 1
; LDSByteSize: 0 bytes/workgroup (compile time only)
; SGPRBlocks: 2
; VGPRBlocks: 5
; NumSGPRsForWavesPerEU: 18
; NumVGPRsForWavesPerEU: 42
; Occupancy: 16
; WaveLimiterHint : 0
; COMPUTE_PGM_RSRC2:SCRATCH_EN: 0
; COMPUTE_PGM_RSRC2:USER_SGPR: 15
; COMPUTE_PGM_RSRC2:TRAP_HANDLER: 0
; COMPUTE_PGM_RSRC2:TGID_X_EN: 1
; COMPUTE_PGM_RSRC2:TGID_Y_EN: 0
; COMPUTE_PGM_RSRC2:TGID_Z_EN: 0
; COMPUTE_PGM_RSRC2:TIDIG_COMP_CNT: 0
	.section	.text._ZN5aiter37dynamic_per_group_scaled_quant_kernelItDB8_Li32ELi128ELb1ELi64ELb1EEEvPT0_PfPKT_PKfliilPKii,"axG",@progbits,_ZN5aiter37dynamic_per_group_scaled_quant_kernelItDB8_Li32ELi128ELb1ELi64ELb1EEEvPT0_PfPKT_PKfliilPKii,comdat
	.protected	_ZN5aiter37dynamic_per_group_scaled_quant_kernelItDB8_Li32ELi128ELb1ELi64ELb1EEEvPT0_PfPKT_PKfliilPKii ; -- Begin function _ZN5aiter37dynamic_per_group_scaled_quant_kernelItDB8_Li32ELi128ELb1ELi64ELb1EEEvPT0_PfPKT_PKfliilPKii
	.globl	_ZN5aiter37dynamic_per_group_scaled_quant_kernelItDB8_Li32ELi128ELb1ELi64ELb1EEEvPT0_PfPKT_PKfliilPKii
	.p2align	8
	.type	_ZN5aiter37dynamic_per_group_scaled_quant_kernelItDB8_Li32ELi128ELb1ELi64ELb1EEEvPT0_PfPKT_PKfliilPKii,@function
_ZN5aiter37dynamic_per_group_scaled_quant_kernelItDB8_Li32ELi128ELb1ELi64ELb1EEEvPT0_PfPKT_PKfliilPKii: ; @_ZN5aiter37dynamic_per_group_scaled_quant_kernelItDB8_Li32ELi128ELb1ELi64ELb1EEEvPT0_PfPKT_PKfliilPKii
; %bb.0:
	s_load_b64 s[2:3], s[0:1], 0x38
	s_mov_b32 s6, s15
	s_waitcnt lgkmcnt(0)
	s_cmp_eq_u64 s[2:3], 0
	s_cbranch_scc1 .LBB59_2
; %bb.1:
	s_load_b32 s4, s[0:1], 0x40
	s_load_b32 s2, s[2:3], 0x0
	s_waitcnt lgkmcnt(0)
	s_mul_hi_i32 s5, s2, s4
	s_mul_i32 s4, s2, s4
	s_branch .LBB59_3
.LBB59_2:
	s_load_b64 s[4:5], s[0:1], 0x20
.LBB59_3:
	s_load_b64 s[2:3], s[0:1], 0x28
	s_mov_b32 s7, 0
	v_mov_b32_e32 v3, 0
	s_lshl_b64 s[6:7], s[6:7], 6
	s_delay_alu instid0(SALU_CYCLE_1) | instskip(SKIP_1) | instid1(VALU_DEP_1)
	v_or_b32_e32 v5, s6, v0
	v_mov_b32_e32 v6, s7
	v_lshrrev_b64 v[1:2], 2, v[5:6]
	s_waitcnt lgkmcnt(0)
	s_ashr_i32 s8, s2, 31
	s_delay_alu instid0(SALU_CYCLE_1) | instskip(NEXT) | instid1(SALU_CYCLE_1)
	s_lshr_b32 s8, s8, 25
	s_add_i32 s2, s2, s8
	s_delay_alu instid0(SALU_CYCLE_1) | instskip(NEXT) | instid1(SALU_CYCLE_1)
	s_ashr_i32 s11, s2, 7
	s_add_i32 s10, s11, 7
	s_delay_alu instid0(SALU_CYCLE_1) | instskip(NEXT) | instid1(SALU_CYCLE_1)
	s_lshr_b32 s2, s10, 29
	s_add_i32 s10, s10, s2
	s_delay_alu instid0(SALU_CYCLE_1) | instskip(NEXT) | instid1(SALU_CYCLE_1)
	s_and_b32 s12, s10, -8
	s_ashr_i32 s2, s12, 31
	s_delay_alu instid0(SALU_CYCLE_1) | instskip(NEXT) | instid1(VALU_DEP_1)
	v_or_b32_e32 v4, s2, v2
	v_cmp_ne_u64_e32 vcc_lo, 0, v[3:4]
                                        ; implicit-def: $vgpr3_vgpr4
	s_and_saveexec_b32 s6, vcc_lo
	s_delay_alu instid0(SALU_CYCLE_1)
	s_xor_b32 s13, exec_lo, s6
	s_cbranch_execz .LBB59_5
; %bb.4:
	s_add_u32 s8, s12, s2
	s_mov_b32 s6, s2
	s_mov_b32 s7, s2
	s_addc_u32 s9, s2, s2
	s_delay_alu instid0(SALU_CYCLE_1) | instskip(NEXT) | instid1(SALU_CYCLE_1)
	s_xor_b64 s[8:9], s[8:9], s[6:7]
	v_cvt_f32_u32_e32 v3, s8
	v_cvt_f32_u32_e32 v4, s9
	s_sub_u32 s2, 0, s8
	s_subb_u32 s14, 0, s9
	s_delay_alu instid0(VALU_DEP_1) | instskip(NEXT) | instid1(VALU_DEP_1)
	v_fmamk_f32 v3, v4, 0x4f800000, v3
	v_rcp_f32_e32 v3, v3
	s_waitcnt_depctr 0xfff
	v_mul_f32_e32 v3, 0x5f7ffffc, v3
	s_delay_alu instid0(VALU_DEP_1) | instskip(NEXT) | instid1(VALU_DEP_1)
	v_mul_f32_e32 v4, 0x2f800000, v3
	v_trunc_f32_e32 v4, v4
	s_delay_alu instid0(VALU_DEP_1) | instskip(SKIP_1) | instid1(VALU_DEP_2)
	v_fmamk_f32 v3, v4, 0xcf800000, v3
	v_cvt_u32_f32_e32 v4, v4
	v_cvt_u32_f32_e32 v3, v3
	s_delay_alu instid0(VALU_DEP_2) | instskip(NEXT) | instid1(VALU_DEP_2)
	v_mul_lo_u32 v5, s2, v4
	v_mul_hi_u32 v6, s2, v3
	v_mul_lo_u32 v7, s14, v3
	s_delay_alu instid0(VALU_DEP_2) | instskip(SKIP_1) | instid1(VALU_DEP_2)
	v_add_nc_u32_e32 v5, v6, v5
	v_mul_lo_u32 v6, s2, v3
	v_add_nc_u32_e32 v5, v5, v7
	s_delay_alu instid0(VALU_DEP_2) | instskip(NEXT) | instid1(VALU_DEP_2)
	v_mul_hi_u32 v7, v3, v6
	v_mul_lo_u32 v8, v3, v5
	v_mul_hi_u32 v9, v3, v5
	v_mul_hi_u32 v10, v4, v6
	v_mul_lo_u32 v6, v4, v6
	v_mul_hi_u32 v11, v4, v5
	v_mul_lo_u32 v5, v4, v5
	v_add_co_u32 v7, vcc_lo, v7, v8
	v_add_co_ci_u32_e32 v8, vcc_lo, 0, v9, vcc_lo
	s_delay_alu instid0(VALU_DEP_2) | instskip(NEXT) | instid1(VALU_DEP_2)
	v_add_co_u32 v6, vcc_lo, v7, v6
	v_add_co_ci_u32_e32 v6, vcc_lo, v8, v10, vcc_lo
	v_add_co_ci_u32_e32 v7, vcc_lo, 0, v11, vcc_lo
	s_delay_alu instid0(VALU_DEP_2) | instskip(NEXT) | instid1(VALU_DEP_2)
	v_add_co_u32 v5, vcc_lo, v6, v5
	v_add_co_ci_u32_e32 v6, vcc_lo, 0, v7, vcc_lo
	s_delay_alu instid0(VALU_DEP_2) | instskip(NEXT) | instid1(VALU_DEP_2)
	v_add_co_u32 v3, vcc_lo, v3, v5
	v_add_co_ci_u32_e32 v4, vcc_lo, v4, v6, vcc_lo
	s_delay_alu instid0(VALU_DEP_2) | instskip(SKIP_1) | instid1(VALU_DEP_3)
	v_mul_hi_u32 v5, s2, v3
	v_mul_lo_u32 v7, s14, v3
	v_mul_lo_u32 v6, s2, v4
	s_delay_alu instid0(VALU_DEP_1) | instskip(SKIP_1) | instid1(VALU_DEP_2)
	v_add_nc_u32_e32 v5, v5, v6
	v_mul_lo_u32 v6, s2, v3
	v_add_nc_u32_e32 v5, v5, v7
	s_delay_alu instid0(VALU_DEP_2) | instskip(NEXT) | instid1(VALU_DEP_2)
	v_mul_hi_u32 v7, v3, v6
	v_mul_lo_u32 v8, v3, v5
	v_mul_hi_u32 v9, v3, v5
	v_mul_hi_u32 v10, v4, v6
	v_mul_lo_u32 v6, v4, v6
	v_mul_hi_u32 v11, v4, v5
	v_mul_lo_u32 v5, v4, v5
	v_add_co_u32 v7, vcc_lo, v7, v8
	v_add_co_ci_u32_e32 v8, vcc_lo, 0, v9, vcc_lo
	s_delay_alu instid0(VALU_DEP_2) | instskip(NEXT) | instid1(VALU_DEP_2)
	v_add_co_u32 v6, vcc_lo, v7, v6
	v_add_co_ci_u32_e32 v6, vcc_lo, v8, v10, vcc_lo
	v_add_co_ci_u32_e32 v7, vcc_lo, 0, v11, vcc_lo
	s_delay_alu instid0(VALU_DEP_2) | instskip(NEXT) | instid1(VALU_DEP_2)
	v_add_co_u32 v5, vcc_lo, v6, v5
	v_add_co_ci_u32_e32 v6, vcc_lo, 0, v7, vcc_lo
	s_delay_alu instid0(VALU_DEP_2) | instskip(NEXT) | instid1(VALU_DEP_2)
	v_add_co_u32 v7, vcc_lo, v3, v5
	v_add_co_ci_u32_e32 v9, vcc_lo, v4, v6, vcc_lo
	s_delay_alu instid0(VALU_DEP_2) | instskip(SKIP_1) | instid1(VALU_DEP_3)
	v_mul_hi_u32 v10, v1, v7
	v_mad_u64_u32 v[5:6], null, v2, v7, 0
	v_mad_u64_u32 v[3:4], null, v1, v9, 0
	;; [unrolled: 1-line block ×3, first 2 shown]
	s_delay_alu instid0(VALU_DEP_2) | instskip(NEXT) | instid1(VALU_DEP_3)
	v_add_co_u32 v3, vcc_lo, v10, v3
	v_add_co_ci_u32_e32 v4, vcc_lo, 0, v4, vcc_lo
	s_delay_alu instid0(VALU_DEP_2) | instskip(NEXT) | instid1(VALU_DEP_2)
	v_add_co_u32 v3, vcc_lo, v3, v5
	v_add_co_ci_u32_e32 v3, vcc_lo, v4, v6, vcc_lo
	v_add_co_ci_u32_e32 v4, vcc_lo, 0, v8, vcc_lo
	s_delay_alu instid0(VALU_DEP_2) | instskip(NEXT) | instid1(VALU_DEP_2)
	v_add_co_u32 v5, vcc_lo, v3, v7
	v_add_co_ci_u32_e32 v6, vcc_lo, 0, v4, vcc_lo
	s_delay_alu instid0(VALU_DEP_2) | instskip(SKIP_1) | instid1(VALU_DEP_3)
	v_mul_lo_u32 v7, s9, v5
	v_mad_u64_u32 v[3:4], null, s8, v5, 0
	v_mul_lo_u32 v8, s8, v6
	s_delay_alu instid0(VALU_DEP_2) | instskip(NEXT) | instid1(VALU_DEP_2)
	v_sub_co_u32 v3, vcc_lo, v1, v3
	v_add3_u32 v4, v4, v8, v7
	s_delay_alu instid0(VALU_DEP_1) | instskip(NEXT) | instid1(VALU_DEP_1)
	v_sub_nc_u32_e32 v7, v2, v4
	v_subrev_co_ci_u32_e64 v7, s2, s9, v7, vcc_lo
	v_add_co_u32 v8, s2, v5, 2
	s_delay_alu instid0(VALU_DEP_1) | instskip(SKIP_3) | instid1(VALU_DEP_3)
	v_add_co_ci_u32_e64 v9, s2, 0, v6, s2
	v_sub_co_u32 v10, s2, v3, s8
	v_sub_co_ci_u32_e32 v2, vcc_lo, v2, v4, vcc_lo
	v_subrev_co_ci_u32_e64 v7, s2, 0, v7, s2
	v_cmp_le_u32_e32 vcc_lo, s8, v10
	s_delay_alu instid0(VALU_DEP_3) | instskip(SKIP_1) | instid1(VALU_DEP_4)
	v_cmp_eq_u32_e64 s2, s9, v2
	v_cndmask_b32_e64 v4, 0, -1, vcc_lo
	v_cmp_le_u32_e32 vcc_lo, s9, v7
	v_cndmask_b32_e64 v10, 0, -1, vcc_lo
	v_cmp_le_u32_e32 vcc_lo, s8, v3
	v_cndmask_b32_e64 v3, 0, -1, vcc_lo
	v_cmp_le_u32_e32 vcc_lo, s9, v2
	v_cndmask_b32_e64 v11, 0, -1, vcc_lo
	v_cmp_eq_u32_e32 vcc_lo, s9, v7
	s_delay_alu instid0(VALU_DEP_2) | instskip(SKIP_3) | instid1(VALU_DEP_3)
	v_cndmask_b32_e64 v2, v11, v3, s2
	v_cndmask_b32_e32 v4, v10, v4, vcc_lo
	v_add_co_u32 v7, vcc_lo, v5, 1
	v_add_co_ci_u32_e32 v10, vcc_lo, 0, v6, vcc_lo
	v_cmp_ne_u32_e32 vcc_lo, 0, v4
	s_delay_alu instid0(VALU_DEP_2) | instskip(SKIP_1) | instid1(VALU_DEP_2)
	v_dual_cndmask_b32 v3, v10, v9 :: v_dual_cndmask_b32 v4, v7, v8
	v_cmp_ne_u32_e32 vcc_lo, 0, v2
	v_dual_cndmask_b32 v2, v6, v3 :: v_dual_cndmask_b32 v3, v5, v4
                                        ; implicit-def: $vgpr5_vgpr6
	s_delay_alu instid0(VALU_DEP_1) | instskip(NEXT) | instid1(VALU_DEP_2)
	v_xor_b32_e32 v2, s7, v2
	v_xor_b32_e32 v3, s6, v3
	s_delay_alu instid0(VALU_DEP_1) | instskip(NEXT) | instid1(VALU_DEP_3)
	v_sub_co_u32 v3, vcc_lo, v3, s6
	v_subrev_co_ci_u32_e32 v4, vcc_lo, s7, v2, vcc_lo
.LBB59_5:
	s_and_not1_saveexec_b32 s2, s13
	s_cbranch_execz .LBB59_7
; %bb.6:
	v_cvt_f32_u32_e32 v2, s12
	s_sub_i32 s6, 0, s12
	v_alignbit_b32 v4, v6, v5, 2
	s_delay_alu instid0(VALU_DEP_2) | instskip(SKIP_2) | instid1(VALU_DEP_1)
	v_rcp_iflag_f32_e32 v2, v2
	s_waitcnt_depctr 0xfff
	v_mul_f32_e32 v2, 0x4f7ffffe, v2
	v_cvt_u32_f32_e32 v2, v2
	s_delay_alu instid0(VALU_DEP_1) | instskip(NEXT) | instid1(VALU_DEP_1)
	v_mul_lo_u32 v3, s6, v2
	v_mul_hi_u32 v3, v2, v3
	s_delay_alu instid0(VALU_DEP_1) | instskip(NEXT) | instid1(VALU_DEP_1)
	v_add_nc_u32_e32 v2, v2, v3
	v_mul_hi_u32 v2, v4, v2
	s_delay_alu instid0(VALU_DEP_1) | instskip(NEXT) | instid1(VALU_DEP_1)
	v_mul_lo_u32 v3, v2, s12
	v_sub_nc_u32_e32 v3, v4, v3
	v_add_nc_u32_e32 v4, 1, v2
	s_delay_alu instid0(VALU_DEP_2) | instskip(SKIP_1) | instid1(VALU_DEP_2)
	v_subrev_nc_u32_e32 v5, s12, v3
	v_cmp_le_u32_e32 vcc_lo, s12, v3
	v_dual_cndmask_b32 v3, v3, v5 :: v_dual_cndmask_b32 v2, v2, v4
	s_delay_alu instid0(VALU_DEP_1) | instskip(NEXT) | instid1(VALU_DEP_2)
	v_cmp_le_u32_e32 vcc_lo, s12, v3
	v_add_nc_u32_e32 v4, 1, v2
	s_delay_alu instid0(VALU_DEP_1)
	v_dual_cndmask_b32 v3, v2, v4 :: v_dual_mov_b32 v4, 0
.LBB59_7:
	s_or_b32 exec_lo, exec_lo, s2
	s_delay_alu instid0(VALU_DEP_1) | instskip(NEXT) | instid1(VALU_DEP_2)
	v_mad_u64_u32 v[5:6], null, v3, s12, 0
	v_cmp_gt_i64_e32 vcc_lo, s[4:5], v[3:4]
	s_delay_alu instid0(VALU_DEP_2) | instskip(NEXT) | instid1(VALU_DEP_1)
	v_sub_co_u32 v2, null, v1, v5
	v_cmp_gt_i32_e64 s2, s11, v2
	s_delay_alu instid0(VALU_DEP_1) | instskip(NEXT) | instid1(SALU_CYCLE_1)
	s_and_b32 s2, vcc_lo, s2
	s_and_saveexec_b32 s4, s2
	s_cbranch_execz .LBB59_11
; %bb.8:
	s_ashr_i32 s2, s3, 31
	s_load_b64 s[4:5], s[0:1], 0x10
	v_mul_lo_u32 v6, v4, s3
	v_mad_u64_u32 v[4:5], null, v3, s3, 0
	v_mul_lo_u32 v7, v3, s2
	v_and_b32_e32 v40, 3, v0
	s_delay_alu instid0(VALU_DEP_1) | instskip(NEXT) | instid1(VALU_DEP_3)
	v_lshlrev_b32_e32 v8, 6, v40
	v_add3_u32 v5, v5, v7, v6
	v_dual_mov_b32 v7, 0 :: v_dual_lshlrev_b32 v6, 7, v2
	s_delay_alu instid0(VALU_DEP_2) | instskip(NEXT) | instid1(VALU_DEP_2)
	v_lshlrev_b64 v[4:5], 1, v[4:5]
	v_lshlrev_b64 v[6:7], 1, v[6:7]
	s_waitcnt lgkmcnt(0)
	s_delay_alu instid0(VALU_DEP_2) | instskip(NEXT) | instid1(VALU_DEP_3)
	v_add_co_u32 v4, vcc_lo, s4, v4
	v_add_co_ci_u32_e32 v5, vcc_lo, s5, v5, vcc_lo
	s_load_b64 s[4:5], s[0:1], 0x0
	s_delay_alu instid0(VALU_DEP_2) | instskip(NEXT) | instid1(VALU_DEP_2)
	v_add_co_u32 v4, vcc_lo, v4, v6
	v_add_co_ci_u32_e32 v5, vcc_lo, v5, v7, vcc_lo
	s_delay_alu instid0(VALU_DEP_2) | instskip(NEXT) | instid1(VALU_DEP_2)
	v_add_co_u32 v17, vcc_lo, v4, v8
	v_add_co_ci_u32_e32 v18, vcc_lo, 0, v5, vcc_lo
	s_clause 0x3
	global_load_b128 v[4:7], v[17:18], off
	global_load_b128 v[8:11], v[17:18], off offset:16
	global_load_b128 v[13:16], v[17:18], off offset:32
	;; [unrolled: 1-line block ×3, first 2 shown]
	s_waitcnt vmcnt(3)
	v_and_b32_e32 v12, 0xffff, v4
	v_lshrrev_b32_e32 v4, 16, v4
	v_and_b32_e32 v17, 0xffff, v5
	v_lshrrev_b32_e32 v5, 16, v5
	s_waitcnt vmcnt(0)
	v_lshrrev_b32_e32 v19, 16, v37
	v_cvt_f32_u32_e32 v34, v12
	v_cvt_f32_u32_e32 v35, v4
	v_and_b32_e32 v4, 0xffff, v6
	v_lshrrev_b32_e32 v6, 16, v6
	v_cvt_f32_u32_e32 v32, v17
	v_cvt_f32_u32_e32 v33, v5
	v_max3_f32 v5, v34, 0x2edbe6ff, v35
	v_and_b32_e32 v12, 0xffff, v7
	v_lshrrev_b32_e32 v7, 16, v7
	v_cvt_f32_u32_e32 v28, v4
	v_cvt_f32_u32_e32 v29, v6
	v_max3_f32 v4, v5, v32, v33
	;; [unrolled: 5-line block ×11, first 2 shown]
	v_and_b32_e32 v7, 0xffff, v37
	v_cvt_f32_u32_e32 v16, v5
	v_cvt_f32_u32_e32 v17, v6
	v_and_b32_e32 v5, 0xffff, v38
	v_max3_f32 v4, v4, v10, v11
	v_lshrrev_b32_e32 v36, 16, v38
	v_cvt_f32_u32_e32 v18, v7
	v_cvt_f32_u32_e32 v19, v19
	v_and_b32_e32 v37, 0xffff, v39
	v_max3_f32 v4, v4, v16, v17
	v_lshrrev_b32_e32 v38, 16, v39
	v_cvt_f32_u32_e32 v6, v5
	v_cvt_f32_u32_e32 v7, v36
	s_delay_alu instid0(VALU_DEP_4) | instskip(SKIP_2) | instid1(VALU_DEP_3)
	v_max3_f32 v36, v4, v18, v19
	v_cvt_f32_u32_e32 v4, v37
	v_cvt_f32_u32_e32 v5, v38
	v_max3_f32 v36, v36, v6, v7
	s_delay_alu instid0(VALU_DEP_1) | instskip(NEXT) | instid1(VALU_DEP_1)
	v_max3_f32 v36, v36, v4, v5
	v_mov_b32_dpp v37, v36 quad_perm:[1,0,3,2] row_mask:0xf bank_mask:0xf
	s_delay_alu instid0(VALU_DEP_1) | instskip(SKIP_1) | instid1(VALU_DEP_1)
	v_cmp_gt_f32_e32 vcc_lo, v36, v37
	v_cndmask_b32_e32 v36, v37, v36, vcc_lo
	v_mov_b32_dpp v37, v36 quad_perm:[2,3,0,1] row_mask:0xf bank_mask:0xf
	s_delay_alu instid0(VALU_DEP_1) | instskip(SKIP_1) | instid1(VALU_DEP_1)
	v_cmp_gt_f32_e32 vcc_lo, v36, v37
	v_cndmask_b32_e32 v36, v37, v36, vcc_lo
	v_mul_f32_e32 v36, 0x3b124925, v36
	s_delay_alu instid0(VALU_DEP_1) | instskip(SKIP_1) | instid1(VALU_DEP_2)
	v_bfe_u32 v37, v36, 23, 8
	v_and_b32_e32 v36, 0x7fffff, v36
	v_cmp_ne_u32_e32 vcc_lo, 0xff, v37
	s_delay_alu instid0(VALU_DEP_2) | instskip(NEXT) | instid1(VALU_DEP_1)
	v_cmp_ne_u32_e64 s2, 0, v36
	s_and_b32 vcc_lo, s2, vcc_lo
	s_mov_b32 s2, exec_lo
	v_add_co_ci_u32_e32 v36, vcc_lo, 0, v37, vcc_lo
	v_cmpx_eq_u32_e32 0, v40
	s_cbranch_execz .LBB59_10
; %bb.9:
	v_ashrrev_i32_e32 v37, 31, v3
	s_ashr_i32 s3, s10, 3
	s_load_b64 s[6:7], s[0:1], 0x8
	s_delay_alu instid0(VALU_DEP_1) | instskip(SKIP_1) | instid1(VALU_DEP_2)
	v_lshrrev_b32_e32 v38, 27, v37
	v_lshrrev_b32_e32 v37, 28, v37
	v_add_nc_u32_e32 v38, v3, v38
	s_delay_alu instid0(VALU_DEP_2) | instskip(NEXT) | instid1(VALU_DEP_2)
	v_add_nc_u32_e32 v37, v3, v37
	v_and_b32_e32 v39, 0xffe0, v38
	s_delay_alu instid0(VALU_DEP_2) | instskip(SKIP_1) | instid1(VALU_DEP_3)
	v_and_b32_e32 v37, 0x3ffffff0, v37
	v_lshrrev_b32_e32 v38, 5, v38
	v_sub_nc_u32_e32 v39, v3, v39
	s_delay_alu instid0(VALU_DEP_3) | instskip(NEXT) | instid1(VALU_DEP_3)
	v_sub_nc_u32_e32 v3, v3, v37
	v_mul_lo_u32 v38, v38, s3
	s_delay_alu instid0(VALU_DEP_3) | instskip(NEXT) | instid1(VALU_DEP_3)
	v_bfe_i32 v40, v39, 0, 8
	v_lshlrev_b32_e32 v3, 2, v3
	s_delay_alu instid0(VALU_DEP_2) | instskip(NEXT) | instid1(VALU_DEP_1)
	v_lshrrev_b16 v40, 11, v40
	v_and_b32_e32 v40, 15, v40
	s_delay_alu instid0(VALU_DEP_1) | instskip(SKIP_1) | instid1(VALU_DEP_2)
	v_add_nc_u16 v39, v39, v40
	v_lshlrev_b32_e32 v40, 6, v2
	v_bfe_i32 v39, v39, 0, 8
	s_delay_alu instid0(VALU_DEP_2) | instskip(NEXT) | instid1(VALU_DEP_2)
	v_and_b32_e32 v40, 0xc0, v40
	v_ashrrev_i16 v37, 4, v39
	v_lshrrev_b32_e32 v39, 3, v2
	v_lshrrev_b32_e32 v2, 1, v2
	s_delay_alu instid0(VALU_DEP_3) | instskip(NEXT) | instid1(VALU_DEP_3)
	v_bfe_i32 v37, v37, 0, 16
	v_add_lshl_u32 v38, v39, v38, 8
	s_delay_alu instid0(VALU_DEP_3) | instskip(NEXT) | instid1(VALU_DEP_3)
	v_and_b32_e32 v2, 2, v2
	v_add3_u32 v3, v40, v3, v37
	s_delay_alu instid0(VALU_DEP_1) | instskip(NEXT) | instid1(VALU_DEP_1)
	v_add3_u32 v2, v3, v38, v2
	v_ashrrev_i32_e32 v3, 31, v2
	s_waitcnt lgkmcnt(0)
	v_add_co_u32 v2, vcc_lo, s6, v2
	s_delay_alu instid0(VALU_DEP_2)
	v_add_co_ci_u32_e32 v3, vcc_lo, s7, v3, vcc_lo
	global_store_b8 v[2:3], v36, off
.LBB59_10:
	s_or_b32 exec_lo, exec_lo, s2
	s_delay_alu instid0(VALU_DEP_2)
	v_lshlrev_b32_e32 v2, 23, v36
	s_load_b32 s6, s[0:1], 0x30
	s_waitcnt lgkmcnt(0)
	s_and_b32 s5, s5, 0xffff
	s_mov_b32 s7, -1
	v_lshlrev_b32_e32 v1, 7, v1
	v_div_scale_f32 v3, null, v2, v2, 1.0
	v_div_scale_f32 v38, vcc_lo, 1.0, v2, 1.0
	s_delay_alu instid0(VALU_DEP_2) | instskip(SKIP_2) | instid1(VALU_DEP_1)
	v_rcp_f32_e32 v36, v3
	s_waitcnt_depctr 0xfff
	v_fma_f32 v37, -v3, v36, 1.0
	v_fmac_f32_e32 v36, v37, v36
	s_delay_alu instid0(VALU_DEP_1) | instskip(NEXT) | instid1(VALU_DEP_1)
	v_mul_f32_e32 v37, v38, v36
	v_fma_f32 v39, -v3, v37, v38
	s_delay_alu instid0(VALU_DEP_1) | instskip(NEXT) | instid1(VALU_DEP_1)
	v_fmac_f32_e32 v37, v39, v36
	v_fma_f32 v3, -v3, v37, v38
	v_mov_b32_e32 v38, 0x43e00000
	s_delay_alu instid0(VALU_DEP_2) | instskip(SKIP_1) | instid1(VALU_DEP_2)
	v_div_fmas_f32 v3, v3, v36, v37
	v_mov_b32_e32 v37, 0xc3e00000
	v_div_fixup_f32 v36, v3, v2, 1.0
	v_lshlrev_b32_e32 v0, 5, v0
	s_delay_alu instid0(VALU_DEP_2) | instskip(NEXT) | instid1(VALU_DEP_2)
	v_mul_f32_e32 v2, v36, v32
	v_and_or_b32 v39, 0x60, v0, v1
	v_mul_f32_e32 v1, v36, v35
	v_mul_f32_e32 v0, v36, v34
	;; [unrolled: 1-line block ×3, first 2 shown]
	;;#ASMSTART
	v_med3_f32 v0, v0, v37, v38
v_med3_f32 v1, v1, v37, v38
v_cvt_pk_fp8_f32 v32, v0, v1
	;;#ASMEND
	v_mul_f32_e32 v28, v36, v28
	v_mul_f32_e32 v29, v36, v29
	;; [unrolled: 1-line block ×6, first 2 shown]
	;;#ASMSTART
	v_med3_f32 v2, v2, v37, v38
v_med3_f32 v3, v3, v37, v38
v_cvt_pk_fp8_f32 v0, v2, v3
	;;#ASMEND
	v_mul_f32_e32 v26, v36, v26
	v_mul_f32_e32 v27, v36, v27
	;; [unrolled: 1-line block ×4, first 2 shown]
	;;#ASMSTART
	v_med3_f32 v28, v28, v37, v38
v_med3_f32 v29, v29, v37, v38
v_cvt_pk_fp8_f32 v1, v28, v29
	;;#ASMEND
	;;#ASMSTART
	v_med3_f32 v30, v30, v37, v38
v_med3_f32 v31, v31, v37, v38
v_cvt_pk_fp8_f32 v2, v30, v31
	;;#ASMEND
	;;#ASMSTART
	v_med3_f32 v24, v24, v37, v38
v_med3_f32 v25, v25, v37, v38
v_cvt_pk_fp8_f32 v3, v24, v25
	;;#ASMEND
	;;#ASMSTART
	v_med3_f32 v26, v26, v37, v38
v_med3_f32 v27, v27, v37, v38
v_cvt_pk_fp8_f32 v24, v26, v27
	;;#ASMEND
	;;#ASMSTART
	v_med3_f32 v20, v20, v37, v38
v_med3_f32 v21, v21, v37, v38
v_cvt_pk_fp8_f32 v25, v20, v21
	;;#ASMEND
	v_perm_b32 v20, v0, v32, 0x5040100
	v_mul_f32_e32 v22, v36, v22
	v_mul_f32_e32 v23, v36, v23
	;;#ASMSTART
	v_med3_f32 v22, v22, v37, v38
v_med3_f32 v23, v23, v37, v38
v_cvt_pk_fp8_f32 v21, v22, v23
	;;#ASMEND
	v_perm_b32 v1, v1, v2, 0x1000504
	v_perm_b32 v2, v3, v24, 0x1000504
	;; [unrolled: 1-line block ×4, first 2 shown]
	v_mul_f32_e32 v12, v36, v12
	v_mul_f32_e32 v13, v36, v13
	;; [unrolled: 1-line block ×4, first 2 shown]
	buffer_store_b128 v[0:3], v39, s[4:7], 0 offen
	;;#ASMSTART
	s_nop 0
	;;#ASMEND
	;;#ASMSTART
	v_med3_f32 v12, v12, v37, v38
v_med3_f32 v13, v13, v37, v38
v_cvt_pk_fp8_f32 v0, v12, v13
	;;#ASMEND
	;;#ASMSTART
	v_med3_f32 v14, v14, v37, v38
v_med3_f32 v15, v15, v37, v38
v_cvt_pk_fp8_f32 v12, v14, v15
	;;#ASMEND
	v_perm_b32 v0, v12, v0, 0x5040100
	v_mul_f32_e32 v8, v36, v8
	v_mul_f32_e32 v9, v36, v9
	;; [unrolled: 1-line block ×10, first 2 shown]
	;;#ASMSTART
	v_med3_f32 v8, v8, v37, v38
v_med3_f32 v9, v9, v37, v38
v_cvt_pk_fp8_f32 v1, v8, v9
	;;#ASMEND
	v_mul_f32_e32 v4, v36, v4
	v_mul_f32_e32 v5, v36, v5
	;;#ASMSTART
	v_med3_f32 v10, v10, v37, v38
v_med3_f32 v11, v11, v37, v38
v_cvt_pk_fp8_f32 v2, v10, v11
	;;#ASMEND
	;;#ASMSTART
	v_med3_f32 v16, v16, v37, v38
v_med3_f32 v17, v17, v37, v38
v_cvt_pk_fp8_f32 v3, v16, v17
	;;#ASMEND
	;;#ASMSTART
	v_med3_f32 v18, v18, v37, v38
v_med3_f32 v19, v19, v37, v38
v_cvt_pk_fp8_f32 v8, v18, v19
	;;#ASMEND
	;;#ASMSTART
	v_med3_f32 v6, v6, v37, v38
v_med3_f32 v7, v7, v37, v38
v_cvt_pk_fp8_f32 v9, v6, v7
	;;#ASMEND
	;;#ASMSTART
	v_med3_f32 v4, v4, v37, v38
v_med3_f32 v5, v5, v37, v38
v_cvt_pk_fp8_f32 v6, v4, v5
	;;#ASMEND
	v_perm_b32 v1, v1, v2, 0x1000504
	v_perm_b32 v2, v3, v8, 0x1000504
	;; [unrolled: 1-line block ×4, first 2 shown]
	buffer_store_b128 v[0:3], v39, s[4:7], 16 offen
	;;#ASMSTART
	s_nop 0
	;;#ASMEND
.LBB59_11:
	s_nop 0
	s_sendmsg sendmsg(MSG_DEALLOC_VGPRS)
	s_endpgm
	.section	.rodata,"a",@progbits
	.p2align	6, 0x0
	.amdhsa_kernel _ZN5aiter37dynamic_per_group_scaled_quant_kernelItDB8_Li32ELi128ELb1ELi64ELb1EEEvPT0_PfPKT_PKfliilPKii
		.amdhsa_group_segment_fixed_size 0
		.amdhsa_private_segment_fixed_size 0
		.amdhsa_kernarg_size 68
		.amdhsa_user_sgpr_count 15
		.amdhsa_user_sgpr_dispatch_ptr 0
		.amdhsa_user_sgpr_queue_ptr 0
		.amdhsa_user_sgpr_kernarg_segment_ptr 1
		.amdhsa_user_sgpr_dispatch_id 0
		.amdhsa_user_sgpr_private_segment_size 0
		.amdhsa_wavefront_size32 1
		.amdhsa_uses_dynamic_stack 0
		.amdhsa_enable_private_segment 0
		.amdhsa_system_sgpr_workgroup_id_x 1
		.amdhsa_system_sgpr_workgroup_id_y 0
		.amdhsa_system_sgpr_workgroup_id_z 0
		.amdhsa_system_sgpr_workgroup_info 0
		.amdhsa_system_vgpr_workitem_id 0
		.amdhsa_next_free_vgpr 41
		.amdhsa_next_free_sgpr 16
		.amdhsa_reserve_vcc 1
		.amdhsa_float_round_mode_32 0
		.amdhsa_float_round_mode_16_64 0
		.amdhsa_float_denorm_mode_32 3
		.amdhsa_float_denorm_mode_16_64 3
		.amdhsa_dx10_clamp 1
		.amdhsa_ieee_mode 1
		.amdhsa_fp16_overflow 0
		.amdhsa_workgroup_processor_mode 1
		.amdhsa_memory_ordered 1
		.amdhsa_forward_progress 0
		.amdhsa_shared_vgpr_count 0
		.amdhsa_exception_fp_ieee_invalid_op 0
		.amdhsa_exception_fp_denorm_src 0
		.amdhsa_exception_fp_ieee_div_zero 0
		.amdhsa_exception_fp_ieee_overflow 0
		.amdhsa_exception_fp_ieee_underflow 0
		.amdhsa_exception_fp_ieee_inexact 0
		.amdhsa_exception_int_div_zero 0
	.end_amdhsa_kernel
	.section	.text._ZN5aiter37dynamic_per_group_scaled_quant_kernelItDB8_Li32ELi128ELb1ELi64ELb1EEEvPT0_PfPKT_PKfliilPKii,"axG",@progbits,_ZN5aiter37dynamic_per_group_scaled_quant_kernelItDB8_Li32ELi128ELb1ELi64ELb1EEEvPT0_PfPKT_PKfliilPKii,comdat
.Lfunc_end59:
	.size	_ZN5aiter37dynamic_per_group_scaled_quant_kernelItDB8_Li32ELi128ELb1ELi64ELb1EEEvPT0_PfPKT_PKfliilPKii, .Lfunc_end59-_ZN5aiter37dynamic_per_group_scaled_quant_kernelItDB8_Li32ELi128ELb1ELi64ELb1EEEvPT0_PfPKT_PKfliilPKii
                                        ; -- End function
	.section	.AMDGPU.csdata,"",@progbits
; Kernel info:
; codeLenInByte = 3628
; NumSgprs: 18
; NumVgprs: 41
; ScratchSize: 0
; MemoryBound: 0
; FloatMode: 240
; IeeeMode: 1
; LDSByteSize: 0 bytes/workgroup (compile time only)
; SGPRBlocks: 2
; VGPRBlocks: 5
; NumSGPRsForWavesPerEU: 18
; NumVGPRsForWavesPerEU: 41
; Occupancy: 16
; WaveLimiterHint : 0
; COMPUTE_PGM_RSRC2:SCRATCH_EN: 0
; COMPUTE_PGM_RSRC2:USER_SGPR: 15
; COMPUTE_PGM_RSRC2:TRAP_HANDLER: 0
; COMPUTE_PGM_RSRC2:TGID_X_EN: 1
; COMPUTE_PGM_RSRC2:TGID_Y_EN: 0
; COMPUTE_PGM_RSRC2:TGID_Z_EN: 0
; COMPUTE_PGM_RSRC2:TIDIG_COMP_CNT: 0
	.section	.text._ZN5aiter37dynamic_per_group_scaled_quant_kernelIDF16_DB8_Li32ELi128ELb0ELi64ELb1EEEvPT0_PfPKT_PKfliilPKii,"axG",@progbits,_ZN5aiter37dynamic_per_group_scaled_quant_kernelIDF16_DB8_Li32ELi128ELb0ELi64ELb1EEEvPT0_PfPKT_PKfliilPKii,comdat
	.protected	_ZN5aiter37dynamic_per_group_scaled_quant_kernelIDF16_DB8_Li32ELi128ELb0ELi64ELb1EEEvPT0_PfPKT_PKfliilPKii ; -- Begin function _ZN5aiter37dynamic_per_group_scaled_quant_kernelIDF16_DB8_Li32ELi128ELb0ELi64ELb1EEEvPT0_PfPKT_PKfliilPKii
	.globl	_ZN5aiter37dynamic_per_group_scaled_quant_kernelIDF16_DB8_Li32ELi128ELb0ELi64ELb1EEEvPT0_PfPKT_PKfliilPKii
	.p2align	8
	.type	_ZN5aiter37dynamic_per_group_scaled_quant_kernelIDF16_DB8_Li32ELi128ELb0ELi64ELb1EEEvPT0_PfPKT_PKfliilPKii,@function
_ZN5aiter37dynamic_per_group_scaled_quant_kernelIDF16_DB8_Li32ELi128ELb0ELi64ELb1EEEvPT0_PfPKT_PKfliilPKii: ; @_ZN5aiter37dynamic_per_group_scaled_quant_kernelIDF16_DB8_Li32ELi128ELb0ELi64ELb1EEEvPT0_PfPKT_PKfliilPKii
; %bb.0:
	s_load_b64 s[2:3], s[0:1], 0x38
	s_mov_b32 s6, s15
	s_waitcnt lgkmcnt(0)
	s_cmp_eq_u64 s[2:3], 0
	s_cbranch_scc1 .LBB60_2
; %bb.1:
	s_load_b32 s4, s[0:1], 0x40
	s_load_b32 s2, s[2:3], 0x0
	s_waitcnt lgkmcnt(0)
	s_mul_hi_i32 s5, s2, s4
	s_mul_i32 s4, s2, s4
	s_branch .LBB60_3
.LBB60_2:
	s_load_b64 s[4:5], s[0:1], 0x20
.LBB60_3:
	s_load_b64 s[2:3], s[0:1], 0x28
	s_mov_b32 s7, 0
	v_mov_b32_e32 v1, 0
	s_lshl_b64 s[6:7], s[6:7], 6
	s_delay_alu instid0(SALU_CYCLE_1) | instskip(SKIP_1) | instid1(VALU_DEP_1)
	v_or_b32_e32 v3, s6, v0
	v_mov_b32_e32 v4, s7
	v_lshrrev_b64 v[17:18], 2, v[3:4]
	s_waitcnt lgkmcnt(0)
	s_ashr_i32 s6, s2, 31
	s_delay_alu instid0(SALU_CYCLE_1) | instskip(NEXT) | instid1(SALU_CYCLE_1)
	s_lshr_b32 s6, s6, 25
	s_add_i32 s2, s2, s6
	s_delay_alu instid0(SALU_CYCLE_1) | instskip(NEXT) | instid1(SALU_CYCLE_1)
	s_ashr_i32 s10, s2, 7
	s_ashr_i32 s2, s10, 31
	s_delay_alu instid0(SALU_CYCLE_1) | instskip(NEXT) | instid1(VALU_DEP_1)
	v_or_b32_e32 v2, s2, v18
	v_cmp_ne_u64_e32 vcc_lo, 0, v[1:2]
                                        ; implicit-def: $vgpr1_vgpr2
	s_and_saveexec_b32 s6, vcc_lo
	s_delay_alu instid0(SALU_CYCLE_1)
	s_xor_b32 s11, exec_lo, s6
	s_cbranch_execz .LBB60_5
; %bb.4:
	s_add_u32 s8, s10, s2
	s_mov_b32 s6, s2
	s_mov_b32 s7, s2
	s_addc_u32 s9, s2, s2
	s_delay_alu instid0(SALU_CYCLE_1) | instskip(NEXT) | instid1(SALU_CYCLE_1)
	s_xor_b64 s[8:9], s[8:9], s[6:7]
	v_cvt_f32_u32_e32 v1, s8
	v_cvt_f32_u32_e32 v2, s9
	s_sub_u32 s2, 0, s8
	s_subb_u32 s12, 0, s9
	s_delay_alu instid0(VALU_DEP_1) | instskip(NEXT) | instid1(VALU_DEP_1)
	v_fmamk_f32 v1, v2, 0x4f800000, v1
	v_rcp_f32_e32 v1, v1
	s_waitcnt_depctr 0xfff
	v_mul_f32_e32 v1, 0x5f7ffffc, v1
	s_delay_alu instid0(VALU_DEP_1) | instskip(NEXT) | instid1(VALU_DEP_1)
	v_mul_f32_e32 v2, 0x2f800000, v1
	v_trunc_f32_e32 v2, v2
	s_delay_alu instid0(VALU_DEP_1) | instskip(SKIP_1) | instid1(VALU_DEP_2)
	v_fmamk_f32 v1, v2, 0xcf800000, v1
	v_cvt_u32_f32_e32 v2, v2
	v_cvt_u32_f32_e32 v1, v1
	s_delay_alu instid0(VALU_DEP_2) | instskip(NEXT) | instid1(VALU_DEP_2)
	v_mul_lo_u32 v3, s2, v2
	v_mul_hi_u32 v4, s2, v1
	v_mul_lo_u32 v5, s12, v1
	s_delay_alu instid0(VALU_DEP_2) | instskip(SKIP_1) | instid1(VALU_DEP_2)
	v_add_nc_u32_e32 v3, v4, v3
	v_mul_lo_u32 v4, s2, v1
	v_add_nc_u32_e32 v3, v3, v5
	s_delay_alu instid0(VALU_DEP_2) | instskip(NEXT) | instid1(VALU_DEP_2)
	v_mul_hi_u32 v5, v1, v4
	v_mul_lo_u32 v6, v1, v3
	v_mul_hi_u32 v7, v1, v3
	v_mul_hi_u32 v8, v2, v4
	v_mul_lo_u32 v4, v2, v4
	v_mul_hi_u32 v9, v2, v3
	v_mul_lo_u32 v3, v2, v3
	v_add_co_u32 v5, vcc_lo, v5, v6
	v_add_co_ci_u32_e32 v6, vcc_lo, 0, v7, vcc_lo
	s_delay_alu instid0(VALU_DEP_2) | instskip(NEXT) | instid1(VALU_DEP_2)
	v_add_co_u32 v4, vcc_lo, v5, v4
	v_add_co_ci_u32_e32 v4, vcc_lo, v6, v8, vcc_lo
	v_add_co_ci_u32_e32 v5, vcc_lo, 0, v9, vcc_lo
	s_delay_alu instid0(VALU_DEP_2) | instskip(NEXT) | instid1(VALU_DEP_2)
	v_add_co_u32 v3, vcc_lo, v4, v3
	v_add_co_ci_u32_e32 v4, vcc_lo, 0, v5, vcc_lo
	s_delay_alu instid0(VALU_DEP_2) | instskip(NEXT) | instid1(VALU_DEP_2)
	v_add_co_u32 v1, vcc_lo, v1, v3
	v_add_co_ci_u32_e32 v2, vcc_lo, v2, v4, vcc_lo
	s_delay_alu instid0(VALU_DEP_2) | instskip(SKIP_1) | instid1(VALU_DEP_3)
	v_mul_hi_u32 v3, s2, v1
	v_mul_lo_u32 v5, s12, v1
	v_mul_lo_u32 v4, s2, v2
	s_delay_alu instid0(VALU_DEP_1) | instskip(SKIP_1) | instid1(VALU_DEP_2)
	v_add_nc_u32_e32 v3, v3, v4
	v_mul_lo_u32 v4, s2, v1
	v_add_nc_u32_e32 v3, v3, v5
	s_delay_alu instid0(VALU_DEP_2) | instskip(NEXT) | instid1(VALU_DEP_2)
	v_mul_hi_u32 v5, v1, v4
	v_mul_lo_u32 v6, v1, v3
	v_mul_hi_u32 v7, v1, v3
	v_mul_hi_u32 v8, v2, v4
	v_mul_lo_u32 v4, v2, v4
	v_mul_hi_u32 v9, v2, v3
	v_mul_lo_u32 v3, v2, v3
	v_add_co_u32 v5, vcc_lo, v5, v6
	v_add_co_ci_u32_e32 v6, vcc_lo, 0, v7, vcc_lo
	s_delay_alu instid0(VALU_DEP_2) | instskip(NEXT) | instid1(VALU_DEP_2)
	v_add_co_u32 v4, vcc_lo, v5, v4
	v_add_co_ci_u32_e32 v4, vcc_lo, v6, v8, vcc_lo
	v_add_co_ci_u32_e32 v5, vcc_lo, 0, v9, vcc_lo
	s_delay_alu instid0(VALU_DEP_2) | instskip(NEXT) | instid1(VALU_DEP_2)
	v_add_co_u32 v3, vcc_lo, v4, v3
	v_add_co_ci_u32_e32 v4, vcc_lo, 0, v5, vcc_lo
	s_delay_alu instid0(VALU_DEP_2) | instskip(NEXT) | instid1(VALU_DEP_2)
	v_add_co_u32 v5, vcc_lo, v1, v3
	v_add_co_ci_u32_e32 v7, vcc_lo, v2, v4, vcc_lo
	s_delay_alu instid0(VALU_DEP_2) | instskip(SKIP_1) | instid1(VALU_DEP_3)
	v_mul_hi_u32 v8, v17, v5
	v_mad_u64_u32 v[3:4], null, v18, v5, 0
	v_mad_u64_u32 v[1:2], null, v17, v7, 0
	;; [unrolled: 1-line block ×3, first 2 shown]
	s_delay_alu instid0(VALU_DEP_2) | instskip(NEXT) | instid1(VALU_DEP_3)
	v_add_co_u32 v1, vcc_lo, v8, v1
	v_add_co_ci_u32_e32 v2, vcc_lo, 0, v2, vcc_lo
	s_delay_alu instid0(VALU_DEP_2) | instskip(NEXT) | instid1(VALU_DEP_2)
	v_add_co_u32 v1, vcc_lo, v1, v3
	v_add_co_ci_u32_e32 v1, vcc_lo, v2, v4, vcc_lo
	v_add_co_ci_u32_e32 v2, vcc_lo, 0, v6, vcc_lo
	s_delay_alu instid0(VALU_DEP_2) | instskip(NEXT) | instid1(VALU_DEP_2)
	v_add_co_u32 v3, vcc_lo, v1, v5
	v_add_co_ci_u32_e32 v4, vcc_lo, 0, v2, vcc_lo
	s_delay_alu instid0(VALU_DEP_2) | instskip(SKIP_1) | instid1(VALU_DEP_3)
	v_mul_lo_u32 v5, s9, v3
	v_mad_u64_u32 v[1:2], null, s8, v3, 0
	v_mul_lo_u32 v6, s8, v4
	s_delay_alu instid0(VALU_DEP_2) | instskip(NEXT) | instid1(VALU_DEP_2)
	v_sub_co_u32 v1, vcc_lo, v17, v1
	v_add3_u32 v2, v2, v6, v5
	s_delay_alu instid0(VALU_DEP_1) | instskip(NEXT) | instid1(VALU_DEP_1)
	v_sub_nc_u32_e32 v5, v18, v2
	v_subrev_co_ci_u32_e64 v5, s2, s9, v5, vcc_lo
	v_add_co_u32 v6, s2, v3, 2
	s_delay_alu instid0(VALU_DEP_1) | instskip(SKIP_3) | instid1(VALU_DEP_3)
	v_add_co_ci_u32_e64 v7, s2, 0, v4, s2
	v_sub_co_u32 v8, s2, v1, s8
	v_sub_co_ci_u32_e32 v2, vcc_lo, v18, v2, vcc_lo
	v_subrev_co_ci_u32_e64 v5, s2, 0, v5, s2
	v_cmp_le_u32_e32 vcc_lo, s8, v8
	s_delay_alu instid0(VALU_DEP_3) | instskip(SKIP_1) | instid1(VALU_DEP_4)
	v_cmp_eq_u32_e64 s2, s9, v2
	v_cndmask_b32_e64 v8, 0, -1, vcc_lo
	v_cmp_le_u32_e32 vcc_lo, s9, v5
	v_cndmask_b32_e64 v9, 0, -1, vcc_lo
	v_cmp_le_u32_e32 vcc_lo, s8, v1
	;; [unrolled: 2-line block ×3, first 2 shown]
	v_cndmask_b32_e64 v10, 0, -1, vcc_lo
	v_cmp_eq_u32_e32 vcc_lo, s9, v5
	s_delay_alu instid0(VALU_DEP_2) | instskip(SKIP_3) | instid1(VALU_DEP_3)
	v_cndmask_b32_e64 v1, v10, v1, s2
	v_cndmask_b32_e32 v5, v9, v8, vcc_lo
	v_add_co_u32 v8, vcc_lo, v3, 1
	v_add_co_ci_u32_e32 v9, vcc_lo, 0, v4, vcc_lo
	v_cmp_ne_u32_e32 vcc_lo, 0, v5
	s_delay_alu instid0(VALU_DEP_2) | instskip(SKIP_1) | instid1(VALU_DEP_2)
	v_dual_cndmask_b32 v2, v9, v7 :: v_dual_cndmask_b32 v5, v8, v6
	v_cmp_ne_u32_e32 vcc_lo, 0, v1
	v_dual_cndmask_b32 v1, v4, v2 :: v_dual_cndmask_b32 v2, v3, v5
	s_delay_alu instid0(VALU_DEP_1) | instskip(NEXT) | instid1(VALU_DEP_2)
	v_xor_b32_e32 v3, s7, v1
	v_xor_b32_e32 v2, s6, v2
	s_delay_alu instid0(VALU_DEP_1) | instskip(NEXT) | instid1(VALU_DEP_3)
	v_sub_co_u32 v1, vcc_lo, v2, s6
	v_subrev_co_ci_u32_e32 v2, vcc_lo, s7, v3, vcc_lo
                                        ; implicit-def: $vgpr3_vgpr4
.LBB60_5:
	s_and_not1_saveexec_b32 s2, s11
	s_cbranch_execz .LBB60_7
; %bb.6:
	v_cvt_f32_u32_e32 v1, s10
	s_sub_i32 s6, 0, s10
	v_alignbit_b32 v3, v4, v3, 2
	s_delay_alu instid0(VALU_DEP_2) | instskip(SKIP_2) | instid1(VALU_DEP_1)
	v_rcp_iflag_f32_e32 v1, v1
	s_waitcnt_depctr 0xfff
	v_mul_f32_e32 v1, 0x4f7ffffe, v1
	v_cvt_u32_f32_e32 v1, v1
	s_delay_alu instid0(VALU_DEP_1) | instskip(NEXT) | instid1(VALU_DEP_1)
	v_mul_lo_u32 v2, s6, v1
	v_mul_hi_u32 v2, v1, v2
	s_delay_alu instid0(VALU_DEP_1) | instskip(NEXT) | instid1(VALU_DEP_1)
	v_add_nc_u32_e32 v1, v1, v2
	v_mul_hi_u32 v1, v3, v1
	s_delay_alu instid0(VALU_DEP_1) | instskip(NEXT) | instid1(VALU_DEP_1)
	v_mul_lo_u32 v2, v1, s10
	v_sub_nc_u32_e32 v2, v3, v2
	v_add_nc_u32_e32 v3, 1, v1
	s_delay_alu instid0(VALU_DEP_2) | instskip(SKIP_1) | instid1(VALU_DEP_2)
	v_subrev_nc_u32_e32 v4, s10, v2
	v_cmp_le_u32_e32 vcc_lo, s10, v2
	v_dual_cndmask_b32 v2, v2, v4 :: v_dual_cndmask_b32 v1, v1, v3
	s_delay_alu instid0(VALU_DEP_1) | instskip(NEXT) | instid1(VALU_DEP_2)
	v_cmp_le_u32_e32 vcc_lo, s10, v2
	v_dual_mov_b32 v2, 0 :: v_dual_add_nc_u32 v3, 1, v1
	s_delay_alu instid0(VALU_DEP_1)
	v_cndmask_b32_e32 v1, v1, v3, vcc_lo
.LBB60_7:
	s_or_b32 exec_lo, exec_lo, s2
	s_delay_alu instid0(VALU_DEP_1) | instskip(NEXT) | instid1(VALU_DEP_2)
	v_mad_u64_u32 v[3:4], null, v1, s10, 0
	v_cmp_gt_i64_e32 vcc_lo, s[4:5], v[1:2]
	s_delay_alu instid0(VALU_DEP_2) | instskip(NEXT) | instid1(VALU_DEP_1)
	v_sub_co_u32 v3, null, v17, v3
	v_cmp_gt_i32_e64 s2, s10, v3
	s_delay_alu instid0(VALU_DEP_1) | instskip(NEXT) | instid1(SALU_CYCLE_1)
	s_and_b32 s2, vcc_lo, s2
	s_and_saveexec_b32 s4, s2
	s_cbranch_execz .LBB60_11
; %bb.8:
	s_ashr_i32 s2, s3, 31
	s_load_b64 s[4:5], s[0:1], 0x10
	v_mul_lo_u32 v2, v2, s3
	v_mad_u64_u32 v[4:5], null, v1, s3, 0
	v_mul_lo_u32 v1, v1, s2
	v_and_b32_e32 v36, 3, v0
	s_delay_alu instid0(VALU_DEP_2) | instskip(SKIP_1) | instid1(VALU_DEP_2)
	v_add3_u32 v5, v5, v1, v2
	v_dual_mov_b32 v2, 0 :: v_dual_lshlrev_b32 v1, 7, v3
	v_lshlrev_b64 v[3:4], 1, v[4:5]
	s_delay_alu instid0(VALU_DEP_4) | instskip(NEXT) | instid1(VALU_DEP_3)
	v_lshlrev_b32_e32 v5, 6, v36
	v_lshlrev_b64 v[1:2], 1, v[1:2]
	s_waitcnt lgkmcnt(0)
	s_delay_alu instid0(VALU_DEP_3) | instskip(NEXT) | instid1(VALU_DEP_4)
	v_add_co_u32 v3, vcc_lo, s4, v3
	v_add_co_ci_u32_e32 v4, vcc_lo, s5, v4, vcc_lo
	s_load_b64 s[4:5], s[0:1], 0x0
	s_delay_alu instid0(VALU_DEP_2) | instskip(NEXT) | instid1(VALU_DEP_2)
	v_add_co_u32 v1, vcc_lo, v3, v1
	v_add_co_ci_u32_e32 v2, vcc_lo, v4, v2, vcc_lo
	s_delay_alu instid0(VALU_DEP_2) | instskip(NEXT) | instid1(VALU_DEP_2)
	v_add_co_u32 v1, vcc_lo, v1, v5
	v_add_co_ci_u32_e32 v2, vcc_lo, 0, v2, vcc_lo
	s_clause 0x3
	global_load_b128 v[9:12], v[1:2], off
	global_load_b128 v[13:16], v[1:2], off offset:16
	global_load_b128 v[5:8], v[1:2], off offset:32
	global_load_b128 v[1:4], v[1:2], off offset:48
	s_waitcnt vmcnt(3)
	v_lshrrev_b32_e32 v27, 16, v9
	v_cvt_f32_f16_e64 v19, |v9|
	v_lshrrev_b32_e32 v28, 16, v10
	v_cvt_f32_f16_e64 v21, |v10|
	;; [unrolled: 2-line block ×4, first 2 shown]
	s_waitcnt vmcnt(2)
	v_lshrrev_b32_e32 v31, 16, v13
	v_cvt_f32_f16_e64 v23, |v29|
	v_max3_f32 v19, v19, 0x2edbe6ff, v20
	v_cvt_f32_f16_e64 v20, |v11|
	v_lshrrev_b32_e32 v32, 16, v14
	v_lshrrev_b32_e32 v33, 16, v15
	;; [unrolled: 1-line block ×3, first 2 shown]
	v_max3_f32 v19, v19, v21, v22
	v_cvt_f32_f16_e64 v21, |v12|
	v_cvt_f32_f16_e64 v22, |v30|
	s_waitcnt vmcnt(1)
	v_lshrrev_b32_e32 v26, 16, v5
	v_cvt_f32_f16_e64 v24, |v34|
	v_max3_f32 v19, v19, v20, v23
	v_cvt_f32_f16_e64 v20, |v13|
	v_cvt_f32_f16_e64 v23, |v31|
	s_delay_alu instid0(VALU_DEP_3) | instskip(SKIP_2) | instid1(VALU_DEP_3)
	v_max3_f32 v19, v19, v21, v22
	v_cvt_f32_f16_e64 v21, |v14|
	v_cvt_f32_f16_e64 v22, |v32|
	v_max3_f32 v19, v19, v20, v23
	v_cvt_f32_f16_e64 v20, |v15|
	v_cvt_f32_f16_e64 v23, |v33|
	s_delay_alu instid0(VALU_DEP_3) | instskip(SKIP_2) | instid1(VALU_DEP_3)
	v_max3_f32 v19, v19, v21, v22
	v_cvt_f32_f16_e64 v22, |v16|
	v_lshrrev_b32_e32 v21, 16, v6
	v_max3_f32 v19, v19, v20, v23
	v_cvt_f32_f16_e64 v20, |v5|
	v_cvt_f32_f16_e64 v23, |v26|
	s_delay_alu instid0(VALU_DEP_4) | instskip(NEXT) | instid1(VALU_DEP_4)
	v_cvt_f32_f16_e64 v25, |v21|
	v_max3_f32 v19, v19, v22, v24
	v_cvt_f32_f16_e64 v24, |v6|
	v_lshrrev_b32_e32 v22, 16, v7
	s_delay_alu instid0(VALU_DEP_3) | instskip(SKIP_2) | instid1(VALU_DEP_4)
	v_max3_f32 v19, v19, v20, v23
	v_cvt_f32_f16_e64 v20, |v7|
	v_lshrrev_b32_e32 v23, 16, v8
	v_cvt_f32_f16_e64 v35, |v22|
	s_delay_alu instid0(VALU_DEP_4)
	v_max3_f32 v19, v19, v24, v25
	v_cvt_f32_f16_e64 v24, |v8|
	s_waitcnt vmcnt(0)
	v_lshrrev_b32_e32 v25, 16, v1
	v_cvt_f32_f16_e64 v37, |v23|
	v_max3_f32 v19, v19, v20, v35
	v_cvt_f32_f16_e64 v35, |v1|
	v_lshrrev_b32_e32 v20, 16, v2
	v_cvt_f32_f16_e64 v38, |v25|
	s_delay_alu instid0(VALU_DEP_4) | instskip(SKIP_3) | instid1(VALU_DEP_4)
	v_max3_f32 v19, v19, v24, v37
	v_cvt_f32_f16_e64 v37, |v2|
	v_lshrrev_b32_e32 v24, 16, v3
	v_cvt_f32_f16_e64 v39, |v20|
	v_max3_f32 v35, v19, v35, v38
	v_cvt_f32_f16_e64 v38, |v3|
	v_lshrrev_b32_e32 v19, 16, v4
	v_cvt_f32_f16_e64 v40, |v24|
	s_delay_alu instid0(VALU_DEP_4) | instskip(SKIP_1) | instid1(VALU_DEP_4)
	v_max3_f32 v35, v35, v37, v39
	v_cvt_f32_f16_e64 v37, |v4|
	v_cvt_f32_f16_e64 v39, |v19|
	s_delay_alu instid0(VALU_DEP_3) | instskip(NEXT) | instid1(VALU_DEP_1)
	v_max3_f32 v35, v35, v38, v40
	v_max3_f32 v35, v35, v37, v39
	s_delay_alu instid0(VALU_DEP_1) | instskip(NEXT) | instid1(VALU_DEP_1)
	v_mov_b32_dpp v37, v35 quad_perm:[1,0,3,2] row_mask:0xf bank_mask:0xf
	v_cmp_gt_f32_e32 vcc_lo, v35, v37
	v_cndmask_b32_e32 v35, v37, v35, vcc_lo
	s_delay_alu instid0(VALU_DEP_1) | instskip(NEXT) | instid1(VALU_DEP_1)
	v_mov_b32_dpp v37, v35 quad_perm:[2,3,0,1] row_mask:0xf bank_mask:0xf
	v_cmp_gt_f32_e32 vcc_lo, v35, v37
	v_cndmask_b32_e32 v35, v37, v35, vcc_lo
	s_delay_alu instid0(VALU_DEP_1) | instskip(NEXT) | instid1(VALU_DEP_1)
	v_mul_f32_e32 v35, 0x3b124925, v35
	v_bfe_u32 v37, v35, 23, 8
	v_and_b32_e32 v35, 0x7fffff, v35
	s_delay_alu instid0(VALU_DEP_2) | instskip(NEXT) | instid1(VALU_DEP_2)
	v_cmp_ne_u32_e32 vcc_lo, 0xff, v37
	v_cmp_ne_u32_e64 s2, 0, v35
	s_delay_alu instid0(VALU_DEP_1)
	s_and_b32 vcc_lo, s2, vcc_lo
	s_mov_b32 s2, exec_lo
	v_add_co_ci_u32_e32 v35, vcc_lo, 0, v37, vcc_lo
	v_cmpx_eq_u32_e32 0, v36
	s_cbranch_execz .LBB60_10
; %bb.9:
	s_load_b64 s[6:7], s[0:1], 0x8
	s_waitcnt lgkmcnt(0)
	v_add_co_u32 v36, vcc_lo, s6, v17
	v_add_co_ci_u32_e32 v37, vcc_lo, s7, v18, vcc_lo
	global_store_b8 v[36:37], v35, off
.LBB60_10:
	s_or_b32 exec_lo, exec_lo, s2
	s_delay_alu instid0(VALU_DEP_2)
	v_lshlrev_b32_e32 v18, 23, v35
	v_lshlrev_b32_e32 v0, 5, v0
	s_load_b32 s6, s[0:1], 0x30
	v_cvt_f32_f16_e32 v9, v9
	v_cvt_f32_f16_e32 v27, v27
	v_div_scale_f32 v35, null, v18, v18, 1.0
	v_div_scale_f32 v38, vcc_lo, 1.0, v18, 1.0
	v_cvt_f32_f16_e32 v10, v10
	s_delay_alu instid0(VALU_DEP_3)
	v_rcp_f32_e32 v36, v35
	v_cvt_f32_f16_e32 v28, v28
	v_cvt_f32_f16_e32 v29, v29
	;; [unrolled: 1-line block ×9, first 2 shown]
	v_fma_f32 v37, -v35, v36, 1.0
	v_lshlrev_b32_e32 v17, 7, v17
	v_cvt_f32_f16_e32 v13, v13
	v_cvt_f32_f16_e32 v14, v14
	;; [unrolled: 1-line block ×3, first 2 shown]
	v_fmac_f32_e32 v36, v37, v36
	v_cvt_f32_f16_e32 v16, v16
	v_cvt_f32_f16_e32 v5, v5
	;; [unrolled: 1-line block ×4, first 2 shown]
	v_mul_f32_e32 v37, v38, v36
	s_waitcnt lgkmcnt(0)
	s_and_b32 s5, s5, 0xffff
	s_mov_b32 s7, -1
	v_cvt_f32_f16_e32 v7, v7
	v_cvt_f32_f16_e32 v8, v8
	v_fma_f32 v39, -v35, v37, v38
	v_cvt_f32_f16_e32 v2, v2
	v_cvt_f32_f16_e32 v3, v3
	;; [unrolled: 1-line block ×3, first 2 shown]
	s_delay_alu instid0(VALU_DEP_4) | instskip(NEXT) | instid1(VALU_DEP_1)
	v_fmac_f32_e32 v37, v39, v36
	v_fma_f32 v35, -v35, v37, v38
	s_delay_alu instid0(VALU_DEP_1) | instskip(SKIP_3) | instid1(VALU_DEP_4)
	v_div_fmas_f32 v35, v35, v36, v37
	v_mov_b32_e32 v36, 0xc3e00000
	v_mov_b32_e32 v37, 0x43e00000
	v_and_or_b32 v17, 0x60, v0, v17
	v_div_fixup_f32 v18, v35, v18, 1.0
	s_delay_alu instid0(VALU_DEP_1)
	v_mul_f32_e32 v0, v18, v9
	v_mul_f32_e32 v9, v18, v27
	;; [unrolled: 1-line block ×10, first 2 shown]
	;;#ASMSTART
	v_med3_f32 v0, v0, v36, v37
v_med3_f32 v9, v9, v36, v37
v_cvt_pk_fp8_f32 v34, v0, v9
	;;#ASMEND
	v_mul_f32_e32 v11, v18, v11
	v_mul_f32_e32 v12, v18, v12
	;;#ASMSTART
	v_med3_f32 v10, v10, v36, v37
v_med3_f32 v27, v27, v36, v37
v_cvt_pk_fp8_f32 v0, v10, v27
	;;#ASMEND
	v_mul_f32_e32 v13, v18, v13
	v_mul_f32_e32 v14, v18, v14
	;;#ASMSTART
	v_med3_f32 v11, v11, v36, v37
v_med3_f32 v28, v28, v36, v37
v_cvt_pk_fp8_f32 v9, v11, v28
	;;#ASMEND
	;;#ASMSTART
	v_med3_f32 v12, v12, v36, v37
v_med3_f32 v29, v29, v36, v37
v_cvt_pk_fp8_f32 v10, v12, v29
	;;#ASMEND
	;;#ASMSTART
	v_med3_f32 v13, v13, v36, v37
v_med3_f32 v30, v30, v36, v37
v_cvt_pk_fp8_f32 v11, v13, v30
	;;#ASMEND
	;;#ASMSTART
	v_med3_f32 v14, v14, v36, v37
v_med3_f32 v31, v31, v36, v37
v_cvt_pk_fp8_f32 v12, v14, v31
	;;#ASMEND
	v_perm_b32 v14, v0, v34, 0x5040100
	v_mul_f32_e32 v15, v18, v15
	v_mul_f32_e32 v16, v18, v16
	;;#ASMSTART
	v_med3_f32 v15, v15, v36, v37
v_med3_f32 v32, v32, v36, v37
v_cvt_pk_fp8_f32 v13, v15, v32
	;;#ASMEND
	;;#ASMSTART
	v_med3_f32 v16, v16, v36, v37
v_med3_f32 v33, v33, v36, v37
v_cvt_pk_fp8_f32 v15, v16, v33
	;;#ASMEND
	v_perm_b32 v10, v9, v10, 0x1000504
	v_perm_b32 v11, v11, v12, 0x1000504
	;; [unrolled: 1-line block ×4, first 2 shown]
	v_cvt_f32_f16_e32 v0, v21
	v_mul_f32_e32 v6, v18, v6
	v_cvt_f32_f16_e32 v13, v22
	v_cvt_f32_f16_e32 v14, v24
	buffer_store_b128 v[9:12], v17, s[4:7], 0 offen
	v_cvt_f32_f16_e32 v10, v1
	v_mul_f32_e32 v1, v18, v5
	v_mul_f32_e32 v5, v18, v26
	;;#ASMSTART
	s_nop 0
	;;#ASMEND
	v_mul_f32_e32 v0, v18, v0
	;;#ASMSTART
	v_med3_f32 v1, v1, v36, v37
v_med3_f32 v5, v5, v36, v37
v_cvt_pk_fp8_f32 v15, v1, v5
	;;#ASMEND
	;;#ASMSTART
	v_med3_f32 v6, v6, v36, v37
v_med3_f32 v0, v0, v36, v37
v_cvt_pk_fp8_f32 v1, v6, v0
	;;#ASMEND
	v_cvt_f32_f16_e32 v9, v23
	v_perm_b32 v0, v1, v15, 0x5040100
	v_cvt_f32_f16_e32 v11, v25
	v_cvt_f32_f16_e32 v12, v20
	v_mul_f32_e32 v5, v18, v7
	v_mul_f32_e32 v6, v18, v13
	;; [unrolled: 1-line block ×4, first 2 shown]
	v_cvt_f32_f16_e32 v9, v19
	v_perm_b32 v0, v0, v1, 0x1060504
	;;#ASMSTART
	v_med3_f32 v5, v5, v36, v37
v_med3_f32 v6, v6, v36, v37
v_cvt_pk_fp8_f32 v1, v5, v6
	;;#ASMEND
	;;#ASMSTART
	v_med3_f32 v7, v7, v36, v37
v_med3_f32 v8, v8, v36, v37
v_cvt_pk_fp8_f32 v5, v7, v8
	;;#ASMEND
	v_perm_b32 v1, v1, v5, 0x1000504
	v_mul_f32_e32 v5, v18, v10
	v_mul_f32_e32 v6, v18, v11
	;; [unrolled: 1-line block ×4, first 2 shown]
	;;#ASMSTART
	v_med3_f32 v5, v5, v36, v37
v_med3_f32 v6, v6, v36, v37
v_cvt_pk_fp8_f32 v10, v5, v6
	;;#ASMEND
	v_mul_f32_e32 v3, v18, v3
	v_mul_f32_e32 v8, v18, v14
	;;#ASMSTART
	v_med3_f32 v2, v2, v36, v37
v_med3_f32 v7, v7, v36, v37
v_cvt_pk_fp8_f32 v5, v2, v7
	;;#ASMEND
	v_mul_f32_e32 v4, v18, v4
	v_mul_f32_e32 v9, v18, v9
	v_perm_b32 v2, v10, v5, 0x1000504
	;;#ASMSTART
	v_med3_f32 v3, v3, v36, v37
v_med3_f32 v8, v8, v36, v37
v_cvt_pk_fp8_f32 v5, v3, v8
	;;#ASMEND
	;;#ASMSTART
	v_med3_f32 v4, v4, v36, v37
v_med3_f32 v9, v9, v36, v37
v_cvt_pk_fp8_f32 v3, v4, v9
	;;#ASMEND
	v_perm_b32 v3, v5, v3, 0x1000504
	buffer_store_b128 v[0:3], v17, s[4:7], 16 offen
	;;#ASMSTART
	s_nop 0
	;;#ASMEND
.LBB60_11:
	s_nop 0
	s_sendmsg sendmsg(MSG_DEALLOC_VGPRS)
	s_endpgm
	.section	.rodata,"a",@progbits
	.p2align	6, 0x0
	.amdhsa_kernel _ZN5aiter37dynamic_per_group_scaled_quant_kernelIDF16_DB8_Li32ELi128ELb0ELi64ELb1EEEvPT0_PfPKT_PKfliilPKii
		.amdhsa_group_segment_fixed_size 0
		.amdhsa_private_segment_fixed_size 0
		.amdhsa_kernarg_size 68
		.amdhsa_user_sgpr_count 15
		.amdhsa_user_sgpr_dispatch_ptr 0
		.amdhsa_user_sgpr_queue_ptr 0
		.amdhsa_user_sgpr_kernarg_segment_ptr 1
		.amdhsa_user_sgpr_dispatch_id 0
		.amdhsa_user_sgpr_private_segment_size 0
		.amdhsa_wavefront_size32 1
		.amdhsa_uses_dynamic_stack 0
		.amdhsa_enable_private_segment 0
		.amdhsa_system_sgpr_workgroup_id_x 1
		.amdhsa_system_sgpr_workgroup_id_y 0
		.amdhsa_system_sgpr_workgroup_id_z 0
		.amdhsa_system_sgpr_workgroup_info 0
		.amdhsa_system_vgpr_workitem_id 0
		.amdhsa_next_free_vgpr 41
		.amdhsa_next_free_sgpr 16
		.amdhsa_reserve_vcc 1
		.amdhsa_float_round_mode_32 0
		.amdhsa_float_round_mode_16_64 0
		.amdhsa_float_denorm_mode_32 3
		.amdhsa_float_denorm_mode_16_64 3
		.amdhsa_dx10_clamp 1
		.amdhsa_ieee_mode 1
		.amdhsa_fp16_overflow 0
		.amdhsa_workgroup_processor_mode 1
		.amdhsa_memory_ordered 1
		.amdhsa_forward_progress 0
		.amdhsa_shared_vgpr_count 0
		.amdhsa_exception_fp_ieee_invalid_op 0
		.amdhsa_exception_fp_denorm_src 0
		.amdhsa_exception_fp_ieee_div_zero 0
		.amdhsa_exception_fp_ieee_overflow 0
		.amdhsa_exception_fp_ieee_underflow 0
		.amdhsa_exception_fp_ieee_inexact 0
		.amdhsa_exception_int_div_zero 0
	.end_amdhsa_kernel
	.section	.text._ZN5aiter37dynamic_per_group_scaled_quant_kernelIDF16_DB8_Li32ELi128ELb0ELi64ELb1EEEvPT0_PfPKT_PKfliilPKii,"axG",@progbits,_ZN5aiter37dynamic_per_group_scaled_quant_kernelIDF16_DB8_Li32ELi128ELb0ELi64ELb1EEEvPT0_PfPKT_PKfliilPKii,comdat
.Lfunc_end60:
	.size	_ZN5aiter37dynamic_per_group_scaled_quant_kernelIDF16_DB8_Li32ELi128ELb0ELi64ELb1EEEvPT0_PfPKT_PKfliilPKii, .Lfunc_end60-_ZN5aiter37dynamic_per_group_scaled_quant_kernelIDF16_DB8_Li32ELi128ELb0ELi64ELb1EEEvPT0_PfPKT_PKfliilPKii
                                        ; -- End function
	.section	.AMDGPU.csdata,"",@progbits
; Kernel info:
; codeLenInByte = 3544
; NumSgprs: 18
; NumVgprs: 41
; ScratchSize: 0
; MemoryBound: 0
; FloatMode: 240
; IeeeMode: 1
; LDSByteSize: 0 bytes/workgroup (compile time only)
; SGPRBlocks: 2
; VGPRBlocks: 5
; NumSGPRsForWavesPerEU: 18
; NumVGPRsForWavesPerEU: 41
; Occupancy: 16
; WaveLimiterHint : 0
; COMPUTE_PGM_RSRC2:SCRATCH_EN: 0
; COMPUTE_PGM_RSRC2:USER_SGPR: 15
; COMPUTE_PGM_RSRC2:TRAP_HANDLER: 0
; COMPUTE_PGM_RSRC2:TGID_X_EN: 1
; COMPUTE_PGM_RSRC2:TGID_Y_EN: 0
; COMPUTE_PGM_RSRC2:TGID_Z_EN: 0
; COMPUTE_PGM_RSRC2:TIDIG_COMP_CNT: 0
	.section	.text._ZN5aiter37dynamic_per_group_scaled_quant_kernelItDB8_Li32ELi128ELb0ELi64ELb1EEEvPT0_PfPKT_PKfliilPKii,"axG",@progbits,_ZN5aiter37dynamic_per_group_scaled_quant_kernelItDB8_Li32ELi128ELb0ELi64ELb1EEEvPT0_PfPKT_PKfliilPKii,comdat
	.protected	_ZN5aiter37dynamic_per_group_scaled_quant_kernelItDB8_Li32ELi128ELb0ELi64ELb1EEEvPT0_PfPKT_PKfliilPKii ; -- Begin function _ZN5aiter37dynamic_per_group_scaled_quant_kernelItDB8_Li32ELi128ELb0ELi64ELb1EEEvPT0_PfPKT_PKfliilPKii
	.globl	_ZN5aiter37dynamic_per_group_scaled_quant_kernelItDB8_Li32ELi128ELb0ELi64ELb1EEEvPT0_PfPKT_PKfliilPKii
	.p2align	8
	.type	_ZN5aiter37dynamic_per_group_scaled_quant_kernelItDB8_Li32ELi128ELb0ELi64ELb1EEEvPT0_PfPKT_PKfliilPKii,@function
_ZN5aiter37dynamic_per_group_scaled_quant_kernelItDB8_Li32ELi128ELb0ELi64ELb1EEEvPT0_PfPKT_PKfliilPKii: ; @_ZN5aiter37dynamic_per_group_scaled_quant_kernelItDB8_Li32ELi128ELb0ELi64ELb1EEEvPT0_PfPKT_PKfliilPKii
; %bb.0:
	s_load_b64 s[2:3], s[0:1], 0x38
	s_mov_b32 s6, s15
	s_waitcnt lgkmcnt(0)
	s_cmp_eq_u64 s[2:3], 0
	s_cbranch_scc1 .LBB61_2
; %bb.1:
	s_load_b32 s4, s[0:1], 0x40
	s_load_b32 s2, s[2:3], 0x0
	s_waitcnt lgkmcnt(0)
	s_mul_hi_i32 s5, s2, s4
	s_mul_i32 s4, s2, s4
	s_branch .LBB61_3
.LBB61_2:
	s_load_b64 s[4:5], s[0:1], 0x20
.LBB61_3:
	s_load_b64 s[2:3], s[0:1], 0x28
	s_mov_b32 s7, 0
	v_mov_b32_e32 v3, 0
	s_lshl_b64 s[6:7], s[6:7], 6
	s_delay_alu instid0(SALU_CYCLE_1) | instskip(SKIP_1) | instid1(VALU_DEP_1)
	v_or_b32_e32 v5, s6, v0
	v_mov_b32_e32 v6, s7
	v_lshrrev_b64 v[1:2], 2, v[5:6]
	s_waitcnt lgkmcnt(0)
	s_ashr_i32 s6, s2, 31
	s_delay_alu instid0(SALU_CYCLE_1) | instskip(NEXT) | instid1(SALU_CYCLE_1)
	s_lshr_b32 s6, s6, 25
	s_add_i32 s2, s2, s6
	s_delay_alu instid0(SALU_CYCLE_1) | instskip(NEXT) | instid1(SALU_CYCLE_1)
	s_ashr_i32 s10, s2, 7
	s_ashr_i32 s2, s10, 31
	s_delay_alu instid0(SALU_CYCLE_1) | instskip(NEXT) | instid1(VALU_DEP_1)
	v_or_b32_e32 v4, s2, v2
	v_cmp_ne_u64_e32 vcc_lo, 0, v[3:4]
                                        ; implicit-def: $vgpr3_vgpr4
	s_and_saveexec_b32 s6, vcc_lo
	s_delay_alu instid0(SALU_CYCLE_1)
	s_xor_b32 s11, exec_lo, s6
	s_cbranch_execz .LBB61_5
; %bb.4:
	s_add_u32 s8, s10, s2
	s_mov_b32 s6, s2
	s_mov_b32 s7, s2
	s_addc_u32 s9, s2, s2
	s_delay_alu instid0(SALU_CYCLE_1) | instskip(NEXT) | instid1(SALU_CYCLE_1)
	s_xor_b64 s[8:9], s[8:9], s[6:7]
	v_cvt_f32_u32_e32 v3, s8
	v_cvt_f32_u32_e32 v4, s9
	s_sub_u32 s2, 0, s8
	s_subb_u32 s12, 0, s9
	s_delay_alu instid0(VALU_DEP_1) | instskip(NEXT) | instid1(VALU_DEP_1)
	v_fmamk_f32 v3, v4, 0x4f800000, v3
	v_rcp_f32_e32 v3, v3
	s_waitcnt_depctr 0xfff
	v_mul_f32_e32 v3, 0x5f7ffffc, v3
	s_delay_alu instid0(VALU_DEP_1) | instskip(NEXT) | instid1(VALU_DEP_1)
	v_mul_f32_e32 v4, 0x2f800000, v3
	v_trunc_f32_e32 v4, v4
	s_delay_alu instid0(VALU_DEP_1) | instskip(SKIP_1) | instid1(VALU_DEP_2)
	v_fmamk_f32 v3, v4, 0xcf800000, v3
	v_cvt_u32_f32_e32 v4, v4
	v_cvt_u32_f32_e32 v3, v3
	s_delay_alu instid0(VALU_DEP_2) | instskip(NEXT) | instid1(VALU_DEP_2)
	v_mul_lo_u32 v5, s2, v4
	v_mul_hi_u32 v6, s2, v3
	v_mul_lo_u32 v7, s12, v3
	s_delay_alu instid0(VALU_DEP_2) | instskip(SKIP_1) | instid1(VALU_DEP_2)
	v_add_nc_u32_e32 v5, v6, v5
	v_mul_lo_u32 v6, s2, v3
	v_add_nc_u32_e32 v5, v5, v7
	s_delay_alu instid0(VALU_DEP_2) | instskip(NEXT) | instid1(VALU_DEP_2)
	v_mul_hi_u32 v7, v3, v6
	v_mul_lo_u32 v8, v3, v5
	v_mul_hi_u32 v9, v3, v5
	v_mul_hi_u32 v10, v4, v6
	v_mul_lo_u32 v6, v4, v6
	v_mul_hi_u32 v11, v4, v5
	v_mul_lo_u32 v5, v4, v5
	v_add_co_u32 v7, vcc_lo, v7, v8
	v_add_co_ci_u32_e32 v8, vcc_lo, 0, v9, vcc_lo
	s_delay_alu instid0(VALU_DEP_2) | instskip(NEXT) | instid1(VALU_DEP_2)
	v_add_co_u32 v6, vcc_lo, v7, v6
	v_add_co_ci_u32_e32 v6, vcc_lo, v8, v10, vcc_lo
	v_add_co_ci_u32_e32 v7, vcc_lo, 0, v11, vcc_lo
	s_delay_alu instid0(VALU_DEP_2) | instskip(NEXT) | instid1(VALU_DEP_2)
	v_add_co_u32 v5, vcc_lo, v6, v5
	v_add_co_ci_u32_e32 v6, vcc_lo, 0, v7, vcc_lo
	s_delay_alu instid0(VALU_DEP_2) | instskip(NEXT) | instid1(VALU_DEP_2)
	v_add_co_u32 v3, vcc_lo, v3, v5
	v_add_co_ci_u32_e32 v4, vcc_lo, v4, v6, vcc_lo
	s_delay_alu instid0(VALU_DEP_2) | instskip(SKIP_1) | instid1(VALU_DEP_3)
	v_mul_hi_u32 v5, s2, v3
	v_mul_lo_u32 v7, s12, v3
	v_mul_lo_u32 v6, s2, v4
	s_delay_alu instid0(VALU_DEP_1) | instskip(SKIP_1) | instid1(VALU_DEP_2)
	v_add_nc_u32_e32 v5, v5, v6
	v_mul_lo_u32 v6, s2, v3
	v_add_nc_u32_e32 v5, v5, v7
	s_delay_alu instid0(VALU_DEP_2) | instskip(NEXT) | instid1(VALU_DEP_2)
	v_mul_hi_u32 v7, v3, v6
	v_mul_lo_u32 v8, v3, v5
	v_mul_hi_u32 v9, v3, v5
	v_mul_hi_u32 v10, v4, v6
	v_mul_lo_u32 v6, v4, v6
	v_mul_hi_u32 v11, v4, v5
	v_mul_lo_u32 v5, v4, v5
	v_add_co_u32 v7, vcc_lo, v7, v8
	v_add_co_ci_u32_e32 v8, vcc_lo, 0, v9, vcc_lo
	s_delay_alu instid0(VALU_DEP_2) | instskip(NEXT) | instid1(VALU_DEP_2)
	v_add_co_u32 v6, vcc_lo, v7, v6
	v_add_co_ci_u32_e32 v6, vcc_lo, v8, v10, vcc_lo
	v_add_co_ci_u32_e32 v7, vcc_lo, 0, v11, vcc_lo
	s_delay_alu instid0(VALU_DEP_2) | instskip(NEXT) | instid1(VALU_DEP_2)
	v_add_co_u32 v5, vcc_lo, v6, v5
	v_add_co_ci_u32_e32 v6, vcc_lo, 0, v7, vcc_lo
	s_delay_alu instid0(VALU_DEP_2) | instskip(NEXT) | instid1(VALU_DEP_2)
	v_add_co_u32 v7, vcc_lo, v3, v5
	v_add_co_ci_u32_e32 v9, vcc_lo, v4, v6, vcc_lo
	s_delay_alu instid0(VALU_DEP_2) | instskip(SKIP_1) | instid1(VALU_DEP_3)
	v_mul_hi_u32 v10, v1, v7
	v_mad_u64_u32 v[5:6], null, v2, v7, 0
	v_mad_u64_u32 v[3:4], null, v1, v9, 0
	;; [unrolled: 1-line block ×3, first 2 shown]
	s_delay_alu instid0(VALU_DEP_2) | instskip(NEXT) | instid1(VALU_DEP_3)
	v_add_co_u32 v3, vcc_lo, v10, v3
	v_add_co_ci_u32_e32 v4, vcc_lo, 0, v4, vcc_lo
	s_delay_alu instid0(VALU_DEP_2) | instskip(NEXT) | instid1(VALU_DEP_2)
	v_add_co_u32 v3, vcc_lo, v3, v5
	v_add_co_ci_u32_e32 v3, vcc_lo, v4, v6, vcc_lo
	v_add_co_ci_u32_e32 v4, vcc_lo, 0, v8, vcc_lo
	s_delay_alu instid0(VALU_DEP_2) | instskip(NEXT) | instid1(VALU_DEP_2)
	v_add_co_u32 v5, vcc_lo, v3, v7
	v_add_co_ci_u32_e32 v6, vcc_lo, 0, v4, vcc_lo
	s_delay_alu instid0(VALU_DEP_2) | instskip(SKIP_1) | instid1(VALU_DEP_3)
	v_mul_lo_u32 v7, s9, v5
	v_mad_u64_u32 v[3:4], null, s8, v5, 0
	v_mul_lo_u32 v8, s8, v6
	s_delay_alu instid0(VALU_DEP_2) | instskip(NEXT) | instid1(VALU_DEP_2)
	v_sub_co_u32 v3, vcc_lo, v1, v3
	v_add3_u32 v4, v4, v8, v7
	s_delay_alu instid0(VALU_DEP_1) | instskip(NEXT) | instid1(VALU_DEP_1)
	v_sub_nc_u32_e32 v7, v2, v4
	v_subrev_co_ci_u32_e64 v7, s2, s9, v7, vcc_lo
	v_add_co_u32 v8, s2, v5, 2
	s_delay_alu instid0(VALU_DEP_1) | instskip(SKIP_3) | instid1(VALU_DEP_3)
	v_add_co_ci_u32_e64 v9, s2, 0, v6, s2
	v_sub_co_u32 v10, s2, v3, s8
	v_sub_co_ci_u32_e32 v4, vcc_lo, v2, v4, vcc_lo
	v_subrev_co_ci_u32_e64 v7, s2, 0, v7, s2
	v_cmp_le_u32_e32 vcc_lo, s8, v10
	s_delay_alu instid0(VALU_DEP_3) | instskip(SKIP_1) | instid1(VALU_DEP_4)
	v_cmp_eq_u32_e64 s2, s9, v4
	v_cndmask_b32_e64 v10, 0, -1, vcc_lo
	v_cmp_le_u32_e32 vcc_lo, s9, v7
	v_cndmask_b32_e64 v11, 0, -1, vcc_lo
	v_cmp_le_u32_e32 vcc_lo, s8, v3
	;; [unrolled: 2-line block ×3, first 2 shown]
	v_cndmask_b32_e64 v12, 0, -1, vcc_lo
	v_cmp_eq_u32_e32 vcc_lo, s9, v7
	s_delay_alu instid0(VALU_DEP_2) | instskip(SKIP_3) | instid1(VALU_DEP_3)
	v_cndmask_b32_e64 v3, v12, v3, s2
	v_cndmask_b32_e32 v7, v11, v10, vcc_lo
	v_add_co_u32 v10, vcc_lo, v5, 1
	v_add_co_ci_u32_e32 v11, vcc_lo, 0, v6, vcc_lo
	v_cmp_ne_u32_e32 vcc_lo, 0, v7
	s_delay_alu instid0(VALU_DEP_2) | instskip(SKIP_1) | instid1(VALU_DEP_2)
	v_dual_cndmask_b32 v4, v11, v9 :: v_dual_cndmask_b32 v7, v10, v8
	v_cmp_ne_u32_e32 vcc_lo, 0, v3
	v_dual_cndmask_b32 v3, v6, v4 :: v_dual_cndmask_b32 v4, v5, v7
	s_delay_alu instid0(VALU_DEP_1) | instskip(NEXT) | instid1(VALU_DEP_2)
	v_xor_b32_e32 v5, s7, v3
	v_xor_b32_e32 v4, s6, v4
	s_delay_alu instid0(VALU_DEP_1) | instskip(NEXT) | instid1(VALU_DEP_3)
	v_sub_co_u32 v3, vcc_lo, v4, s6
	v_subrev_co_ci_u32_e32 v4, vcc_lo, s7, v5, vcc_lo
                                        ; implicit-def: $vgpr5_vgpr6
.LBB61_5:
	s_and_not1_saveexec_b32 s2, s11
	s_cbranch_execz .LBB61_7
; %bb.6:
	v_cvt_f32_u32_e32 v3, s10
	s_sub_i32 s6, 0, s10
	v_alignbit_b32 v5, v6, v5, 2
	s_delay_alu instid0(VALU_DEP_2) | instskip(SKIP_2) | instid1(VALU_DEP_1)
	v_rcp_iflag_f32_e32 v3, v3
	s_waitcnt_depctr 0xfff
	v_mul_f32_e32 v3, 0x4f7ffffe, v3
	v_cvt_u32_f32_e32 v3, v3
	s_delay_alu instid0(VALU_DEP_1) | instskip(NEXT) | instid1(VALU_DEP_1)
	v_mul_lo_u32 v4, s6, v3
	v_mul_hi_u32 v4, v3, v4
	s_delay_alu instid0(VALU_DEP_1) | instskip(NEXT) | instid1(VALU_DEP_1)
	v_add_nc_u32_e32 v3, v3, v4
	v_mul_hi_u32 v3, v5, v3
	s_delay_alu instid0(VALU_DEP_1) | instskip(NEXT) | instid1(VALU_DEP_1)
	v_mul_lo_u32 v4, v3, s10
	v_sub_nc_u32_e32 v4, v5, v4
	v_add_nc_u32_e32 v5, 1, v3
	s_delay_alu instid0(VALU_DEP_2) | instskip(SKIP_1) | instid1(VALU_DEP_2)
	v_subrev_nc_u32_e32 v6, s10, v4
	v_cmp_le_u32_e32 vcc_lo, s10, v4
	v_dual_cndmask_b32 v4, v4, v6 :: v_dual_cndmask_b32 v3, v3, v5
	s_delay_alu instid0(VALU_DEP_1) | instskip(NEXT) | instid1(VALU_DEP_2)
	v_cmp_le_u32_e32 vcc_lo, s10, v4
	v_dual_mov_b32 v4, 0 :: v_dual_add_nc_u32 v5, 1, v3
	s_delay_alu instid0(VALU_DEP_1)
	v_cndmask_b32_e32 v3, v3, v5, vcc_lo
.LBB61_7:
	s_or_b32 exec_lo, exec_lo, s2
	s_delay_alu instid0(VALU_DEP_1) | instskip(NEXT) | instid1(VALU_DEP_2)
	v_mad_u64_u32 v[5:6], null, v3, s10, 0
	v_cmp_gt_i64_e32 vcc_lo, s[4:5], v[3:4]
	s_delay_alu instid0(VALU_DEP_2) | instskip(NEXT) | instid1(VALU_DEP_1)
	v_sub_co_u32 v5, null, v1, v5
	v_cmp_gt_i32_e64 s2, s10, v5
	s_delay_alu instid0(VALU_DEP_1) | instskip(NEXT) | instid1(SALU_CYCLE_1)
	s_and_b32 s2, vcc_lo, s2
	s_and_saveexec_b32 s4, s2
	s_cbranch_execz .LBB61_11
; %bb.8:
	s_ashr_i32 s2, s3, 31
	s_load_b64 s[4:5], s[0:1], 0x10
	v_mul_lo_u32 v4, v4, s3
	v_mad_u64_u32 v[6:7], null, v3, s3, 0
	v_mul_lo_u32 v3, v3, s2
	v_and_b32_e32 v39, 3, v0
	s_delay_alu instid0(VALU_DEP_2) | instskip(SKIP_1) | instid1(VALU_DEP_2)
	v_add3_u32 v7, v7, v3, v4
	v_dual_mov_b32 v4, 0 :: v_dual_lshlrev_b32 v3, 7, v5
	v_lshlrev_b64 v[5:6], 1, v[6:7]
	s_delay_alu instid0(VALU_DEP_4) | instskip(NEXT) | instid1(VALU_DEP_3)
	v_lshlrev_b32_e32 v7, 6, v39
	v_lshlrev_b64 v[3:4], 1, v[3:4]
	s_waitcnt lgkmcnt(0)
	s_delay_alu instid0(VALU_DEP_3) | instskip(NEXT) | instid1(VALU_DEP_4)
	v_add_co_u32 v5, vcc_lo, s4, v5
	v_add_co_ci_u32_e32 v6, vcc_lo, s5, v6, vcc_lo
	s_load_b64 s[4:5], s[0:1], 0x0
	s_delay_alu instid0(VALU_DEP_2) | instskip(NEXT) | instid1(VALU_DEP_2)
	v_add_co_u32 v3, vcc_lo, v5, v3
	v_add_co_ci_u32_e32 v4, vcc_lo, v6, v4, vcc_lo
	s_delay_alu instid0(VALU_DEP_2) | instskip(NEXT) | instid1(VALU_DEP_2)
	v_add_co_u32 v16, vcc_lo, v3, v7
	v_add_co_ci_u32_e32 v17, vcc_lo, 0, v4, vcc_lo
	s_clause 0x3
	global_load_b128 v[3:6], v[16:17], off
	global_load_b128 v[7:10], v[16:17], off offset:16
	global_load_b128 v[12:15], v[16:17], off offset:32
	global_load_b128 v[35:38], v[16:17], off offset:48
	s_waitcnt vmcnt(3)
	v_and_b32_e32 v11, 0xffff, v3
	v_lshrrev_b32_e32 v3, 16, v3
	v_and_b32_e32 v16, 0xffff, v4
	v_lshrrev_b32_e32 v4, 16, v4
	s_waitcnt vmcnt(0)
	v_lshrrev_b32_e32 v18, 16, v36
	v_cvt_f32_u32_e32 v33, v11
	v_cvt_f32_u32_e32 v34, v3
	v_and_b32_e32 v3, 0xffff, v5
	v_lshrrev_b32_e32 v5, 16, v5
	v_cvt_f32_u32_e32 v31, v16
	v_cvt_f32_u32_e32 v32, v4
	v_max3_f32 v4, v33, 0x2edbe6ff, v34
	v_and_b32_e32 v11, 0xffff, v6
	v_lshrrev_b32_e32 v6, 16, v6
	v_cvt_f32_u32_e32 v27, v3
	v_cvt_f32_u32_e32 v28, v5
	v_max3_f32 v3, v4, v31, v32
	;; [unrolled: 5-line block ×11, first 2 shown]
	v_and_b32_e32 v6, 0xffff, v36
	v_cvt_f32_u32_e32 v15, v4
	v_cvt_f32_u32_e32 v16, v5
	v_and_b32_e32 v4, 0xffff, v37
	v_max3_f32 v3, v3, v9, v10
	v_lshrrev_b32_e32 v35, 16, v37
	v_cvt_f32_u32_e32 v17, v6
	v_cvt_f32_u32_e32 v18, v18
	v_and_b32_e32 v36, 0xffff, v38
	v_max3_f32 v3, v3, v15, v16
	v_lshrrev_b32_e32 v37, 16, v38
	v_cvt_f32_u32_e32 v5, v4
	v_cvt_f32_u32_e32 v6, v35
	s_delay_alu instid0(VALU_DEP_4) | instskip(SKIP_2) | instid1(VALU_DEP_3)
	v_max3_f32 v35, v3, v17, v18
	v_cvt_f32_u32_e32 v3, v36
	v_cvt_f32_u32_e32 v4, v37
	v_max3_f32 v35, v35, v5, v6
	s_delay_alu instid0(VALU_DEP_1) | instskip(NEXT) | instid1(VALU_DEP_1)
	v_max3_f32 v35, v35, v3, v4
	v_mov_b32_dpp v36, v35 quad_perm:[1,0,3,2] row_mask:0xf bank_mask:0xf
	s_delay_alu instid0(VALU_DEP_1) | instskip(SKIP_1) | instid1(VALU_DEP_1)
	v_cmp_gt_f32_e32 vcc_lo, v35, v36
	v_cndmask_b32_e32 v35, v36, v35, vcc_lo
	v_mov_b32_dpp v36, v35 quad_perm:[2,3,0,1] row_mask:0xf bank_mask:0xf
	s_delay_alu instid0(VALU_DEP_1) | instskip(SKIP_1) | instid1(VALU_DEP_1)
	v_cmp_gt_f32_e32 vcc_lo, v35, v36
	v_cndmask_b32_e32 v35, v36, v35, vcc_lo
	v_mul_f32_e32 v35, 0x3b124925, v35
	s_delay_alu instid0(VALU_DEP_1) | instskip(SKIP_1) | instid1(VALU_DEP_2)
	v_bfe_u32 v36, v35, 23, 8
	v_and_b32_e32 v35, 0x7fffff, v35
	v_cmp_ne_u32_e32 vcc_lo, 0xff, v36
	s_delay_alu instid0(VALU_DEP_2) | instskip(NEXT) | instid1(VALU_DEP_1)
	v_cmp_ne_u32_e64 s2, 0, v35
	s_and_b32 vcc_lo, s2, vcc_lo
	s_mov_b32 s2, exec_lo
	v_add_co_ci_u32_e32 v35, vcc_lo, 0, v36, vcc_lo
	v_cmpx_eq_u32_e32 0, v39
	s_cbranch_execz .LBB61_10
; %bb.9:
	s_load_b64 s[6:7], s[0:1], 0x8
	s_waitcnt lgkmcnt(0)
	v_add_co_u32 v36, vcc_lo, s6, v1
	v_add_co_ci_u32_e32 v37, vcc_lo, s7, v2, vcc_lo
	global_store_b8 v[36:37], v35, off
.LBB61_10:
	s_or_b32 exec_lo, exec_lo, s2
	s_delay_alu instid0(VALU_DEP_2)
	v_lshlrev_b32_e32 v2, 23, v35
	s_load_b32 s6, s[0:1], 0x30
	v_lshlrev_b32_e32 v0, 5, v0
	s_waitcnt lgkmcnt(0)
	s_and_b32 s5, s5, 0xffff
	s_mov_b32 s7, -1
	v_div_scale_f32 v35, null, v2, v2, 1.0
	v_div_scale_f32 v38, vcc_lo, 1.0, v2, 1.0
	v_lshlrev_b32_e32 v1, 7, v1
	s_delay_alu instid0(VALU_DEP_3) | instskip(SKIP_2) | instid1(VALU_DEP_1)
	v_rcp_f32_e32 v36, v35
	s_waitcnt_depctr 0xfff
	v_fma_f32 v37, -v35, v36, 1.0
	v_fmac_f32_e32 v36, v37, v36
	s_delay_alu instid0(VALU_DEP_1) | instskip(NEXT) | instid1(VALU_DEP_1)
	v_mul_f32_e32 v37, v38, v36
	v_fma_f32 v39, -v35, v37, v38
	s_delay_alu instid0(VALU_DEP_1) | instskip(NEXT) | instid1(VALU_DEP_1)
	v_fmac_f32_e32 v37, v39, v36
	v_fma_f32 v35, -v35, v37, v38
	s_delay_alu instid0(VALU_DEP_1) | instskip(SKIP_1) | instid1(VALU_DEP_2)
	v_div_fmas_f32 v35, v35, v36, v37
	v_mov_b32_e32 v36, 0x43e00000
	v_div_fixup_f32 v2, v35, v2, 1.0
	v_mov_b32_e32 v35, 0xc3e00000
	v_and_or_b32 v37, 0x60, v0, v1
	s_delay_alu instid0(VALU_DEP_3)
	v_mul_f32_e32 v0, v2, v33
	v_mul_f32_e32 v1, v2, v34
	;; [unrolled: 1-line block ×5, first 2 shown]
	;;#ASMSTART
	v_med3_f32 v0, v0, v35, v36
v_med3_f32 v1, v1, v35, v36
v_cvt_pk_fp8_f32 v7, v0, v1
	;;#ASMEND
	;;#ASMSTART
	v_med3_f32 v31, v31, v35, v36
v_med3_f32 v32, v32, v35, v36
v_cvt_pk_fp8_f32 v0, v31, v32
	;;#ASMEND
	v_perm_b32 v7, v0, v7, 0x5040100
	v_mul_f32_e32 v27, v2, v27
	v_mul_f32_e32 v28, v2, v28
	;; [unrolled: 1-line block ×12, first 2 shown]
	;;#ASMSTART
	v_med3_f32 v27, v27, v35, v36
v_med3_f32 v28, v28, v35, v36
v_cvt_pk_fp8_f32 v1, v27, v28
	;;#ASMEND
	;;#ASMSTART
	v_med3_f32 v29, v29, v35, v36
v_med3_f32 v30, v30, v35, v36
v_cvt_pk_fp8_f32 v8, v29, v30
	;;#ASMEND
	;; [unrolled: 5-line block ×3, first 2 shown]
	v_mul_f32_e32 v21, v2, v21
	v_mul_f32_e32 v22, v2, v22
	;; [unrolled: 1-line block ×3, first 2 shown]
	;;#ASMSTART
	v_med3_f32 v25, v25, v35, v36
v_med3_f32 v26, v26, v35, v36
v_cvt_pk_fp8_f32 v10, v25, v26
	;;#ASMEND
	;;#ASMSTART
	v_med3_f32 v19, v19, v35, v36
v_med3_f32 v20, v20, v35, v36
v_cvt_pk_fp8_f32 v23, v19, v20
	;;#ASMEND
	;; [unrolled: 5-line block ×3, first 2 shown]
	v_perm_b32 v8, v1, v8, 0x1000504
	v_perm_b32 v9, v9, v10, 0x1000504
	;; [unrolled: 1-line block ×4, first 2 shown]
	v_mul_f32_e32 v11, v2, v11
	v_mul_f32_e32 v12, v2, v12
	;; [unrolled: 1-line block ×12, first 2 shown]
	buffer_store_b128 v[7:10], v37, s[4:7], 0 offen
	;;#ASMSTART
	s_nop 0
	;;#ASMEND
	;;#ASMSTART
	v_med3_f32 v11, v11, v35, v36
v_med3_f32 v12, v12, v35, v36
v_cvt_pk_fp8_f32 v4, v11, v12
	;;#ASMEND
	;;#ASMSTART
	v_med3_f32 v13, v13, v35, v36
v_med3_f32 v14, v14, v35, v36
v_cvt_pk_fp8_f32 v5, v13, v14
	;; [unrolled: 5-line block ×7, first 2 shown]
	;;#ASMEND
	v_perm_b32 v0, v5, v4, 0x5040100
	;;#ASMSTART
	v_med3_f32 v3, v3, v35, v36
v_med3_f32 v2, v2, v35, v36
v_cvt_pk_fp8_f32 v4, v3, v2
	;;#ASMEND
	v_perm_b32 v1, v6, v7, 0x1000504
	v_perm_b32 v2, v8, v9, 0x1000504
	v_perm_b32 v3, v10, v4, 0x1000504
	v_perm_b32 v0, v0, v5, 0x1060504
	buffer_store_b128 v[0:3], v37, s[4:7], 16 offen
	;;#ASMSTART
	s_nop 0
	;;#ASMEND
.LBB61_11:
	s_nop 0
	s_sendmsg sendmsg(MSG_DEALLOC_VGPRS)
	s_endpgm
	.section	.rodata,"a",@progbits
	.p2align	6, 0x0
	.amdhsa_kernel _ZN5aiter37dynamic_per_group_scaled_quant_kernelItDB8_Li32ELi128ELb0ELi64ELb1EEEvPT0_PfPKT_PKfliilPKii
		.amdhsa_group_segment_fixed_size 0
		.amdhsa_private_segment_fixed_size 0
		.amdhsa_kernarg_size 68
		.amdhsa_user_sgpr_count 15
		.amdhsa_user_sgpr_dispatch_ptr 0
		.amdhsa_user_sgpr_queue_ptr 0
		.amdhsa_user_sgpr_kernarg_segment_ptr 1
		.amdhsa_user_sgpr_dispatch_id 0
		.amdhsa_user_sgpr_private_segment_size 0
		.amdhsa_wavefront_size32 1
		.amdhsa_uses_dynamic_stack 0
		.amdhsa_enable_private_segment 0
		.amdhsa_system_sgpr_workgroup_id_x 1
		.amdhsa_system_sgpr_workgroup_id_y 0
		.amdhsa_system_sgpr_workgroup_id_z 0
		.amdhsa_system_sgpr_workgroup_info 0
		.amdhsa_system_vgpr_workitem_id 0
		.amdhsa_next_free_vgpr 40
		.amdhsa_next_free_sgpr 16
		.amdhsa_reserve_vcc 1
		.amdhsa_float_round_mode_32 0
		.amdhsa_float_round_mode_16_64 0
		.amdhsa_float_denorm_mode_32 3
		.amdhsa_float_denorm_mode_16_64 3
		.amdhsa_dx10_clamp 1
		.amdhsa_ieee_mode 1
		.amdhsa_fp16_overflow 0
		.amdhsa_workgroup_processor_mode 1
		.amdhsa_memory_ordered 1
		.amdhsa_forward_progress 0
		.amdhsa_shared_vgpr_count 0
		.amdhsa_exception_fp_ieee_invalid_op 0
		.amdhsa_exception_fp_denorm_src 0
		.amdhsa_exception_fp_ieee_div_zero 0
		.amdhsa_exception_fp_ieee_overflow 0
		.amdhsa_exception_fp_ieee_underflow 0
		.amdhsa_exception_fp_ieee_inexact 0
		.amdhsa_exception_int_div_zero 0
	.end_amdhsa_kernel
	.section	.text._ZN5aiter37dynamic_per_group_scaled_quant_kernelItDB8_Li32ELi128ELb0ELi64ELb1EEEvPT0_PfPKT_PKfliilPKii,"axG",@progbits,_ZN5aiter37dynamic_per_group_scaled_quant_kernelItDB8_Li32ELi128ELb0ELi64ELb1EEEvPT0_PfPKT_PKfliilPKii,comdat
.Lfunc_end61:
	.size	_ZN5aiter37dynamic_per_group_scaled_quant_kernelItDB8_Li32ELi128ELb0ELi64ELb1EEEvPT0_PfPKT_PKfliilPKii, .Lfunc_end61-_ZN5aiter37dynamic_per_group_scaled_quant_kernelItDB8_Li32ELi128ELb0ELi64ELb1EEEvPT0_PfPKT_PKfliilPKii
                                        ; -- End function
	.section	.AMDGPU.csdata,"",@progbits
; Kernel info:
; codeLenInByte = 3388
; NumSgprs: 18
; NumVgprs: 40
; ScratchSize: 0
; MemoryBound: 0
; FloatMode: 240
; IeeeMode: 1
; LDSByteSize: 0 bytes/workgroup (compile time only)
; SGPRBlocks: 2
; VGPRBlocks: 4
; NumSGPRsForWavesPerEU: 18
; NumVGPRsForWavesPerEU: 40
; Occupancy: 16
; WaveLimiterHint : 0
; COMPUTE_PGM_RSRC2:SCRATCH_EN: 0
; COMPUTE_PGM_RSRC2:USER_SGPR: 15
; COMPUTE_PGM_RSRC2:TRAP_HANDLER: 0
; COMPUTE_PGM_RSRC2:TGID_X_EN: 1
; COMPUTE_PGM_RSRC2:TGID_Y_EN: 0
; COMPUTE_PGM_RSRC2:TGID_Z_EN: 0
; COMPUTE_PGM_RSRC2:TIDIG_COMP_CNT: 0
	.section	.text._ZN5aiter36smooth_per_token_scaled_quant_kernelIDF16_DB8_Li256ELi8ELb1ELb1ELb1ELi1024EEEvPT0_PfPT_S4_PiS7_iiPKiiiiiiiii,"axG",@progbits,_ZN5aiter36smooth_per_token_scaled_quant_kernelIDF16_DB8_Li256ELi8ELb1ELb1ELb1ELi1024EEEvPT0_PfPT_S4_PiS7_iiPKiiiiiiiii,comdat
	.protected	_ZN5aiter36smooth_per_token_scaled_quant_kernelIDF16_DB8_Li256ELi8ELb1ELb1ELb1ELi1024EEEvPT0_PfPT_S4_PiS7_iiPKiiiiiiiii ; -- Begin function _ZN5aiter36smooth_per_token_scaled_quant_kernelIDF16_DB8_Li256ELi8ELb1ELb1ELb1ELi1024EEEvPT0_PfPT_S4_PiS7_iiPKiiiiiiiii
	.globl	_ZN5aiter36smooth_per_token_scaled_quant_kernelIDF16_DB8_Li256ELi8ELb1ELb1ELb1ELi1024EEEvPT0_PfPT_S4_PiS7_iiPKiiiiiiiii
	.p2align	8
	.type	_ZN5aiter36smooth_per_token_scaled_quant_kernelIDF16_DB8_Li256ELi8ELb1ELb1ELb1ELi1024EEEvPT0_PfPT_S4_PiS7_iiPKiiiiiiiii,@function
_ZN5aiter36smooth_per_token_scaled_quant_kernelIDF16_DB8_Li256ELi8ELb1ELb1ELb1ELi1024EEEvPT0_PfPT_S4_PiS7_iiPKiiiiiiiii: ; @_ZN5aiter36smooth_per_token_scaled_quant_kernelIDF16_DB8_Li256ELi8ELb1ELb1ELb1ELi1024EEEvPT0_PfPT_S4_PiS7_iiPKiiiiiiiii
; %bb.0:
	s_clause 0x2
	s_load_b64 s[2:3], s[0:1], 0x38
	s_load_b64 s[16:17], s[0:1], 0x28
	s_load_b256 s[4:11], s[0:1], 0x40
	s_waitcnt lgkmcnt(0)
	s_cmp_lg_u64 s[2:3], 0
	s_cbranch_scc0 .LBB62_11
; %bb.1:
	s_load_b32 s2, s[2:3], 0x0
	s_waitcnt lgkmcnt(0)
	s_mul_i32 s4, s2, s4
	s_cbranch_execnz .LBB62_3
.LBB62_2:
	s_mul_i32 s4, s6, s5
.LBB62_3:
	s_load_b64 s[2:3], s[0:1], 0x30
	s_lshl_b32 s18, s11, 2
	s_and_b32 s17, s17, 0xffff
	s_mov_b32 s19, -1
	s_abs_i32 s14, s4
                                        ; implicit-def: $sgpr34
	s_waitcnt lgkmcnt(0)
	s_abs_i32 s11, s2
	s_delay_alu instid0(SALU_CYCLE_1) | instskip(SKIP_1) | instid1(VALU_DEP_1)
	v_cvt_f32_u32_e32 v6, s11
	s_sub_i32 s13, 0, s11
	v_rcp_iflag_f32_e32 v6, v6
	s_waitcnt_depctr 0xfff
	v_dual_mul_f32 v6, 0x4f7ffffe, v6 :: v_dual_lshlrev_b32 v1, 2, v0
	s_clause 0x3
	buffer_load_b32 v2, v1, s[16:19], 0 offen
	buffer_load_b32 v3, v1, s[16:19], 0 offen offset:1024
	buffer_load_b32 v4, v1, s[16:19], 0 offen offset:2048
	;; [unrolled: 1-line block ×3, first 2 shown]
	s_waitcnt vmcnt(2)
	ds_store_2addr_stride64_b32 v1, v2, v3 offset1:4
	s_waitcnt vmcnt(0)
	ds_store_2addr_stride64_b32 v1, v4, v5 offset0:8 offset1:12
	v_cvt_u32_f32_e32 v6, v6
	s_delay_alu instid0(VALU_DEP_1) | instskip(NEXT) | instid1(VALU_DEP_1)
	v_readfirstlane_b32 s12, v6
	s_mul_i32 s13, s13, s12
	s_delay_alu instid0(SALU_CYCLE_1) | instskip(NEXT) | instid1(SALU_CYCLE_1)
	s_mul_hi_u32 s13, s12, s13
	s_add_i32 s12, s12, s13
	s_xor_b32 s13, s4, s2
	s_mul_hi_u32 s12, s14, s12
	s_ashr_i32 s13, s13, 31
	s_mul_i32 s16, s12, s11
	s_delay_alu instid0(SALU_CYCLE_1)
	s_sub_i32 s14, s14, s16
	s_add_i32 s16, s12, 1
	s_sub_i32 s17, s14, s11
	s_cmp_ge_u32 s14, s11
	s_cselect_b32 s12, s16, s12
	s_cselect_b32 s14, s17, s14
	s_add_i32 s16, s12, 1
	s_cmp_ge_u32 s14, s11
	s_cselect_b32 s11, s16, s12
	s_delay_alu instid0(SALU_CYCLE_1) | instskip(NEXT) | instid1(SALU_CYCLE_1)
	s_xor_b32 s11, s11, s13
	s_sub_i32 s11, s11, s13
	s_delay_alu instid0(SALU_CYCLE_1) | instskip(NEXT) | instid1(SALU_CYCLE_1)
	s_mul_i32 s2, s11, s2
	s_sub_i32 s12, s4, s2
	s_delay_alu instid0(SALU_CYCLE_1)
	s_cmp_lt_u32 s15, s12
	s_cselect_b32 s2, -1, 0
	s_add_i32 s4, s11, 1
	s_cmp_ge_u32 s15, s12
	s_cbranch_scc0 .LBB62_5
; %bb.4:
	s_sub_i32 s13, s15, s12
	s_mul_i32 s12, s12, s4
	s_mul_i32 s13, s13, s11
	s_mov_b32 s19, 0
	s_add_i32 s34, s13, s12
.LBB62_5:
	s_and_not1_b32 vcc_lo, exec_lo, s19
	s_cbranch_vccnz .LBB62_7
; %bb.6:
	s_mul_i32 s34, s4, s15
.LBB62_7:
	v_cndmask_b32_e64 v1, 0, 1, s2
	s_delay_alu instid0(VALU_DEP_1) | instskip(NEXT) | instid1(VALU_DEP_1)
	v_readfirstlane_b32 s2, v1
	s_add_i32 s4, s11, s2
	s_delay_alu instid0(SALU_CYCLE_1)
	s_cmp_lt_i32 s4, 1
	s_cbranch_scc1 .LBB62_35
; %bb.8:
	s_load_b64 s[12:13], s[0:1], 0x20
	s_ashr_i32 s35, s34, 31
	v_and_b32_e32 v1, 31, v0
	s_lshl_b64 s[14:15], s[34:35], 2
	s_mov_b32 s33, -1
	v_and_b32_e32 v4, 7, v0
	s_mov_b32 s23, s33
	v_cmp_eq_u32_e32 vcc_lo, 31, v1
	v_lshlrev_b32_e32 v8, 4, v0
	v_lshlrev_b32_e32 v9, 5, v0
	v_lshl_or_b32 v11, v4, 2, 0x1000
	v_lshlrev_b32_e32 v13, 3, v0
	s_mov_b32 s42, s3
	s_waitcnt lgkmcnt(0)
	s_add_u32 s20, s12, s14
	s_addc_u32 s2, s13, s15
	s_abs_i32 s11, s6
	s_lshl_b32 s22, s4, 2
	v_cvt_f32_u32_e32 v3, s11
	s_and_b32 s21, s2, 0xffff
	s_load_b256 s[12:19], s[0:1], 0x0
	s_movk_i32 s0, 0x7c
	s_add_i32 s1, s3, 7
	v_rcp_iflag_f32_e32 v3, v3
	v_lshlrev_b32_e32 v14, 2, v1
	v_lshrrev_b32_e32 v1, 3, v0
	s_ashr_i32 s2, s1, 31
	s_lshl_b32 s26, s3, 1
	s_lshr_b32 s2, s2, 29
	s_lshl_b32 s30, s3, 2
	v_and_or_b32 v10, v1, s0, 0x1000
	s_add_i32 s1, s1, s2
	v_cmp_eq_u32_e64 s0, 0, v0
	s_waitcnt_depctr 0xfff
	v_mul_f32_e32 v1, 0x4f7ffffe, v3
	buffer_load_b32 v2, v14, s[20:23], 0 offen
	s_waitcnt vmcnt(0) expcnt(0) lgkmcnt(0)
	s_barrier
	buffer_gl0_inv
	v_cvt_u32_f32_e32 v1, v1
	s_add_i32 s23, s3, 3
	s_ashr_i32 s1, s1, 3
	s_ashr_i32 s2, s23, 31
	v_cmp_gt_u32_e64 s1, s1, v0
	v_readfirstlane_b32 s41, v1
	s_lshr_b32 s2, s2, 30
	s_ashr_i32 s40, s6, 31
	s_add_i32 s23, s23, s2
	s_sub_i32 s2, 0, s11
	s_and_b32 s38, s23, -4
	s_mul_i32 s23, s2, s41
	s_delay_alu instid0(SALU_CYCLE_1) | instskip(NEXT) | instid1(SALU_CYCLE_1)
	s_mul_hi_u32 s23, s41, s23
	s_add_i32 s41, s41, s23
	v_lshlrev_b32_e32 v2, 2, v2
	ds_load_b32 v12, v2
	s_waitcnt lgkmcnt(0)
	v_readlane_b32 s2, v12, 0
	s_delay_alu instid0(VALU_DEP_1)
	s_cmp_lt_i32 s2, 0
	s_cbranch_scc1 .LBB62_12
; %bb.9:
	s_abs_i32 s23, s34
	s_xor_b32 s27, s35, s40
	s_mul_hi_u32 s24, s23, s41
	s_mov_b32 s31, -1
	s_mul_i32 s25, s24, s11
	s_add_i32 s28, s24, 1
	s_sub_i32 s25, s23, s25
	s_delay_alu instid0(SALU_CYCLE_1)
	s_sub_i32 s29, s25, s11
	s_cmp_ge_u32 s25, s11
	s_cselect_b32 s24, s28, s24
	s_cselect_b32 s25, s29, s25
	s_add_i32 s28, s24, 1
	s_cmp_ge_u32 s25, s11
	s_cselect_b32 s24, s28, s24
	s_delay_alu instid0(SALU_CYCLE_1) | instskip(NEXT) | instid1(SALU_CYCLE_1)
	s_xor_b32 s24, s24, s27
	s_sub_i32 s24, s24, s27
	s_delay_alu instid0(SALU_CYCLE_1) | instskip(SKIP_2) | instid1(SALU_CYCLE_1)
	s_mul_i32 s25, s24, s6
	s_mul_i32 s24, s24, s7
	s_sub_i32 s25, s34, s25
	s_mul_i32 s25, s25, s8
	s_delay_alu instid0(SALU_CYCLE_1) | instskip(NEXT) | instid1(SALU_CYCLE_1)
	s_add_i32 s33, s25, s24
	s_cmp_eq_u32 s33, -1
	s_cbranch_scc1 .LBB62_13
; %bb.10:
	s_mul_hi_i32 s25, s33, s42
	s_mul_i32 s24, s33, s42
	s_mov_b32 s27, s31
	s_lshl_b64 s[24:25], s[24:25], 1
	s_delay_alu instid0(SALU_CYCLE_1) | instskip(SKIP_1) | instid1(SALU_CYCLE_1)
	s_add_u32 s24, s16, s24
	s_addc_u32 s25, s17, s25
	s_and_b32 s25, s25, 0xffff
	buffer_load_b128 v[3:6], v8, s[24:27], 0 offen
	s_waitcnt vmcnt(0)
	v_cvt_f32_f16_e32 v0, v3
	v_lshrrev_b32_e32 v1, 16, v3
	v_cvt_f32_f16_e32 v2, v4
	v_lshrrev_b32_e32 v3, 16, v4
	v_cvt_f32_f16_e32 v4, v5
	v_lshrrev_b32_e32 v5, 16, v5
	v_lshrrev_b32_e32 v7, 16, v6
	v_cvt_f32_f16_e32 v6, v6
	v_cvt_f32_f16_e32 v1, v1
	v_cvt_f32_f16_e32 v3, v3
	v_cvt_f32_f16_e32 v5, v5
	v_cvt_f32_f16_e32 v7, v7
	s_branch .LBB62_14
.LBB62_11:
                                        ; implicit-def: $sgpr4
	s_branch .LBB62_2
.LBB62_12:
                                        ; implicit-def: $vgpr0_vgpr1_vgpr2_vgpr3_vgpr4_vgpr5_vgpr6_vgpr7
	s_cmp_eq_u32 s4, 1
	s_mov_b32 s35, 1
	s_cbranch_scc0 .LBB62_21
	s_branch .LBB62_35
.LBB62_13:
                                        ; implicit-def: $vgpr0_vgpr1_vgpr2_vgpr3_vgpr4_vgpr5_vgpr6_vgpr7
.LBB62_14:
	s_mul_i32 s24, s2, s3
	s_delay_alu instid0(SALU_CYCLE_1) | instskip(NEXT) | instid1(SALU_CYCLE_1)
	s_ashr_i32 s25, s24, 31
	s_lshl_b64 s[24:25], s[24:25], 2
	s_delay_alu instid0(SALU_CYCLE_1) | instskip(SKIP_1) | instid1(SALU_CYCLE_1)
	s_add_u32 s28, s18, s24
	s_addc_u32 s2, s19, s25
	s_and_b32 s29, s2, 0xffff
	s_clause 0x1
	buffer_load_b128 v[15:18], v9, s[28:31], 0 offen
	buffer_load_b128 v[23:26], v9, s[28:31], 16 offen
	s_waitcnt vmcnt(1)
	v_dual_mul_f32 v21, v0, v15 :: v_dual_mul_f32 v22, v1, v16
	v_dual_mul_f32 v19, v2, v17 :: v_dual_mul_f32 v20, v3, v18
	s_waitcnt vmcnt(0)
	v_dual_mul_f32 v18, v4, v23 :: v_dual_mul_f32 v17, v5, v24
	s_delay_alu instid0(VALU_DEP_3) | instskip(SKIP_1) | instid1(VALU_DEP_2)
	v_max3_f32 v15, |v21|, 0x2edbe6ff, |v22|
	v_mul_f32_e32 v16, v7, v26
	v_max3_f32 v23, v15, |v19|, |v20|
	v_mul_f32_e32 v15, v6, v25
	s_delay_alu instid0(VALU_DEP_2) | instskip(NEXT) | instid1(VALU_DEP_1)
	v_max3_f32 v23, v23, |v18|, |v17|
	v_max3_f32 v23, v23, |v15|, |v16|
	s_delay_alu instid0(VALU_DEP_1) | instskip(NEXT) | instid1(VALU_DEP_1)
	v_mov_b32_dpp v24, v23 quad_perm:[1,0,3,2] row_mask:0xf bank_mask:0xf
	v_cmp_gt_f32_e64 s2, v23, v24
	s_delay_alu instid0(VALU_DEP_1) | instskip(NEXT) | instid1(VALU_DEP_1)
	v_cndmask_b32_e64 v23, v24, v23, s2
	v_mov_b32_dpp v24, v23 quad_perm:[2,3,0,1] row_mask:0xf bank_mask:0xf
	s_delay_alu instid0(VALU_DEP_1) | instskip(NEXT) | instid1(VALU_DEP_1)
	v_cmp_gt_f32_e64 s2, v23, v24
	v_cndmask_b32_e64 v23, v24, v23, s2
	s_delay_alu instid0(VALU_DEP_1) | instskip(NEXT) | instid1(VALU_DEP_1)
	v_mov_b32_dpp v24, v23 row_xmask:7 row_mask:0xf bank_mask:0xf
	v_cmp_gt_f32_e64 s2, v23, v24
	s_delay_alu instid0(VALU_DEP_1) | instskip(NEXT) | instid1(VALU_DEP_1)
	v_cndmask_b32_e64 v23, v24, v23, s2
	v_mov_b32_dpp v24, v23 row_xmask:15 row_mask:0xf bank_mask:0xf
	s_delay_alu instid0(VALU_DEP_1)
	v_cmp_gt_f32_e64 s2, v23, v24
	s_and_saveexec_b32 s24, vcc_lo
	s_cbranch_execz .LBB62_16
; %bb.15:
	s_delay_alu instid0(VALU_DEP_1)
	v_cndmask_b32_e64 v23, v24, v23, s2
	s_mov_b32 s2, 0x76543210
	s_delay_alu instid0(VALU_DEP_1) | instid1(SALU_CYCLE_1)
	v_permlanex16_b32 v24, v23, s2, 0xfedcba98 op_sel:[1,1]
	s_delay_alu instid0(VALU_DEP_1) | instskip(NEXT) | instid1(VALU_DEP_1)
	v_cmp_gt_f32_e64 s2, v23, v24
	v_cndmask_b32_e64 v23, v24, v23, s2
	ds_store_b32 v10, v23
.LBB62_16:
	s_or_b32 exec_lo, exec_lo, s24
	s_waitcnt lgkmcnt(0)
	s_barrier
	buffer_gl0_inv
	ds_load_b32 v24, v11
	s_abs_i32 s24, s5
	s_delay_alu instid0(SALU_CYCLE_1) | instskip(SKIP_1) | instid1(VALU_DEP_1)
	v_cvt_f32_u32_e32 v23, s24
	s_sub_i32 s27, 0, s24
	v_rcp_iflag_f32_e32 v23, v23
	s_waitcnt_depctr 0xfff
	v_mul_f32_e32 v23, 0x4f7ffffe, v23
	s_waitcnt lgkmcnt(0)
	v_mov_b32_dpp v25, v24 quad_perm:[1,0,3,2] row_mask:0xf bank_mask:0xf
	s_delay_alu instid0(VALU_DEP_2) | instskip(NEXT) | instid1(VALU_DEP_2)
	v_cvt_u32_f32_e32 v23, v23
	v_cmp_gt_f32_e64 s2, v24, v25
	s_delay_alu instid0(VALU_DEP_2) | instskip(NEXT) | instid1(VALU_DEP_2)
	v_readfirstlane_b32 s25, v23
	v_cndmask_b32_e64 v23, v25, v24, s2
	s_delay_alu instid0(VALU_DEP_2) | instskip(NEXT) | instid1(VALU_DEP_1)
	s_mul_i32 s27, s27, s25
	v_mov_b32_dpp v24, v23 quad_perm:[2,3,0,1] row_mask:0xf bank_mask:0xf
	s_mul_hi_u32 s2, s25, s27
	s_delay_alu instid0(SALU_CYCLE_1)
	s_add_i32 s25, s25, s2
	s_ashr_i32 s2, s5, 31
	s_mul_hi_u32 s25, s23, s25
	s_xor_b32 s27, s35, s2
	v_cmp_gt_f32_e64 s2, v23, v24
	s_mul_i32 s28, s25, s24
	s_delay_alu instid0(VALU_DEP_1)
	v_cndmask_b32_e64 v23, v24, v23, s2
	s_sub_i32 s2, s23, s28
	s_add_i32 s23, s25, 1
	s_sub_i32 s28, s2, s24
	s_cmp_ge_u32 s2, s24
	v_mov_b32_dpp v24, v23 row_xmask:7 row_mask:0xf bank_mask:0xf
	s_cselect_b32 s23, s23, s25
	s_cselect_b32 s2, s28, s2
	s_add_i32 s25, s23, 1
	s_cmp_ge_u32 s2, s24
	s_cselect_b32 s2, s25, s23
	s_delay_alu instid0(SALU_CYCLE_1) | instskip(SKIP_1) | instid1(VALU_DEP_1)
	s_xor_b32 s23, s2, s27
	v_cmp_gt_f32_e64 s2, v23, v24
	v_cndmask_b32_e64 v23, v24, v23, s2
	s_sub_i32 s2, s23, s27
	s_delay_alu instid0(SALU_CYCLE_1) | instskip(SKIP_4) | instid1(SALU_CYCLE_1)
	s_mul_i32 s23, s2, s5
	s_mul_i32 s2, s2, s9
	s_sub_i32 s23, s34, s23
	v_mul_f32_e32 v23, 0x3b124925, v23
	s_mul_i32 s23, s23, s10
	s_add_i32 s24, s23, s2
	s_and_saveexec_b32 s2, s0
	s_cbranch_execz .LBB62_18
; %bb.17:
	s_ashr_i32 s25, s24, 31
	v_mov_b32_e32 v24, 0
	s_lshl_b64 s[28:29], s[24:25], 2
	s_delay_alu instid0(SALU_CYCLE_1)
	s_add_u32 s28, s14, s28
	s_addc_u32 s29, s15, s29
	global_store_b32 v24, v23, s[28:29]
.LBB62_18:
	s_or_b32 exec_lo, exec_lo, s2
	s_and_saveexec_b32 s2, s1
	s_cbranch_execz .LBB62_20
; %bb.19:
	v_rcp_f32_e32 v23, v23
	v_mov_b32_e32 v24, 0xc3e00000
	v_mov_b32_e32 v25, 0x43e00000
	s_mul_i32 s23, s24, s42
	s_mul_hi_i32 s24, s24, s42
	s_add_u32 s36, s12, s23
	s_addc_u32 s23, s13, s24
	s_mov_b32 s39, -1
	s_and_b32 s37, s23, 0xffff
	s_waitcnt_depctr 0xfff
	v_mul_f32_e32 v22, v22, v23
	v_mul_f32_e32 v21, v21, v23
	;; [unrolled: 1-line block ×4, first 2 shown]
	;;#ASMSTART
	v_med3_f32 v21, v21, v24, v25
v_med3_f32 v22, v22, v24, v25
v_cvt_pk_fp8_f32 v26, v21, v22
	;;#ASMEND
	;;#ASMSTART
	v_med3_f32 v19, v19, v24, v25
v_med3_f32 v20, v20, v24, v25
v_cvt_pk_fp8_f32 v21, v19, v20
	;;#ASMEND
	v_perm_b32 v19, v21, v26, 0x5040100
	v_dual_mul_f32 v18, v18, v23 :: v_dual_and_b32 v21, 0xffffff00, v21
	v_mul_f32_e32 v17, v17, v23
	v_mul_f32_e32 v15, v15, v23
	s_delay_alu instid0(VALU_DEP_4) | instskip(NEXT) | instid1(VALU_DEP_1)
	v_lshrrev_b32_e32 v20, 16, v19
	v_and_b32_e32 v20, 0xff, v20
	s_delay_alu instid0(VALU_DEP_1)
	v_or_b32_e32 v20, v20, v21
	v_mul_f32_e32 v16, v16, v23
	;;#ASMSTART
	v_med3_f32 v18, v18, v24, v25
v_med3_f32 v17, v17, v24, v25
v_cvt_pk_fp8_f32 v21, v18, v17
	;;#ASMEND
	;;#ASMSTART
	v_med3_f32 v15, v15, v24, v25
v_med3_f32 v16, v16, v24, v25
v_cvt_pk_fp8_f32 v17, v15, v16
	;;#ASMEND
	v_lshlrev_b32_e32 v15, 16, v17
	v_lshlrev_b32_e32 v17, 16, v20
	s_delay_alu instid0(VALU_DEP_2) | instskip(NEXT) | instid1(VALU_DEP_2)
	v_and_or_b32 v16, 0xffff, v21, v15
	v_and_or_b32 v15, 0xffff, v19, v17
	buffer_store_b64 v[15:16], v13, s[36:39], 0 offen
	;;#ASMSTART
	s_nop 0
	;;#ASMEND
.LBB62_20:
	s_or_b32 exec_lo, exec_lo, s2
	s_cmp_eq_u32 s4, 1
	s_mov_b32 s35, 1
	s_cbranch_scc1 .LBB62_35
.LBB62_21:
	s_abs_i32 s43, s5
	v_mov_b32_e32 v17, 0x43e00000
	v_cvt_f32_u32_e32 v15, s43
	s_sub_i32 s23, 0, s43
	s_ashr_i32 s44, s5, 31
	s_mov_b32 s31, -1
	s_mov_b32 s46, 0x76543210
	v_rcp_iflag_f32_e32 v15, v15
	v_add_nc_u32_e32 v14, 4, v14
	v_mov_b32_e32 v16, 0xc3e00000
	s_waitcnt_depctr 0xfff
	v_mul_f32_e32 v15, 0x4f7ffffe, v15
	s_delay_alu instid0(VALU_DEP_1) | instskip(NEXT) | instid1(VALU_DEP_1)
	v_cvt_u32_f32_e32 v15, v15
	v_readfirstlane_b32 s2, v15
	v_mov_b32_e32 v15, 0
	s_delay_alu instid0(VALU_DEP_2) | instskip(NEXT) | instid1(SALU_CYCLE_1)
	s_mul_i32 s23, s23, s2
	s_mul_hi_u32 s23, s2, s23
	s_delay_alu instid0(SALU_CYCLE_1)
	s_add_i32 s45, s2, s23
	s_branch .LBB62_24
.LBB62_22:                              ;   in Loop: Header=BB62_24 Depth=1
	s_or_b32 exec_lo, exec_lo, s2
.LBB62_23:                              ;   in Loop: Header=BB62_24 Depth=1
	v_add_nc_u32_e32 v14, 4, v14
	s_add_i32 s35, s35, 1
	s_delay_alu instid0(SALU_CYCLE_1)
	s_cmp_eq_u32 s4, s35
	s_cbranch_scc1 .LBB62_35
.LBB62_24:                              ; =>This Inner Loop Header: Depth=1
	s_and_b32 s2, s35, 31
	s_delay_alu instid0(SALU_CYCLE_1)
	s_cmp_lg_u32 s2, 0
	s_cbranch_scc1 .LBB62_26
; %bb.25:                               ;   in Loop: Header=BB62_24 Depth=1
	s_mov_b32 s23, s31
	buffer_load_b32 v12, v14, s[20:23], 0 offen
	s_waitcnt vmcnt(0) expcnt(0) lgkmcnt(55)
	v_lshlrev_b32_e32 v12, 2, v12
	ds_load_b32 v12, v12
.LBB62_26:                              ;   in Loop: Header=BB62_24 Depth=1
	s_waitcnt lgkmcnt(0)
	v_readlane_b32 s2, v12, s2
	s_delay_alu instid0(VALU_DEP_1)
	s_cmp_lt_i32 s2, 0
	s_cbranch_scc1 .LBB62_23
; %bb.27:                               ;   in Loop: Header=BB62_24 Depth=1
	s_add_i32 s23, s34, s35
	s_delay_alu instid0(SALU_CYCLE_1)
	s_abs_i32 s36, s23
	s_ashr_i32 s37, s23, 31
	s_mul_hi_u32 s24, s36, s41
	s_xor_b32 s27, s37, s40
	s_mul_i32 s25, s24, s11
	s_add_i32 s28, s24, 1
	s_sub_i32 s25, s36, s25
	s_delay_alu instid0(SALU_CYCLE_1)
	s_sub_i32 s29, s25, s11
	s_cmp_ge_u32 s25, s11
	s_cselect_b32 s24, s28, s24
	s_cselect_b32 s25, s29, s25
	s_add_i32 s28, s24, 1
	s_cmp_ge_u32 s25, s11
	s_cselect_b32 s24, s28, s24
	s_delay_alu instid0(SALU_CYCLE_1) | instskip(NEXT) | instid1(SALU_CYCLE_1)
	s_xor_b32 s24, s24, s27
	s_sub_i32 s24, s24, s27
	s_delay_alu instid0(SALU_CYCLE_1) | instskip(SKIP_2) | instid1(SALU_CYCLE_1)
	s_mul_i32 s25, s24, s6
	s_mul_i32 s24, s24, s7
	s_sub_i32 s25, s23, s25
	s_mul_i32 s28, s25, s8
	s_delay_alu instid0(SALU_CYCLE_1) | instskip(NEXT) | instid1(SALU_CYCLE_1)
	s_add_i32 s28, s28, s24
	s_cmp_eq_u32 s28, s33
	s_cbranch_scc1 .LBB62_29
; %bb.28:                               ;   in Loop: Header=BB62_24 Depth=1
	s_mul_hi_i32 s25, s28, s42
	s_mul_i32 s24, s28, s42
	s_mov_b32 s27, s31
	s_lshl_b64 s[24:25], s[24:25], 1
	s_mov_b32 s33, s28
	s_add_u32 s24, s16, s24
	s_addc_u32 s25, s17, s25
	s_delay_alu instid0(SALU_CYCLE_1)
	s_and_b32 s25, s25, 0xffff
	buffer_load_b128 v[3:6], v8, s[24:27], 0 offen
	s_waitcnt vmcnt(0)
	v_cvt_f32_f16_e32 v0, v3
	v_lshrrev_b32_e32 v1, 16, v3
	v_cvt_f32_f16_e32 v2, v4
	v_lshrrev_b32_e32 v3, 16, v4
	;; [unrolled: 2-line block ×3, first 2 shown]
	v_lshrrev_b32_e32 v7, 16, v6
	v_cvt_f32_f16_e32 v6, v6
	v_cvt_f32_f16_e32 v1, v1
	;; [unrolled: 1-line block ×5, first 2 shown]
.LBB62_29:                              ;   in Loop: Header=BB62_24 Depth=1
	s_mul_i32 s24, s2, s3
	s_delay_alu instid0(SALU_CYCLE_1) | instskip(NEXT) | instid1(SALU_CYCLE_1)
	s_ashr_i32 s25, s24, 31
	s_lshl_b64 s[24:25], s[24:25], 2
	s_delay_alu instid0(SALU_CYCLE_1) | instskip(SKIP_1) | instid1(SALU_CYCLE_1)
	s_add_u32 s28, s18, s24
	s_addc_u32 s2, s19, s25
	s_and_b32 s29, s2, 0xffff
	s_clause 0x1
	buffer_load_b128 v[18:21], v9, s[28:31], 0 offen
	buffer_load_b128 v[26:29], v9, s[28:31], 16 offen
	s_waitcnt vmcnt(1)
	v_dual_mul_f32 v24, v0, v18 :: v_dual_mul_f32 v25, v1, v19
	v_dual_mul_f32 v22, v2, v20 :: v_dual_mul_f32 v23, v3, v21
	s_waitcnt vmcnt(0)
	v_dual_mul_f32 v21, v4, v26 :: v_dual_mul_f32 v20, v5, v27
	s_delay_alu instid0(VALU_DEP_3) | instskip(SKIP_1) | instid1(VALU_DEP_2)
	v_max3_f32 v18, |v24|, 0x2edbe6ff, |v25|
	v_mul_f32_e32 v19, v7, v29
	v_max3_f32 v26, v18, |v22|, |v23|
	v_mul_f32_e32 v18, v6, v28
	s_delay_alu instid0(VALU_DEP_2) | instskip(NEXT) | instid1(VALU_DEP_1)
	v_max3_f32 v26, v26, |v21|, |v20|
	v_max3_f32 v26, v26, |v18|, |v19|
	s_delay_alu instid0(VALU_DEP_1) | instskip(NEXT) | instid1(VALU_DEP_1)
	v_mov_b32_dpp v27, v26 quad_perm:[1,0,3,2] row_mask:0xf bank_mask:0xf
	v_cmp_gt_f32_e64 s2, v26, v27
	s_delay_alu instid0(VALU_DEP_1) | instskip(NEXT) | instid1(VALU_DEP_1)
	v_cndmask_b32_e64 v26, v27, v26, s2
	v_mov_b32_dpp v27, v26 quad_perm:[2,3,0,1] row_mask:0xf bank_mask:0xf
	s_delay_alu instid0(VALU_DEP_1) | instskip(NEXT) | instid1(VALU_DEP_1)
	v_cmp_gt_f32_e64 s2, v26, v27
	v_cndmask_b32_e64 v26, v27, v26, s2
	s_delay_alu instid0(VALU_DEP_1) | instskip(NEXT) | instid1(VALU_DEP_1)
	v_mov_b32_dpp v27, v26 row_xmask:7 row_mask:0xf bank_mask:0xf
	v_cmp_gt_f32_e64 s2, v26, v27
	s_delay_alu instid0(VALU_DEP_1) | instskip(NEXT) | instid1(VALU_DEP_1)
	v_cndmask_b32_e64 v26, v27, v26, s2
	v_mov_b32_dpp v27, v26 row_xmask:15 row_mask:0xf bank_mask:0xf
	s_delay_alu instid0(VALU_DEP_1)
	v_cmp_gt_f32_e64 s2, v26, v27
	s_and_saveexec_b32 s24, vcc_lo
	s_cbranch_execz .LBB62_31
; %bb.30:                               ;   in Loop: Header=BB62_24 Depth=1
	s_delay_alu instid0(VALU_DEP_1) | instskip(NEXT) | instid1(VALU_DEP_1)
	v_cndmask_b32_e64 v26, v27, v26, s2
	v_permlanex16_b32 v27, v26, s46, 0xfedcba98 op_sel:[1,1]
	s_delay_alu instid0(VALU_DEP_1) | instskip(NEXT) | instid1(VALU_DEP_1)
	v_cmp_gt_f32_e64 s2, v26, v27
	v_cndmask_b32_e64 v26, v27, v26, s2
	ds_store_b32 v10, v26
.LBB62_31:                              ;   in Loop: Header=BB62_24 Depth=1
	s_or_b32 exec_lo, exec_lo, s24
	s_waitcnt lgkmcnt(0)
	s_waitcnt_vscnt null, 0x0
	s_barrier
	buffer_gl0_inv
	ds_load_b32 v26, v11
	s_mul_hi_u32 s24, s36, s45
	s_xor_b32 s27, s37, s44
	s_mul_i32 s25, s24, s43
	s_waitcnt lgkmcnt(0)
	v_mov_b32_dpp v27, v26 quad_perm:[1,0,3,2] row_mask:0xf bank_mask:0xf
	s_delay_alu instid0(VALU_DEP_1) | instskip(NEXT) | instid1(VALU_DEP_1)
	v_cmp_gt_f32_e64 s2, v26, v27
	v_cndmask_b32_e64 v26, v27, v26, s2
	s_sub_i32 s2, s36, s25
	s_add_i32 s25, s24, 1
	s_sub_i32 s28, s2, s43
	s_cmp_ge_u32 s2, s43
	v_mov_b32_dpp v27, v26 quad_perm:[2,3,0,1] row_mask:0xf bank_mask:0xf
	s_cselect_b32 s24, s25, s24
	s_cselect_b32 s25, s28, s2
	s_delay_alu instid0(VALU_DEP_1) | instskip(NEXT) | instid1(VALU_DEP_1)
	v_cmp_gt_f32_e64 s2, v26, v27
	v_cndmask_b32_e64 v26, v27, v26, s2
	s_add_i32 s2, s24, 1
	s_cmp_ge_u32 s25, s43
	s_cselect_b32 s2, s2, s24
	s_delay_alu instid0(VALU_DEP_1) | instskip(SKIP_1) | instid1(SALU_CYCLE_1)
	v_mov_b32_dpp v27, v26 row_xmask:7 row_mask:0xf bank_mask:0xf
	s_xor_b32 s2, s2, s27
	s_sub_i32 s24, s2, s27
	s_delay_alu instid0(VALU_DEP_1) | instskip(NEXT) | instid1(VALU_DEP_1)
	v_cmp_gt_f32_e64 s2, v26, v27
	v_cndmask_b32_e64 v26, v27, v26, s2
	s_mul_i32 s2, s24, s5
	s_mul_i32 s24, s24, s9
	s_sub_i32 s2, s23, s2
	s_delay_alu instid0(VALU_DEP_1) | instskip(SKIP_1) | instid1(SALU_CYCLE_1)
	v_mul_f32_e32 v26, 0x3b124925, v26
	s_mul_i32 s2, s2, s10
	s_add_i32 s24, s2, s24
	s_and_saveexec_b32 s2, s0
	s_cbranch_execz .LBB62_33
; %bb.32:                               ;   in Loop: Header=BB62_24 Depth=1
	s_ashr_i32 s25, s24, 31
	s_delay_alu instid0(SALU_CYCLE_1) | instskip(NEXT) | instid1(SALU_CYCLE_1)
	s_lshl_b64 s[28:29], s[24:25], 2
	s_add_u32 s28, s14, s28
	s_addc_u32 s29, s15, s29
	global_store_b32 v15, v26, s[28:29]
.LBB62_33:                              ;   in Loop: Header=BB62_24 Depth=1
	s_or_b32 exec_lo, exec_lo, s2
	s_and_saveexec_b32 s2, s1
	s_cbranch_execz .LBB62_22
; %bb.34:                               ;   in Loop: Header=BB62_24 Depth=1
	v_rcp_f32_e32 v26, v26
	s_mul_i32 s23, s24, s42
	s_mul_hi_i32 s24, s24, s42
	s_add_u32 s36, s12, s23
	s_addc_u32 s23, s13, s24
	s_mov_b32 s39, s31
	s_and_b32 s37, s23, 0xffff
	s_waitcnt_depctr 0xfff
	v_mul_f32_e32 v24, v24, v26
	v_mul_f32_e32 v25, v25, v26
	;; [unrolled: 1-line block ×4, first 2 shown]
	;;#ASMSTART
	v_med3_f32 v24, v24, v16, v17
v_med3_f32 v25, v25, v16, v17
v_cvt_pk_fp8_f32 v27, v24, v25
	;;#ASMEND
	;;#ASMSTART
	v_med3_f32 v22, v22, v16, v17
v_med3_f32 v23, v23, v16, v17
v_cvt_pk_fp8_f32 v24, v22, v23
	;;#ASMEND
	v_perm_b32 v22, v24, v27, 0x5040100
	v_and_b32_e32 v24, 0xffffff00, v24
	v_mul_f32_e32 v20, v20, v26
	v_mul_f32_e32 v18, v18, v26
	;; [unrolled: 1-line block ×3, first 2 shown]
	v_lshrrev_b32_e32 v23, 16, v22
	s_delay_alu instid0(VALU_DEP_1) | instskip(NEXT) | instid1(VALU_DEP_1)
	v_and_b32_e32 v23, 0xff, v23
	v_or_b32_e32 v23, v23, v24
	v_mul_f32_e32 v21, v21, v26
	;;#ASMSTART
	v_med3_f32 v21, v21, v16, v17
v_med3_f32 v20, v20, v16, v17
v_cvt_pk_fp8_f32 v24, v21, v20
	;;#ASMEND
	;;#ASMSTART
	v_med3_f32 v18, v18, v16, v17
v_med3_f32 v19, v19, v16, v17
v_cvt_pk_fp8_f32 v20, v18, v19
	;;#ASMEND
	v_lshlrev_b32_e32 v18, 16, v20
	v_lshlrev_b32_e32 v20, 16, v23
	s_delay_alu instid0(VALU_DEP_2) | instskip(NEXT) | instid1(VALU_DEP_2)
	v_and_or_b32 v19, 0xffff, v24, v18
	v_and_or_b32 v18, 0xffff, v22, v20
	buffer_store_b64 v[18:19], v13, s[36:39], 0 offen
	;;#ASMSTART
	s_nop 0
	;;#ASMEND
	s_branch .LBB62_22
.LBB62_35:
	s_nop 0
	s_sendmsg sendmsg(MSG_DEALLOC_VGPRS)
	s_endpgm
	.section	.rodata,"a",@progbits
	.p2align	6, 0x0
	.amdhsa_kernel _ZN5aiter36smooth_per_token_scaled_quant_kernelIDF16_DB8_Li256ELi8ELb1ELb1ELb1ELi1024EEEvPT0_PfPT_S4_PiS7_iiPKiiiiiiiii
		.amdhsa_group_segment_fixed_size 4128
		.amdhsa_private_segment_fixed_size 0
		.amdhsa_kernarg_size 96
		.amdhsa_user_sgpr_count 15
		.amdhsa_user_sgpr_dispatch_ptr 0
		.amdhsa_user_sgpr_queue_ptr 0
		.amdhsa_user_sgpr_kernarg_segment_ptr 1
		.amdhsa_user_sgpr_dispatch_id 0
		.amdhsa_user_sgpr_private_segment_size 0
		.amdhsa_wavefront_size32 1
		.amdhsa_uses_dynamic_stack 0
		.amdhsa_enable_private_segment 0
		.amdhsa_system_sgpr_workgroup_id_x 1
		.amdhsa_system_sgpr_workgroup_id_y 0
		.amdhsa_system_sgpr_workgroup_id_z 0
		.amdhsa_system_sgpr_workgroup_info 0
		.amdhsa_system_vgpr_workitem_id 0
		.amdhsa_next_free_vgpr 30
		.amdhsa_next_free_sgpr 47
		.amdhsa_reserve_vcc 1
		.amdhsa_float_round_mode_32 0
		.amdhsa_float_round_mode_16_64 0
		.amdhsa_float_denorm_mode_32 3
		.amdhsa_float_denorm_mode_16_64 3
		.amdhsa_dx10_clamp 1
		.amdhsa_ieee_mode 1
		.amdhsa_fp16_overflow 0
		.amdhsa_workgroup_processor_mode 1
		.amdhsa_memory_ordered 1
		.amdhsa_forward_progress 0
		.amdhsa_shared_vgpr_count 0
		.amdhsa_exception_fp_ieee_invalid_op 0
		.amdhsa_exception_fp_denorm_src 0
		.amdhsa_exception_fp_ieee_div_zero 0
		.amdhsa_exception_fp_ieee_overflow 0
		.amdhsa_exception_fp_ieee_underflow 0
		.amdhsa_exception_fp_ieee_inexact 0
		.amdhsa_exception_int_div_zero 0
	.end_amdhsa_kernel
	.section	.text._ZN5aiter36smooth_per_token_scaled_quant_kernelIDF16_DB8_Li256ELi8ELb1ELb1ELb1ELi1024EEEvPT0_PfPT_S4_PiS7_iiPKiiiiiiiii,"axG",@progbits,_ZN5aiter36smooth_per_token_scaled_quant_kernelIDF16_DB8_Li256ELi8ELb1ELb1ELb1ELi1024EEEvPT0_PfPT_S4_PiS7_iiPKiiiiiiiii,comdat
.Lfunc_end62:
	.size	_ZN5aiter36smooth_per_token_scaled_quant_kernelIDF16_DB8_Li256ELi8ELb1ELb1ELb1ELi1024EEEvPT0_PfPT_S4_PiS7_iiPKiiiiiiiii, .Lfunc_end62-_ZN5aiter36smooth_per_token_scaled_quant_kernelIDF16_DB8_Li256ELi8ELb1ELb1ELb1ELi1024EEEvPT0_PfPT_S4_PiS7_iiPKiiiiiiiii
                                        ; -- End function
	.section	.AMDGPU.csdata,"",@progbits
; Kernel info:
; codeLenInByte = 3424
; NumSgprs: 49
; NumVgprs: 30
; ScratchSize: 0
; MemoryBound: 0
; FloatMode: 240
; IeeeMode: 1
; LDSByteSize: 4128 bytes/workgroup (compile time only)
; SGPRBlocks: 6
; VGPRBlocks: 3
; NumSGPRsForWavesPerEU: 49
; NumVGPRsForWavesPerEU: 30
; Occupancy: 16
; WaveLimiterHint : 0
; COMPUTE_PGM_RSRC2:SCRATCH_EN: 0
; COMPUTE_PGM_RSRC2:USER_SGPR: 15
; COMPUTE_PGM_RSRC2:TRAP_HANDLER: 0
; COMPUTE_PGM_RSRC2:TGID_X_EN: 1
; COMPUTE_PGM_RSRC2:TGID_Y_EN: 0
; COMPUTE_PGM_RSRC2:TGID_Z_EN: 0
; COMPUTE_PGM_RSRC2:TIDIG_COMP_CNT: 0
	.section	.text._ZN5aiter36smooth_per_token_scaled_quant_kernelItDB8_Li256ELi8ELb1ELb1ELb1ELi1024EEEvPT0_PfPT_S4_PiS7_iiPKiiiiiiiii,"axG",@progbits,_ZN5aiter36smooth_per_token_scaled_quant_kernelItDB8_Li256ELi8ELb1ELb1ELb1ELi1024EEEvPT0_PfPT_S4_PiS7_iiPKiiiiiiiii,comdat
	.protected	_ZN5aiter36smooth_per_token_scaled_quant_kernelItDB8_Li256ELi8ELb1ELb1ELb1ELi1024EEEvPT0_PfPT_S4_PiS7_iiPKiiiiiiiii ; -- Begin function _ZN5aiter36smooth_per_token_scaled_quant_kernelItDB8_Li256ELi8ELb1ELb1ELb1ELi1024EEEvPT0_PfPT_S4_PiS7_iiPKiiiiiiiii
	.globl	_ZN5aiter36smooth_per_token_scaled_quant_kernelItDB8_Li256ELi8ELb1ELb1ELb1ELi1024EEEvPT0_PfPT_S4_PiS7_iiPKiiiiiiiii
	.p2align	8
	.type	_ZN5aiter36smooth_per_token_scaled_quant_kernelItDB8_Li256ELi8ELb1ELb1ELb1ELi1024EEEvPT0_PfPT_S4_PiS7_iiPKiiiiiiiii,@function
_ZN5aiter36smooth_per_token_scaled_quant_kernelItDB8_Li256ELi8ELb1ELb1ELb1ELi1024EEEvPT0_PfPT_S4_PiS7_iiPKiiiiiiiii: ; @_ZN5aiter36smooth_per_token_scaled_quant_kernelItDB8_Li256ELi8ELb1ELb1ELb1ELi1024EEEvPT0_PfPT_S4_PiS7_iiPKiiiiiiiii
; %bb.0:
	s_clause 0x2
	s_load_b64 s[2:3], s[0:1], 0x38
	s_load_b64 s[16:17], s[0:1], 0x28
	s_load_b256 s[4:11], s[0:1], 0x40
	s_waitcnt lgkmcnt(0)
	s_cmp_lg_u64 s[2:3], 0
	s_cbranch_scc0 .LBB63_11
; %bb.1:
	s_load_b32 s2, s[2:3], 0x0
	s_waitcnt lgkmcnt(0)
	s_mul_i32 s4, s2, s4
	s_cbranch_execnz .LBB63_3
.LBB63_2:
	s_mul_i32 s4, s6, s5
.LBB63_3:
	s_load_b64 s[2:3], s[0:1], 0x30
	s_lshl_b32 s18, s11, 2
	s_and_b32 s17, s17, 0xffff
	s_mov_b32 s19, -1
	s_abs_i32 s14, s4
                                        ; implicit-def: $sgpr34
	s_waitcnt lgkmcnt(0)
	s_abs_i32 s11, s2
	s_delay_alu instid0(SALU_CYCLE_1) | instskip(SKIP_1) | instid1(VALU_DEP_1)
	v_cvt_f32_u32_e32 v6, s11
	s_sub_i32 s13, 0, s11
	v_rcp_iflag_f32_e32 v6, v6
	s_waitcnt_depctr 0xfff
	v_dual_mul_f32 v6, 0x4f7ffffe, v6 :: v_dual_lshlrev_b32 v1, 2, v0
	s_clause 0x3
	buffer_load_b32 v2, v1, s[16:19], 0 offen
	buffer_load_b32 v3, v1, s[16:19], 0 offen offset:1024
	buffer_load_b32 v4, v1, s[16:19], 0 offen offset:2048
	;; [unrolled: 1-line block ×3, first 2 shown]
	s_waitcnt vmcnt(2)
	ds_store_2addr_stride64_b32 v1, v2, v3 offset1:4
	s_waitcnt vmcnt(0)
	ds_store_2addr_stride64_b32 v1, v4, v5 offset0:8 offset1:12
	v_cvt_u32_f32_e32 v6, v6
	s_delay_alu instid0(VALU_DEP_1) | instskip(NEXT) | instid1(VALU_DEP_1)
	v_readfirstlane_b32 s12, v6
	s_mul_i32 s13, s13, s12
	s_delay_alu instid0(SALU_CYCLE_1) | instskip(NEXT) | instid1(SALU_CYCLE_1)
	s_mul_hi_u32 s13, s12, s13
	s_add_i32 s12, s12, s13
	s_xor_b32 s13, s4, s2
	s_mul_hi_u32 s12, s14, s12
	s_ashr_i32 s13, s13, 31
	s_mul_i32 s16, s12, s11
	s_delay_alu instid0(SALU_CYCLE_1)
	s_sub_i32 s14, s14, s16
	s_add_i32 s16, s12, 1
	s_sub_i32 s17, s14, s11
	s_cmp_ge_u32 s14, s11
	s_cselect_b32 s12, s16, s12
	s_cselect_b32 s14, s17, s14
	s_add_i32 s16, s12, 1
	s_cmp_ge_u32 s14, s11
	s_cselect_b32 s11, s16, s12
	s_delay_alu instid0(SALU_CYCLE_1) | instskip(NEXT) | instid1(SALU_CYCLE_1)
	s_xor_b32 s11, s11, s13
	s_sub_i32 s11, s11, s13
	s_delay_alu instid0(SALU_CYCLE_1) | instskip(NEXT) | instid1(SALU_CYCLE_1)
	s_mul_i32 s2, s11, s2
	s_sub_i32 s12, s4, s2
	s_delay_alu instid0(SALU_CYCLE_1)
	s_cmp_lt_u32 s15, s12
	s_cselect_b32 s2, -1, 0
	s_add_i32 s4, s11, 1
	s_cmp_ge_u32 s15, s12
	s_cbranch_scc0 .LBB63_5
; %bb.4:
	s_sub_i32 s13, s15, s12
	s_mul_i32 s12, s12, s4
	s_mul_i32 s13, s13, s11
	s_mov_b32 s19, 0
	s_add_i32 s34, s13, s12
.LBB63_5:
	s_and_not1_b32 vcc_lo, exec_lo, s19
	s_cbranch_vccnz .LBB63_7
; %bb.6:
	s_mul_i32 s34, s4, s15
.LBB63_7:
	v_cndmask_b32_e64 v1, 0, 1, s2
	s_delay_alu instid0(VALU_DEP_1) | instskip(NEXT) | instid1(VALU_DEP_1)
	v_readfirstlane_b32 s2, v1
	s_add_i32 s4, s11, s2
	s_delay_alu instid0(SALU_CYCLE_1)
	s_cmp_lt_i32 s4, 1
	s_cbranch_scc1 .LBB63_35
; %bb.8:
	s_load_b64 s[12:13], s[0:1], 0x20
	s_ashr_i32 s35, s34, 31
	v_and_b32_e32 v1, 31, v0
	s_lshl_b64 s[14:15], s[34:35], 2
	s_mov_b32 s33, -1
	v_and_b32_e32 v4, 7, v0
	s_mov_b32 s23, s33
	v_cmp_eq_u32_e32 vcc_lo, 31, v1
	v_lshlrev_b32_e32 v8, 4, v0
	v_lshlrev_b32_e32 v9, 5, v0
	v_lshl_or_b32 v11, v4, 2, 0x1000
	v_lshlrev_b32_e32 v13, 3, v0
	s_mov_b32 s42, s3
	s_waitcnt lgkmcnt(0)
	s_add_u32 s20, s12, s14
	s_addc_u32 s2, s13, s15
	s_abs_i32 s11, s6
	s_lshl_b32 s22, s4, 2
	v_cvt_f32_u32_e32 v3, s11
	s_and_b32 s21, s2, 0xffff
	s_load_b256 s[12:19], s[0:1], 0x0
	s_movk_i32 s0, 0x7c
	s_add_i32 s1, s3, 7
	v_rcp_iflag_f32_e32 v3, v3
	v_lshlrev_b32_e32 v14, 2, v1
	v_lshrrev_b32_e32 v1, 3, v0
	s_ashr_i32 s2, s1, 31
	s_lshl_b32 s26, s3, 1
	s_lshr_b32 s2, s2, 29
	s_lshl_b32 s30, s3, 2
	v_and_or_b32 v10, v1, s0, 0x1000
	s_add_i32 s1, s1, s2
	v_cmp_eq_u32_e64 s0, 0, v0
	s_waitcnt_depctr 0xfff
	v_mul_f32_e32 v1, 0x4f7ffffe, v3
	buffer_load_b32 v2, v14, s[20:23], 0 offen
	s_waitcnt vmcnt(0) expcnt(0) lgkmcnt(0)
	s_barrier
	buffer_gl0_inv
	v_cvt_u32_f32_e32 v1, v1
	s_add_i32 s23, s3, 3
	s_ashr_i32 s1, s1, 3
	s_ashr_i32 s2, s23, 31
	v_cmp_gt_u32_e64 s1, s1, v0
	v_readfirstlane_b32 s41, v1
	s_lshr_b32 s2, s2, 30
	s_ashr_i32 s40, s6, 31
	s_add_i32 s23, s23, s2
	s_sub_i32 s2, 0, s11
	s_and_b32 s38, s23, -4
	s_mul_i32 s23, s2, s41
	s_delay_alu instid0(SALU_CYCLE_1) | instskip(NEXT) | instid1(SALU_CYCLE_1)
	s_mul_hi_u32 s23, s41, s23
	s_add_i32 s41, s41, s23
	v_lshlrev_b32_e32 v2, 2, v2
	ds_load_b32 v12, v2
	s_waitcnt lgkmcnt(0)
	v_readlane_b32 s2, v12, 0
	s_delay_alu instid0(VALU_DEP_1)
	s_cmp_lt_i32 s2, 0
	s_cbranch_scc1 .LBB63_12
; %bb.9:
	s_abs_i32 s23, s34
	s_xor_b32 s27, s35, s40
	s_mul_hi_u32 s24, s23, s41
	s_mov_b32 s31, -1
	s_mul_i32 s25, s24, s11
	s_add_i32 s28, s24, 1
	s_sub_i32 s25, s23, s25
	s_delay_alu instid0(SALU_CYCLE_1)
	s_sub_i32 s29, s25, s11
	s_cmp_ge_u32 s25, s11
	s_cselect_b32 s24, s28, s24
	s_cselect_b32 s25, s29, s25
	s_add_i32 s28, s24, 1
	s_cmp_ge_u32 s25, s11
	s_cselect_b32 s24, s28, s24
	s_delay_alu instid0(SALU_CYCLE_1) | instskip(NEXT) | instid1(SALU_CYCLE_1)
	s_xor_b32 s24, s24, s27
	s_sub_i32 s24, s24, s27
	s_delay_alu instid0(SALU_CYCLE_1) | instskip(SKIP_2) | instid1(SALU_CYCLE_1)
	s_mul_i32 s25, s24, s6
	s_mul_i32 s24, s24, s7
	s_sub_i32 s25, s34, s25
	s_mul_i32 s25, s25, s8
	s_delay_alu instid0(SALU_CYCLE_1) | instskip(NEXT) | instid1(SALU_CYCLE_1)
	s_add_i32 s33, s25, s24
	s_cmp_eq_u32 s33, -1
	s_cbranch_scc1 .LBB63_13
; %bb.10:
	s_mul_hi_i32 s25, s33, s42
	s_mul_i32 s24, s33, s42
	s_mov_b32 s27, s31
	s_lshl_b64 s[24:25], s[24:25], 1
	s_delay_alu instid0(SALU_CYCLE_1) | instskip(SKIP_1) | instid1(SALU_CYCLE_1)
	s_add_u32 s24, s16, s24
	s_addc_u32 s25, s17, s25
	s_and_b32 s25, s25, 0xffff
	buffer_load_b128 v[0:3], v8, s[24:27], 0 offen
	s_waitcnt vmcnt(0)
	v_lshrrev_b32_e32 v4, 16, v0
	v_and_b32_e32 v0, 0xffff, v0
	v_lshrrev_b32_e32 v5, 16, v1
	v_and_b32_e32 v6, 0xffff, v1
	v_lshrrev_b32_e32 v7, 16, v2
	v_and_b32_e32 v15, 0xffff, v2
	v_lshrrev_b32_e32 v16, 16, v3
	v_and_b32_e32 v17, 0xffff, v3
	v_cvt_f32_u32_e32 v1, v4
	v_cvt_f32_u32_e32 v0, v0
	;; [unrolled: 1-line block ×8, first 2 shown]
	s_branch .LBB63_14
.LBB63_11:
                                        ; implicit-def: $sgpr4
	s_branch .LBB63_2
.LBB63_12:
                                        ; implicit-def: $vgpr0_vgpr1_vgpr2_vgpr3_vgpr4_vgpr5_vgpr6_vgpr7
	s_cmp_eq_u32 s4, 1
	s_mov_b32 s35, 1
	s_cbranch_scc0 .LBB63_21
	s_branch .LBB63_35
.LBB63_13:
                                        ; implicit-def: $vgpr0_vgpr1_vgpr2_vgpr3_vgpr4_vgpr5_vgpr6_vgpr7
.LBB63_14:
	s_mul_i32 s24, s2, s3
	s_delay_alu instid0(SALU_CYCLE_1) | instskip(NEXT) | instid1(SALU_CYCLE_1)
	s_ashr_i32 s25, s24, 31
	s_lshl_b64 s[24:25], s[24:25], 2
	s_delay_alu instid0(SALU_CYCLE_1) | instskip(SKIP_1) | instid1(SALU_CYCLE_1)
	s_add_u32 s28, s18, s24
	s_addc_u32 s2, s19, s25
	s_and_b32 s29, s2, 0xffff
	s_clause 0x1
	buffer_load_b128 v[15:18], v9, s[28:31], 0 offen
	buffer_load_b128 v[23:26], v9, s[28:31], 16 offen
	s_waitcnt vmcnt(1)
	v_dual_mul_f32 v21, v0, v15 :: v_dual_mul_f32 v22, v1, v16
	v_dual_mul_f32 v19, v2, v17 :: v_dual_mul_f32 v20, v3, v18
	s_waitcnt vmcnt(0)
	v_dual_mul_f32 v18, v4, v23 :: v_dual_mul_f32 v17, v5, v24
	s_delay_alu instid0(VALU_DEP_3) | instskip(SKIP_1) | instid1(VALU_DEP_2)
	v_max3_f32 v15, |v21|, 0x2edbe6ff, |v22|
	v_mul_f32_e32 v16, v7, v26
	v_max3_f32 v23, v15, |v19|, |v20|
	v_mul_f32_e32 v15, v6, v25
	s_delay_alu instid0(VALU_DEP_2) | instskip(NEXT) | instid1(VALU_DEP_1)
	v_max3_f32 v23, v23, |v18|, |v17|
	v_max3_f32 v23, v23, |v15|, |v16|
	s_delay_alu instid0(VALU_DEP_1) | instskip(NEXT) | instid1(VALU_DEP_1)
	v_mov_b32_dpp v24, v23 quad_perm:[1,0,3,2] row_mask:0xf bank_mask:0xf
	v_cmp_gt_f32_e64 s2, v23, v24
	s_delay_alu instid0(VALU_DEP_1) | instskip(NEXT) | instid1(VALU_DEP_1)
	v_cndmask_b32_e64 v23, v24, v23, s2
	v_mov_b32_dpp v24, v23 quad_perm:[2,3,0,1] row_mask:0xf bank_mask:0xf
	s_delay_alu instid0(VALU_DEP_1) | instskip(NEXT) | instid1(VALU_DEP_1)
	v_cmp_gt_f32_e64 s2, v23, v24
	v_cndmask_b32_e64 v23, v24, v23, s2
	s_delay_alu instid0(VALU_DEP_1) | instskip(NEXT) | instid1(VALU_DEP_1)
	v_mov_b32_dpp v24, v23 row_xmask:7 row_mask:0xf bank_mask:0xf
	v_cmp_gt_f32_e64 s2, v23, v24
	s_delay_alu instid0(VALU_DEP_1) | instskip(NEXT) | instid1(VALU_DEP_1)
	v_cndmask_b32_e64 v23, v24, v23, s2
	v_mov_b32_dpp v24, v23 row_xmask:15 row_mask:0xf bank_mask:0xf
	s_delay_alu instid0(VALU_DEP_1)
	v_cmp_gt_f32_e64 s2, v23, v24
	s_and_saveexec_b32 s24, vcc_lo
	s_cbranch_execz .LBB63_16
; %bb.15:
	s_delay_alu instid0(VALU_DEP_1)
	v_cndmask_b32_e64 v23, v24, v23, s2
	s_mov_b32 s2, 0x76543210
	s_delay_alu instid0(VALU_DEP_1) | instid1(SALU_CYCLE_1)
	v_permlanex16_b32 v24, v23, s2, 0xfedcba98 op_sel:[1,1]
	s_delay_alu instid0(VALU_DEP_1) | instskip(NEXT) | instid1(VALU_DEP_1)
	v_cmp_gt_f32_e64 s2, v23, v24
	v_cndmask_b32_e64 v23, v24, v23, s2
	ds_store_b32 v10, v23
.LBB63_16:
	s_or_b32 exec_lo, exec_lo, s24
	s_waitcnt lgkmcnt(0)
	s_barrier
	buffer_gl0_inv
	ds_load_b32 v24, v11
	s_abs_i32 s24, s5
	s_delay_alu instid0(SALU_CYCLE_1) | instskip(SKIP_1) | instid1(VALU_DEP_1)
	v_cvt_f32_u32_e32 v23, s24
	s_sub_i32 s27, 0, s24
	v_rcp_iflag_f32_e32 v23, v23
	s_waitcnt_depctr 0xfff
	v_mul_f32_e32 v23, 0x4f7ffffe, v23
	s_waitcnt lgkmcnt(0)
	v_mov_b32_dpp v25, v24 quad_perm:[1,0,3,2] row_mask:0xf bank_mask:0xf
	s_delay_alu instid0(VALU_DEP_2) | instskip(NEXT) | instid1(VALU_DEP_2)
	v_cvt_u32_f32_e32 v23, v23
	v_cmp_gt_f32_e64 s2, v24, v25
	s_delay_alu instid0(VALU_DEP_2) | instskip(NEXT) | instid1(VALU_DEP_2)
	v_readfirstlane_b32 s25, v23
	v_cndmask_b32_e64 v23, v25, v24, s2
	s_delay_alu instid0(VALU_DEP_2) | instskip(NEXT) | instid1(VALU_DEP_1)
	s_mul_i32 s27, s27, s25
	v_mov_b32_dpp v24, v23 quad_perm:[2,3,0,1] row_mask:0xf bank_mask:0xf
	s_mul_hi_u32 s2, s25, s27
	s_delay_alu instid0(SALU_CYCLE_1)
	s_add_i32 s25, s25, s2
	s_ashr_i32 s2, s5, 31
	s_mul_hi_u32 s25, s23, s25
	s_xor_b32 s27, s35, s2
	v_cmp_gt_f32_e64 s2, v23, v24
	s_mul_i32 s28, s25, s24
	s_delay_alu instid0(VALU_DEP_1)
	v_cndmask_b32_e64 v23, v24, v23, s2
	s_sub_i32 s2, s23, s28
	s_add_i32 s23, s25, 1
	s_sub_i32 s28, s2, s24
	s_cmp_ge_u32 s2, s24
	v_mov_b32_dpp v24, v23 row_xmask:7 row_mask:0xf bank_mask:0xf
	s_cselect_b32 s23, s23, s25
	s_cselect_b32 s2, s28, s2
	s_add_i32 s25, s23, 1
	s_cmp_ge_u32 s2, s24
	s_cselect_b32 s2, s25, s23
	s_delay_alu instid0(SALU_CYCLE_1) | instskip(SKIP_1) | instid1(VALU_DEP_1)
	s_xor_b32 s23, s2, s27
	v_cmp_gt_f32_e64 s2, v23, v24
	v_cndmask_b32_e64 v23, v24, v23, s2
	s_sub_i32 s2, s23, s27
	s_delay_alu instid0(SALU_CYCLE_1) | instskip(SKIP_4) | instid1(SALU_CYCLE_1)
	s_mul_i32 s23, s2, s5
	s_mul_i32 s2, s2, s9
	s_sub_i32 s23, s34, s23
	v_mul_f32_e32 v23, 0x3b124925, v23
	s_mul_i32 s23, s23, s10
	s_add_i32 s24, s23, s2
	s_and_saveexec_b32 s2, s0
	s_cbranch_execz .LBB63_18
; %bb.17:
	s_ashr_i32 s25, s24, 31
	v_mov_b32_e32 v24, 0
	s_lshl_b64 s[28:29], s[24:25], 2
	s_delay_alu instid0(SALU_CYCLE_1)
	s_add_u32 s28, s14, s28
	s_addc_u32 s29, s15, s29
	global_store_b32 v24, v23, s[28:29]
.LBB63_18:
	s_or_b32 exec_lo, exec_lo, s2
	s_and_saveexec_b32 s2, s1
	s_cbranch_execz .LBB63_20
; %bb.19:
	v_rcp_f32_e32 v23, v23
	v_mov_b32_e32 v24, 0xc3e00000
	v_mov_b32_e32 v25, 0x43e00000
	s_mul_i32 s23, s24, s42
	s_mul_hi_i32 s24, s24, s42
	s_add_u32 s36, s12, s23
	s_addc_u32 s23, s13, s24
	s_mov_b32 s39, -1
	s_and_b32 s37, s23, 0xffff
	s_waitcnt_depctr 0xfff
	v_mul_f32_e32 v22, v22, v23
	v_mul_f32_e32 v21, v21, v23
	;; [unrolled: 1-line block ×4, first 2 shown]
	;;#ASMSTART
	v_med3_f32 v21, v21, v24, v25
v_med3_f32 v22, v22, v24, v25
v_cvt_pk_fp8_f32 v26, v21, v22
	;;#ASMEND
	;;#ASMSTART
	v_med3_f32 v19, v19, v24, v25
v_med3_f32 v20, v20, v24, v25
v_cvt_pk_fp8_f32 v21, v19, v20
	;;#ASMEND
	v_perm_b32 v19, v21, v26, 0x5040100
	v_dual_mul_f32 v18, v18, v23 :: v_dual_and_b32 v21, 0xffffff00, v21
	v_mul_f32_e32 v17, v17, v23
	v_mul_f32_e32 v15, v15, v23
	s_delay_alu instid0(VALU_DEP_4) | instskip(NEXT) | instid1(VALU_DEP_1)
	v_lshrrev_b32_e32 v20, 16, v19
	v_and_b32_e32 v20, 0xff, v20
	s_delay_alu instid0(VALU_DEP_1)
	v_or_b32_e32 v20, v20, v21
	v_mul_f32_e32 v16, v16, v23
	;;#ASMSTART
	v_med3_f32 v18, v18, v24, v25
v_med3_f32 v17, v17, v24, v25
v_cvt_pk_fp8_f32 v21, v18, v17
	;;#ASMEND
	;;#ASMSTART
	v_med3_f32 v15, v15, v24, v25
v_med3_f32 v16, v16, v24, v25
v_cvt_pk_fp8_f32 v17, v15, v16
	;;#ASMEND
	v_lshlrev_b32_e32 v15, 16, v17
	v_lshlrev_b32_e32 v17, 16, v20
	s_delay_alu instid0(VALU_DEP_2) | instskip(NEXT) | instid1(VALU_DEP_2)
	v_and_or_b32 v16, 0xffff, v21, v15
	v_and_or_b32 v15, 0xffff, v19, v17
	buffer_store_b64 v[15:16], v13, s[36:39], 0 offen
	;;#ASMSTART
	s_nop 0
	;;#ASMEND
.LBB63_20:
	s_or_b32 exec_lo, exec_lo, s2
	s_cmp_eq_u32 s4, 1
	s_mov_b32 s35, 1
	s_cbranch_scc1 .LBB63_35
.LBB63_21:
	s_abs_i32 s43, s5
	v_mov_b32_e32 v17, 0x43e00000
	v_cvt_f32_u32_e32 v15, s43
	s_sub_i32 s23, 0, s43
	s_ashr_i32 s44, s5, 31
	s_mov_b32 s31, -1
	s_mov_b32 s46, 0x76543210
	v_rcp_iflag_f32_e32 v15, v15
	v_add_nc_u32_e32 v14, 4, v14
	v_mov_b32_e32 v16, 0xc3e00000
	s_waitcnt_depctr 0xfff
	v_mul_f32_e32 v15, 0x4f7ffffe, v15
	s_delay_alu instid0(VALU_DEP_1) | instskip(NEXT) | instid1(VALU_DEP_1)
	v_cvt_u32_f32_e32 v15, v15
	v_readfirstlane_b32 s2, v15
	v_mov_b32_e32 v15, 0
	s_delay_alu instid0(VALU_DEP_2) | instskip(NEXT) | instid1(SALU_CYCLE_1)
	s_mul_i32 s23, s23, s2
	s_mul_hi_u32 s23, s2, s23
	s_delay_alu instid0(SALU_CYCLE_1)
	s_add_i32 s45, s2, s23
	s_branch .LBB63_24
.LBB63_22:                              ;   in Loop: Header=BB63_24 Depth=1
	s_or_b32 exec_lo, exec_lo, s2
.LBB63_23:                              ;   in Loop: Header=BB63_24 Depth=1
	v_add_nc_u32_e32 v14, 4, v14
	s_add_i32 s35, s35, 1
	s_delay_alu instid0(SALU_CYCLE_1)
	s_cmp_eq_u32 s4, s35
	s_cbranch_scc1 .LBB63_35
.LBB63_24:                              ; =>This Inner Loop Header: Depth=1
	s_and_b32 s2, s35, 31
	s_delay_alu instid0(SALU_CYCLE_1)
	s_cmp_lg_u32 s2, 0
	s_cbranch_scc1 .LBB63_26
; %bb.25:                               ;   in Loop: Header=BB63_24 Depth=1
	s_mov_b32 s23, s31
	buffer_load_b32 v12, v14, s[20:23], 0 offen
	s_waitcnt vmcnt(0) expcnt(0) lgkmcnt(55)
	v_lshlrev_b32_e32 v12, 2, v12
	ds_load_b32 v12, v12
.LBB63_26:                              ;   in Loop: Header=BB63_24 Depth=1
	s_waitcnt lgkmcnt(0)
	v_readlane_b32 s2, v12, s2
	s_delay_alu instid0(VALU_DEP_1)
	s_cmp_lt_i32 s2, 0
	s_cbranch_scc1 .LBB63_23
; %bb.27:                               ;   in Loop: Header=BB63_24 Depth=1
	s_add_i32 s23, s34, s35
	s_delay_alu instid0(SALU_CYCLE_1)
	s_abs_i32 s36, s23
	s_ashr_i32 s37, s23, 31
	s_mul_hi_u32 s24, s36, s41
	s_xor_b32 s27, s37, s40
	s_mul_i32 s25, s24, s11
	s_add_i32 s28, s24, 1
	s_sub_i32 s25, s36, s25
	s_delay_alu instid0(SALU_CYCLE_1)
	s_sub_i32 s29, s25, s11
	s_cmp_ge_u32 s25, s11
	s_cselect_b32 s24, s28, s24
	s_cselect_b32 s25, s29, s25
	s_add_i32 s28, s24, 1
	s_cmp_ge_u32 s25, s11
	s_cselect_b32 s24, s28, s24
	s_delay_alu instid0(SALU_CYCLE_1) | instskip(NEXT) | instid1(SALU_CYCLE_1)
	s_xor_b32 s24, s24, s27
	s_sub_i32 s24, s24, s27
	s_delay_alu instid0(SALU_CYCLE_1) | instskip(SKIP_2) | instid1(SALU_CYCLE_1)
	s_mul_i32 s25, s24, s6
	s_mul_i32 s24, s24, s7
	s_sub_i32 s25, s23, s25
	s_mul_i32 s28, s25, s8
	s_delay_alu instid0(SALU_CYCLE_1) | instskip(NEXT) | instid1(SALU_CYCLE_1)
	s_add_i32 s28, s28, s24
	s_cmp_eq_u32 s28, s33
	s_cbranch_scc1 .LBB63_29
; %bb.28:                               ;   in Loop: Header=BB63_24 Depth=1
	s_mul_hi_i32 s25, s28, s42
	s_mul_i32 s24, s28, s42
	s_mov_b32 s27, s31
	s_lshl_b64 s[24:25], s[24:25], 1
	s_mov_b32 s33, s28
	s_add_u32 s24, s16, s24
	s_addc_u32 s25, s17, s25
	s_delay_alu instid0(SALU_CYCLE_1)
	s_and_b32 s25, s25, 0xffff
	buffer_load_b128 v[0:3], v8, s[24:27], 0 offen
	s_waitcnt vmcnt(0)
	v_lshrrev_b32_e32 v4, 16, v0
	v_and_b32_e32 v0, 0xffff, v0
	v_lshrrev_b32_e32 v5, 16, v1
	v_and_b32_e32 v6, 0xffff, v1
	;; [unrolled: 2-line block ×4, first 2 shown]
	v_cvt_f32_u32_e32 v1, v4
	v_cvt_f32_u32_e32 v0, v0
	;; [unrolled: 1-line block ×8, first 2 shown]
.LBB63_29:                              ;   in Loop: Header=BB63_24 Depth=1
	s_mul_i32 s24, s2, s3
	s_delay_alu instid0(SALU_CYCLE_1) | instskip(NEXT) | instid1(SALU_CYCLE_1)
	s_ashr_i32 s25, s24, 31
	s_lshl_b64 s[24:25], s[24:25], 2
	s_delay_alu instid0(SALU_CYCLE_1) | instskip(SKIP_1) | instid1(SALU_CYCLE_1)
	s_add_u32 s28, s18, s24
	s_addc_u32 s2, s19, s25
	s_and_b32 s29, s2, 0xffff
	s_clause 0x1
	buffer_load_b128 v[18:21], v9, s[28:31], 0 offen
	buffer_load_b128 v[26:29], v9, s[28:31], 16 offen
	s_waitcnt vmcnt(1)
	v_dual_mul_f32 v24, v0, v18 :: v_dual_mul_f32 v25, v1, v19
	v_dual_mul_f32 v22, v2, v20 :: v_dual_mul_f32 v23, v3, v21
	s_waitcnt vmcnt(0)
	v_dual_mul_f32 v21, v4, v26 :: v_dual_mul_f32 v20, v5, v27
	s_delay_alu instid0(VALU_DEP_3) | instskip(SKIP_1) | instid1(VALU_DEP_2)
	v_max3_f32 v18, |v24|, 0x2edbe6ff, |v25|
	v_mul_f32_e32 v19, v7, v29
	v_max3_f32 v26, v18, |v22|, |v23|
	v_mul_f32_e32 v18, v6, v28
	s_delay_alu instid0(VALU_DEP_2) | instskip(NEXT) | instid1(VALU_DEP_1)
	v_max3_f32 v26, v26, |v21|, |v20|
	v_max3_f32 v26, v26, |v18|, |v19|
	s_delay_alu instid0(VALU_DEP_1) | instskip(NEXT) | instid1(VALU_DEP_1)
	v_mov_b32_dpp v27, v26 quad_perm:[1,0,3,2] row_mask:0xf bank_mask:0xf
	v_cmp_gt_f32_e64 s2, v26, v27
	s_delay_alu instid0(VALU_DEP_1) | instskip(NEXT) | instid1(VALU_DEP_1)
	v_cndmask_b32_e64 v26, v27, v26, s2
	v_mov_b32_dpp v27, v26 quad_perm:[2,3,0,1] row_mask:0xf bank_mask:0xf
	s_delay_alu instid0(VALU_DEP_1) | instskip(NEXT) | instid1(VALU_DEP_1)
	v_cmp_gt_f32_e64 s2, v26, v27
	v_cndmask_b32_e64 v26, v27, v26, s2
	s_delay_alu instid0(VALU_DEP_1) | instskip(NEXT) | instid1(VALU_DEP_1)
	v_mov_b32_dpp v27, v26 row_xmask:7 row_mask:0xf bank_mask:0xf
	v_cmp_gt_f32_e64 s2, v26, v27
	s_delay_alu instid0(VALU_DEP_1) | instskip(NEXT) | instid1(VALU_DEP_1)
	v_cndmask_b32_e64 v26, v27, v26, s2
	v_mov_b32_dpp v27, v26 row_xmask:15 row_mask:0xf bank_mask:0xf
	s_delay_alu instid0(VALU_DEP_1)
	v_cmp_gt_f32_e64 s2, v26, v27
	s_and_saveexec_b32 s24, vcc_lo
	s_cbranch_execz .LBB63_31
; %bb.30:                               ;   in Loop: Header=BB63_24 Depth=1
	s_delay_alu instid0(VALU_DEP_1) | instskip(NEXT) | instid1(VALU_DEP_1)
	v_cndmask_b32_e64 v26, v27, v26, s2
	v_permlanex16_b32 v27, v26, s46, 0xfedcba98 op_sel:[1,1]
	s_delay_alu instid0(VALU_DEP_1) | instskip(NEXT) | instid1(VALU_DEP_1)
	v_cmp_gt_f32_e64 s2, v26, v27
	v_cndmask_b32_e64 v26, v27, v26, s2
	ds_store_b32 v10, v26
.LBB63_31:                              ;   in Loop: Header=BB63_24 Depth=1
	s_or_b32 exec_lo, exec_lo, s24
	s_waitcnt lgkmcnt(0)
	s_waitcnt_vscnt null, 0x0
	s_barrier
	buffer_gl0_inv
	ds_load_b32 v26, v11
	s_mul_hi_u32 s24, s36, s45
	s_xor_b32 s27, s37, s44
	s_mul_i32 s25, s24, s43
	s_waitcnt lgkmcnt(0)
	v_mov_b32_dpp v27, v26 quad_perm:[1,0,3,2] row_mask:0xf bank_mask:0xf
	s_delay_alu instid0(VALU_DEP_1) | instskip(NEXT) | instid1(VALU_DEP_1)
	v_cmp_gt_f32_e64 s2, v26, v27
	v_cndmask_b32_e64 v26, v27, v26, s2
	s_sub_i32 s2, s36, s25
	s_add_i32 s25, s24, 1
	s_sub_i32 s28, s2, s43
	s_cmp_ge_u32 s2, s43
	v_mov_b32_dpp v27, v26 quad_perm:[2,3,0,1] row_mask:0xf bank_mask:0xf
	s_cselect_b32 s24, s25, s24
	s_cselect_b32 s25, s28, s2
	s_delay_alu instid0(VALU_DEP_1) | instskip(NEXT) | instid1(VALU_DEP_1)
	v_cmp_gt_f32_e64 s2, v26, v27
	v_cndmask_b32_e64 v26, v27, v26, s2
	s_add_i32 s2, s24, 1
	s_cmp_ge_u32 s25, s43
	s_cselect_b32 s2, s2, s24
	s_delay_alu instid0(VALU_DEP_1) | instskip(SKIP_1) | instid1(SALU_CYCLE_1)
	v_mov_b32_dpp v27, v26 row_xmask:7 row_mask:0xf bank_mask:0xf
	s_xor_b32 s2, s2, s27
	s_sub_i32 s24, s2, s27
	s_delay_alu instid0(VALU_DEP_1) | instskip(NEXT) | instid1(VALU_DEP_1)
	v_cmp_gt_f32_e64 s2, v26, v27
	v_cndmask_b32_e64 v26, v27, v26, s2
	s_mul_i32 s2, s24, s5
	s_mul_i32 s24, s24, s9
	s_sub_i32 s2, s23, s2
	s_delay_alu instid0(VALU_DEP_1) | instskip(SKIP_1) | instid1(SALU_CYCLE_1)
	v_mul_f32_e32 v26, 0x3b124925, v26
	s_mul_i32 s2, s2, s10
	s_add_i32 s24, s2, s24
	s_and_saveexec_b32 s2, s0
	s_cbranch_execz .LBB63_33
; %bb.32:                               ;   in Loop: Header=BB63_24 Depth=1
	s_ashr_i32 s25, s24, 31
	s_delay_alu instid0(SALU_CYCLE_1) | instskip(NEXT) | instid1(SALU_CYCLE_1)
	s_lshl_b64 s[28:29], s[24:25], 2
	s_add_u32 s28, s14, s28
	s_addc_u32 s29, s15, s29
	global_store_b32 v15, v26, s[28:29]
.LBB63_33:                              ;   in Loop: Header=BB63_24 Depth=1
	s_or_b32 exec_lo, exec_lo, s2
	s_and_saveexec_b32 s2, s1
	s_cbranch_execz .LBB63_22
; %bb.34:                               ;   in Loop: Header=BB63_24 Depth=1
	v_rcp_f32_e32 v26, v26
	s_mul_i32 s23, s24, s42
	s_mul_hi_i32 s24, s24, s42
	s_add_u32 s36, s12, s23
	s_addc_u32 s23, s13, s24
	s_mov_b32 s39, s31
	s_and_b32 s37, s23, 0xffff
	s_waitcnt_depctr 0xfff
	v_mul_f32_e32 v24, v24, v26
	v_mul_f32_e32 v25, v25, v26
	v_mul_f32_e32 v22, v22, v26
	v_mul_f32_e32 v23, v23, v26
	;;#ASMSTART
	v_med3_f32 v24, v24, v16, v17
v_med3_f32 v25, v25, v16, v17
v_cvt_pk_fp8_f32 v27, v24, v25
	;;#ASMEND
	;;#ASMSTART
	v_med3_f32 v22, v22, v16, v17
v_med3_f32 v23, v23, v16, v17
v_cvt_pk_fp8_f32 v24, v22, v23
	;;#ASMEND
	v_perm_b32 v22, v24, v27, 0x5040100
	v_and_b32_e32 v24, 0xffffff00, v24
	v_mul_f32_e32 v20, v20, v26
	v_mul_f32_e32 v18, v18, v26
	;; [unrolled: 1-line block ×3, first 2 shown]
	v_lshrrev_b32_e32 v23, 16, v22
	s_delay_alu instid0(VALU_DEP_1) | instskip(NEXT) | instid1(VALU_DEP_1)
	v_and_b32_e32 v23, 0xff, v23
	v_or_b32_e32 v23, v23, v24
	v_mul_f32_e32 v21, v21, v26
	;;#ASMSTART
	v_med3_f32 v21, v21, v16, v17
v_med3_f32 v20, v20, v16, v17
v_cvt_pk_fp8_f32 v24, v21, v20
	;;#ASMEND
	;;#ASMSTART
	v_med3_f32 v18, v18, v16, v17
v_med3_f32 v19, v19, v16, v17
v_cvt_pk_fp8_f32 v20, v18, v19
	;;#ASMEND
	v_lshlrev_b32_e32 v18, 16, v20
	v_lshlrev_b32_e32 v20, 16, v23
	s_delay_alu instid0(VALU_DEP_2) | instskip(NEXT) | instid1(VALU_DEP_2)
	v_and_or_b32 v19, 0xffff, v24, v18
	v_and_or_b32 v18, 0xffff, v22, v20
	buffer_store_b64 v[18:19], v13, s[36:39], 0 offen
	;;#ASMSTART
	s_nop 0
	;;#ASMEND
	s_branch .LBB63_22
.LBB63_35:
	s_nop 0
	s_sendmsg sendmsg(MSG_DEALLOC_VGPRS)
	s_endpgm
	.section	.rodata,"a",@progbits
	.p2align	6, 0x0
	.amdhsa_kernel _ZN5aiter36smooth_per_token_scaled_quant_kernelItDB8_Li256ELi8ELb1ELb1ELb1ELi1024EEEvPT0_PfPT_S4_PiS7_iiPKiiiiiiiii
		.amdhsa_group_segment_fixed_size 4128
		.amdhsa_private_segment_fixed_size 0
		.amdhsa_kernarg_size 96
		.amdhsa_user_sgpr_count 15
		.amdhsa_user_sgpr_dispatch_ptr 0
		.amdhsa_user_sgpr_queue_ptr 0
		.amdhsa_user_sgpr_kernarg_segment_ptr 1
		.amdhsa_user_sgpr_dispatch_id 0
		.amdhsa_user_sgpr_private_segment_size 0
		.amdhsa_wavefront_size32 1
		.amdhsa_uses_dynamic_stack 0
		.amdhsa_enable_private_segment 0
		.amdhsa_system_sgpr_workgroup_id_x 1
		.amdhsa_system_sgpr_workgroup_id_y 0
		.amdhsa_system_sgpr_workgroup_id_z 0
		.amdhsa_system_sgpr_workgroup_info 0
		.amdhsa_system_vgpr_workitem_id 0
		.amdhsa_next_free_vgpr 30
		.amdhsa_next_free_sgpr 47
		.amdhsa_reserve_vcc 1
		.amdhsa_float_round_mode_32 0
		.amdhsa_float_round_mode_16_64 0
		.amdhsa_float_denorm_mode_32 3
		.amdhsa_float_denorm_mode_16_64 3
		.amdhsa_dx10_clamp 1
		.amdhsa_ieee_mode 1
		.amdhsa_fp16_overflow 0
		.amdhsa_workgroup_processor_mode 1
		.amdhsa_memory_ordered 1
		.amdhsa_forward_progress 0
		.amdhsa_shared_vgpr_count 0
		.amdhsa_exception_fp_ieee_invalid_op 0
		.amdhsa_exception_fp_denorm_src 0
		.amdhsa_exception_fp_ieee_div_zero 0
		.amdhsa_exception_fp_ieee_overflow 0
		.amdhsa_exception_fp_ieee_underflow 0
		.amdhsa_exception_fp_ieee_inexact 0
		.amdhsa_exception_int_div_zero 0
	.end_amdhsa_kernel
	.section	.text._ZN5aiter36smooth_per_token_scaled_quant_kernelItDB8_Li256ELi8ELb1ELb1ELb1ELi1024EEEvPT0_PfPT_S4_PiS7_iiPKiiiiiiiii,"axG",@progbits,_ZN5aiter36smooth_per_token_scaled_quant_kernelItDB8_Li256ELi8ELb1ELb1ELb1ELi1024EEEvPT0_PfPT_S4_PiS7_iiPKiiiiiiiii,comdat
.Lfunc_end63:
	.size	_ZN5aiter36smooth_per_token_scaled_quant_kernelItDB8_Li256ELi8ELb1ELb1ELb1ELi1024EEEvPT0_PfPT_S4_PiS7_iiPKiiiiiiiii, .Lfunc_end63-_ZN5aiter36smooth_per_token_scaled_quant_kernelItDB8_Li256ELi8ELb1ELb1ELb1ELi1024EEEvPT0_PfPT_S4_PiS7_iiPKiiiiiiiii
                                        ; -- End function
	.section	.AMDGPU.csdata,"",@progbits
; Kernel info:
; codeLenInByte = 3488
; NumSgprs: 49
; NumVgprs: 30
; ScratchSize: 0
; MemoryBound: 0
; FloatMode: 240
; IeeeMode: 1
; LDSByteSize: 4128 bytes/workgroup (compile time only)
; SGPRBlocks: 6
; VGPRBlocks: 3
; NumSGPRsForWavesPerEU: 49
; NumVGPRsForWavesPerEU: 30
; Occupancy: 16
; WaveLimiterHint : 0
; COMPUTE_PGM_RSRC2:SCRATCH_EN: 0
; COMPUTE_PGM_RSRC2:USER_SGPR: 15
; COMPUTE_PGM_RSRC2:TRAP_HANDLER: 0
; COMPUTE_PGM_RSRC2:TGID_X_EN: 1
; COMPUTE_PGM_RSRC2:TGID_Y_EN: 0
; COMPUTE_PGM_RSRC2:TGID_Z_EN: 0
; COMPUTE_PGM_RSRC2:TIDIG_COMP_CNT: 0
	.section	.text._ZN5aiter36smooth_per_token_scaled_quant_kernelIDF16_DB8_Li256ELi8ELb1ELb1ELb0ELi1024EEEvPT0_PfPT_S4_PiS7_iiPKiiiiiiiii,"axG",@progbits,_ZN5aiter36smooth_per_token_scaled_quant_kernelIDF16_DB8_Li256ELi8ELb1ELb1ELb0ELi1024EEEvPT0_PfPT_S4_PiS7_iiPKiiiiiiiii,comdat
	.protected	_ZN5aiter36smooth_per_token_scaled_quant_kernelIDF16_DB8_Li256ELi8ELb1ELb1ELb0ELi1024EEEvPT0_PfPT_S4_PiS7_iiPKiiiiiiiii ; -- Begin function _ZN5aiter36smooth_per_token_scaled_quant_kernelIDF16_DB8_Li256ELi8ELb1ELb1ELb0ELi1024EEEvPT0_PfPT_S4_PiS7_iiPKiiiiiiiii
	.globl	_ZN5aiter36smooth_per_token_scaled_quant_kernelIDF16_DB8_Li256ELi8ELb1ELb1ELb0ELi1024EEEvPT0_PfPT_S4_PiS7_iiPKiiiiiiiii
	.p2align	8
	.type	_ZN5aiter36smooth_per_token_scaled_quant_kernelIDF16_DB8_Li256ELi8ELb1ELb1ELb0ELi1024EEEvPT0_PfPT_S4_PiS7_iiPKiiiiiiiii,@function
_ZN5aiter36smooth_per_token_scaled_quant_kernelIDF16_DB8_Li256ELi8ELb1ELb1ELb0ELi1024EEEvPT0_PfPT_S4_PiS7_iiPKiiiiiiiii: ; @_ZN5aiter36smooth_per_token_scaled_quant_kernelIDF16_DB8_Li256ELi8ELb1ELb1ELb0ELi1024EEEvPT0_PfPT_S4_PiS7_iiPKiiiiiiiii
; %bb.0:
	s_clause 0x1
	s_load_b64 s[2:3], s[0:1], 0x38
	s_load_b256 s[4:11], s[0:1], 0x40
	s_waitcnt lgkmcnt(0)
	s_cmp_lg_u64 s[2:3], 0
	s_cbranch_scc0 .LBB64_11
; %bb.1:
	s_load_b32 s2, s[2:3], 0x0
	s_waitcnt lgkmcnt(0)
	s_mul_i32 s4, s2, s4
	s_cbranch_execnz .LBB64_3
.LBB64_2:
	s_mul_i32 s4, s6, s5
.LBB64_3:
	s_load_b64 s[2:3], s[0:1], 0x30
	s_abs_i32 s14, s4
	s_waitcnt lgkmcnt(0)
	s_abs_i32 s11, s2
	s_delay_alu instid0(SALU_CYCLE_1) | instskip(SKIP_1) | instid1(VALU_DEP_1)
	v_cvt_f32_u32_e32 v1, s11
	s_sub_i32 s13, 0, s11
	v_rcp_iflag_f32_e32 v1, v1
	s_waitcnt_depctr 0xfff
	v_mul_f32_e32 v1, 0x4f7ffffe, v1
	s_delay_alu instid0(VALU_DEP_1) | instskip(NEXT) | instid1(VALU_DEP_1)
	v_cvt_u32_f32_e32 v1, v1
	v_readfirstlane_b32 s12, v1
	s_delay_alu instid0(VALU_DEP_1) | instskip(NEXT) | instid1(SALU_CYCLE_1)
	s_mul_i32 s13, s13, s12
	s_mul_hi_u32 s13, s12, s13
	s_delay_alu instid0(SALU_CYCLE_1) | instskip(SKIP_4) | instid1(SALU_CYCLE_1)
	s_add_i32 s12, s12, s13
	s_xor_b32 s13, s4, s2
	s_mul_hi_u32 s12, s14, s12
	s_ashr_i32 s13, s13, 31
	s_mul_i32 s16, s12, s11
	s_sub_i32 s14, s14, s16
	s_add_i32 s16, s12, 1
	s_sub_i32 s17, s14, s11
	s_cmp_ge_u32 s14, s11
	s_cselect_b32 s12, s16, s12
	s_cselect_b32 s14, s17, s14
	s_add_i32 s16, s12, 1
	s_cmp_ge_u32 s14, s11
	s_cselect_b32 s11, s16, s12
	s_mov_b32 s12, 0
	s_xor_b32 s11, s11, s13
	s_delay_alu instid0(SALU_CYCLE_1) | instskip(NEXT) | instid1(SALU_CYCLE_1)
	s_sub_i32 s11, s11, s13
	s_mul_i32 s2, s11, s2
	s_delay_alu instid0(SALU_CYCLE_1) | instskip(NEXT) | instid1(SALU_CYCLE_1)
	s_sub_i32 s13, s4, s2
	s_cmp_lt_u32 s15, s13
	s_cselect_b32 s2, -1, 0
	s_add_i32 s4, s11, 1
	s_cmp_ge_u32 s15, s13
	s_cbranch_scc0 .LBB64_5
; %bb.4:
	s_sub_i32 s14, s15, s13
	s_mul_i32 s13, s13, s4
	s_mul_i32 s14, s14, s11
	s_delay_alu instid0(SALU_CYCLE_1)
	s_add_i32 s34, s14, s13
	s_and_not1_b32 vcc_lo, exec_lo, s12
	s_cbranch_vccz .LBB64_6
	s_branch .LBB64_7
.LBB64_5:
                                        ; implicit-def: $sgpr34
.LBB64_6:
	s_mul_i32 s34, s4, s15
.LBB64_7:
	v_cndmask_b32_e64 v1, 0, 1, s2
	s_delay_alu instid0(VALU_DEP_1) | instskip(NEXT) | instid1(VALU_DEP_1)
	v_readfirstlane_b32 s2, v1
	s_add_i32 s4, s11, s2
	s_delay_alu instid0(SALU_CYCLE_1)
	s_cmp_lt_i32 s4, 1
	s_cbranch_scc1 .LBB64_35
; %bb.8:
	s_load_b64 s[12:13], s[0:1], 0x20
	s_ashr_i32 s35, s34, 31
	v_and_b32_e32 v1, 31, v0
	s_lshl_b64 s[14:15], s[34:35], 2
	s_mov_b32 s40, -1
	v_lshrrev_b32_e32 v3, 3, v0
	s_mov_b32 s23, s40
	v_cmp_eq_u32_e32 vcc_lo, 31, v1
	v_and_b32_e32 v4, 7, v0
	v_lshlrev_b32_e32 v9, 4, v0
	v_lshlrev_b32_e32 v10, 5, v0
	v_and_b32_e32 v11, 0x7c, v3
	v_lshlrev_b32_e32 v13, 3, v0
	v_lshlrev_b32_e32 v12, 2, v4
	s_mov_b32 s33, s3
	s_waitcnt lgkmcnt(0)
	s_add_u32 s20, s12, s14
	s_addc_u32 s2, s13, s15
	s_abs_i32 s11, s6
	s_lshl_b32 s22, s4, 2
	v_cvt_f32_u32_e32 v2, s11
	s_and_b32 s21, s2, 0xffff
	s_load_b256 s[12:19], s[0:1], 0x0
	s_add_i32 s1, s3, 7
	v_cmp_eq_u32_e64 s0, 0, v0
	v_rcp_iflag_f32_e32 v2, v2
	v_lshlrev_b32_e32 v14, 2, v1
	s_ashr_i32 s2, s1, 31
	s_lshl_b32 s26, s3, 1
	s_lshr_b32 s2, s2, 29
	s_lshl_b32 s30, s3, 2
	s_add_i32 s1, s1, s2
	s_ashr_i32 s41, s6, 31
	s_ashr_i32 s1, s1, 3
	s_waitcnt_depctr 0xfff
	v_mul_f32_e32 v1, 0x4f7ffffe, v2
	buffer_load_b32 v8, v14, s[20:23], 0 offen
	s_add_i32 s23, s3, 3
	v_cmp_gt_u32_e64 s1, s1, v0
	s_ashr_i32 s2, s23, 31
	v_cvt_u32_f32_e32 v1, v1
	s_lshr_b32 s2, s2, 30
	s_waitcnt vmcnt(3) expcnt(0) lgkmcnt(55)
	s_add_i32 s23, s23, s2
	s_sub_i32 s2, 0, s11
	v_readfirstlane_b32 s42, v1
	s_and_b32 s38, s23, -4
	s_waitcnt vmcnt(0) lgkmcnt(0)
	s_barrier
	buffer_gl0_inv
	s_mul_i32 s23, s2, s42
	s_delay_alu instid0(SALU_CYCLE_1) | instskip(NEXT) | instid1(SALU_CYCLE_1)
	s_mul_hi_u32 s23, s42, s23
	s_add_i32 s42, s42, s23
	v_readlane_b32 s2, v8, 0
	s_delay_alu instid0(VALU_DEP_1)
	s_cmp_lt_i32 s2, 0
	s_cbranch_scc1 .LBB64_12
; %bb.9:
	s_abs_i32 s23, s34
	s_xor_b32 s27, s35, s41
	s_mul_hi_u32 s24, s23, s42
	s_mov_b32 s31, -1
	s_mul_i32 s25, s24, s11
	s_add_i32 s28, s24, 1
	s_sub_i32 s25, s23, s25
	s_delay_alu instid0(SALU_CYCLE_1)
	s_sub_i32 s29, s25, s11
	s_cmp_ge_u32 s25, s11
	s_cselect_b32 s24, s28, s24
	s_cselect_b32 s25, s29, s25
	s_add_i32 s28, s24, 1
	s_cmp_ge_u32 s25, s11
	s_cselect_b32 s24, s28, s24
	s_delay_alu instid0(SALU_CYCLE_1) | instskip(NEXT) | instid1(SALU_CYCLE_1)
	s_xor_b32 s24, s24, s27
	s_sub_i32 s24, s24, s27
	s_delay_alu instid0(SALU_CYCLE_1) | instskip(SKIP_2) | instid1(SALU_CYCLE_1)
	s_mul_i32 s25, s24, s6
	s_mul_i32 s24, s24, s7
	s_sub_i32 s25, s34, s25
	s_mul_i32 s25, s25, s8
	s_delay_alu instid0(SALU_CYCLE_1) | instskip(NEXT) | instid1(SALU_CYCLE_1)
	s_add_i32 s40, s25, s24
	s_cmp_eq_u32 s40, -1
	s_cbranch_scc1 .LBB64_13
; %bb.10:
	s_mul_hi_i32 s25, s40, s33
	s_mul_i32 s24, s40, s33
	s_mov_b32 s27, s31
	s_lshl_b64 s[24:25], s[24:25], 1
	s_delay_alu instid0(SALU_CYCLE_1) | instskip(SKIP_1) | instid1(SALU_CYCLE_1)
	s_add_u32 s24, s16, s24
	s_addc_u32 s25, s17, s25
	s_and_b32 s25, s25, 0xffff
	buffer_load_b128 v[3:6], v9, s[24:27], 0 offen
	s_waitcnt vmcnt(0)
	v_cvt_f32_f16_e32 v0, v3
	v_lshrrev_b32_e32 v1, 16, v3
	v_cvt_f32_f16_e32 v2, v4
	v_lshrrev_b32_e32 v3, 16, v4
	;; [unrolled: 2-line block ×3, first 2 shown]
	v_lshrrev_b32_e32 v7, 16, v6
	v_cvt_f32_f16_e32 v6, v6
	v_cvt_f32_f16_e32 v1, v1
	;; [unrolled: 1-line block ×5, first 2 shown]
	s_branch .LBB64_14
.LBB64_11:
                                        ; implicit-def: $sgpr4
	s_branch .LBB64_2
.LBB64_12:
                                        ; implicit-def: $vgpr0_vgpr1_vgpr2_vgpr3_vgpr4_vgpr5_vgpr6_vgpr7
	s_cmp_eq_u32 s4, 1
	s_mov_b32 s35, 1
	s_cbranch_scc0 .LBB64_21
	s_branch .LBB64_35
.LBB64_13:
                                        ; implicit-def: $vgpr0_vgpr1_vgpr2_vgpr3_vgpr4_vgpr5_vgpr6_vgpr7
.LBB64_14:
	s_mul_i32 s24, s2, s3
	s_delay_alu instid0(SALU_CYCLE_1) | instskip(NEXT) | instid1(SALU_CYCLE_1)
	s_ashr_i32 s25, s24, 31
	s_lshl_b64 s[24:25], s[24:25], 2
	s_delay_alu instid0(SALU_CYCLE_1) | instskip(SKIP_1) | instid1(SALU_CYCLE_1)
	s_add_u32 s28, s18, s24
	s_addc_u32 s2, s19, s25
	s_and_b32 s29, s2, 0xffff
	s_clause 0x1
	buffer_load_b128 v[15:18], v10, s[28:31], 0 offen
	buffer_load_b128 v[23:26], v10, s[28:31], 16 offen
	s_waitcnt vmcnt(1)
	v_dual_mul_f32 v21, v0, v15 :: v_dual_mul_f32 v22, v1, v16
	v_dual_mul_f32 v19, v2, v17 :: v_dual_mul_f32 v20, v3, v18
	s_waitcnt vmcnt(0)
	v_dual_mul_f32 v18, v4, v23 :: v_dual_mul_f32 v17, v5, v24
	s_delay_alu instid0(VALU_DEP_3) | instskip(SKIP_1) | instid1(VALU_DEP_2)
	v_max3_f32 v15, |v21|, 0x2edbe6ff, |v22|
	v_mul_f32_e32 v16, v7, v26
	v_max3_f32 v23, v15, |v19|, |v20|
	v_mul_f32_e32 v15, v6, v25
	s_delay_alu instid0(VALU_DEP_2) | instskip(NEXT) | instid1(VALU_DEP_1)
	v_max3_f32 v23, v23, |v18|, |v17|
	v_max3_f32 v23, v23, |v15|, |v16|
	s_delay_alu instid0(VALU_DEP_1) | instskip(NEXT) | instid1(VALU_DEP_1)
	v_mov_b32_dpp v24, v23 quad_perm:[1,0,3,2] row_mask:0xf bank_mask:0xf
	v_cmp_gt_f32_e64 s2, v23, v24
	s_delay_alu instid0(VALU_DEP_1) | instskip(NEXT) | instid1(VALU_DEP_1)
	v_cndmask_b32_e64 v23, v24, v23, s2
	v_mov_b32_dpp v24, v23 quad_perm:[2,3,0,1] row_mask:0xf bank_mask:0xf
	s_delay_alu instid0(VALU_DEP_1) | instskip(NEXT) | instid1(VALU_DEP_1)
	v_cmp_gt_f32_e64 s2, v23, v24
	v_cndmask_b32_e64 v23, v24, v23, s2
	s_delay_alu instid0(VALU_DEP_1) | instskip(NEXT) | instid1(VALU_DEP_1)
	v_mov_b32_dpp v24, v23 row_xmask:7 row_mask:0xf bank_mask:0xf
	v_cmp_gt_f32_e64 s2, v23, v24
	s_delay_alu instid0(VALU_DEP_1) | instskip(NEXT) | instid1(VALU_DEP_1)
	v_cndmask_b32_e64 v23, v24, v23, s2
	v_mov_b32_dpp v24, v23 row_xmask:15 row_mask:0xf bank_mask:0xf
	s_delay_alu instid0(VALU_DEP_1)
	v_cmp_gt_f32_e64 s2, v23, v24
	s_and_saveexec_b32 s24, vcc_lo
	s_cbranch_execz .LBB64_16
; %bb.15:
	s_delay_alu instid0(VALU_DEP_1)
	v_cndmask_b32_e64 v23, v24, v23, s2
	s_mov_b32 s2, 0x76543210
	s_delay_alu instid0(VALU_DEP_1) | instid1(SALU_CYCLE_1)
	v_permlanex16_b32 v24, v23, s2, 0xfedcba98 op_sel:[1,1]
	s_delay_alu instid0(VALU_DEP_1) | instskip(NEXT) | instid1(VALU_DEP_1)
	v_cmp_gt_f32_e64 s2, v23, v24
	v_cndmask_b32_e64 v23, v24, v23, s2
	ds_store_b32 v11, v23
.LBB64_16:
	s_or_b32 exec_lo, exec_lo, s24
	s_waitcnt lgkmcnt(0)
	s_barrier
	buffer_gl0_inv
	ds_load_b32 v24, v12
	s_abs_i32 s24, s5
	s_delay_alu instid0(SALU_CYCLE_1) | instskip(SKIP_1) | instid1(VALU_DEP_1)
	v_cvt_f32_u32_e32 v23, s24
	s_sub_i32 s27, 0, s24
	v_rcp_iflag_f32_e32 v23, v23
	s_waitcnt_depctr 0xfff
	v_mul_f32_e32 v23, 0x4f7ffffe, v23
	s_waitcnt lgkmcnt(0)
	v_mov_b32_dpp v25, v24 quad_perm:[1,0,3,2] row_mask:0xf bank_mask:0xf
	s_delay_alu instid0(VALU_DEP_2) | instskip(NEXT) | instid1(VALU_DEP_2)
	v_cvt_u32_f32_e32 v23, v23
	v_cmp_gt_f32_e64 s2, v24, v25
	s_delay_alu instid0(VALU_DEP_2) | instskip(NEXT) | instid1(VALU_DEP_2)
	v_readfirstlane_b32 s25, v23
	v_cndmask_b32_e64 v23, v25, v24, s2
	s_delay_alu instid0(VALU_DEP_2) | instskip(NEXT) | instid1(VALU_DEP_1)
	s_mul_i32 s27, s27, s25
	v_mov_b32_dpp v24, v23 quad_perm:[2,3,0,1] row_mask:0xf bank_mask:0xf
	s_mul_hi_u32 s2, s25, s27
	s_delay_alu instid0(SALU_CYCLE_1)
	s_add_i32 s25, s25, s2
	s_ashr_i32 s2, s5, 31
	s_mul_hi_u32 s25, s23, s25
	s_xor_b32 s27, s35, s2
	v_cmp_gt_f32_e64 s2, v23, v24
	s_mul_i32 s28, s25, s24
	s_delay_alu instid0(VALU_DEP_1)
	v_cndmask_b32_e64 v23, v24, v23, s2
	s_sub_i32 s2, s23, s28
	s_add_i32 s23, s25, 1
	s_sub_i32 s28, s2, s24
	s_cmp_ge_u32 s2, s24
	v_mov_b32_dpp v24, v23 row_xmask:7 row_mask:0xf bank_mask:0xf
	s_cselect_b32 s23, s23, s25
	s_cselect_b32 s2, s28, s2
	s_add_i32 s25, s23, 1
	s_cmp_ge_u32 s2, s24
	s_cselect_b32 s2, s25, s23
	s_delay_alu instid0(SALU_CYCLE_1) | instskip(SKIP_1) | instid1(VALU_DEP_1)
	s_xor_b32 s23, s2, s27
	v_cmp_gt_f32_e64 s2, v23, v24
	v_cndmask_b32_e64 v23, v24, v23, s2
	s_sub_i32 s2, s23, s27
	s_delay_alu instid0(SALU_CYCLE_1) | instskip(SKIP_4) | instid1(SALU_CYCLE_1)
	s_mul_i32 s23, s2, s5
	s_mul_i32 s2, s2, s9
	s_sub_i32 s23, s34, s23
	v_mul_f32_e32 v23, 0x3b124925, v23
	s_mul_i32 s23, s23, s10
	s_add_i32 s24, s23, s2
	s_and_saveexec_b32 s2, s0
	s_cbranch_execz .LBB64_18
; %bb.17:
	s_ashr_i32 s25, s24, 31
	v_mov_b32_e32 v24, 0
	s_lshl_b64 s[28:29], s[24:25], 2
	s_delay_alu instid0(SALU_CYCLE_1)
	s_add_u32 s28, s14, s28
	s_addc_u32 s29, s15, s29
	global_store_b32 v24, v23, s[28:29]
.LBB64_18:
	s_or_b32 exec_lo, exec_lo, s2
	s_and_saveexec_b32 s2, s1
	s_cbranch_execz .LBB64_20
; %bb.19:
	v_rcp_f32_e32 v23, v23
	v_mov_b32_e32 v24, 0xc3e00000
	v_mov_b32_e32 v25, 0x43e00000
	s_mul_i32 s23, s24, s33
	s_mul_hi_i32 s24, s24, s33
	s_add_u32 s36, s12, s23
	s_addc_u32 s23, s13, s24
	s_mov_b32 s39, -1
	s_and_b32 s37, s23, 0xffff
	s_waitcnt_depctr 0xfff
	v_mul_f32_e32 v22, v22, v23
	v_mul_f32_e32 v21, v21, v23
	;; [unrolled: 1-line block ×4, first 2 shown]
	;;#ASMSTART
	v_med3_f32 v21, v21, v24, v25
v_med3_f32 v22, v22, v24, v25
v_cvt_pk_fp8_f32 v26, v21, v22
	;;#ASMEND
	;;#ASMSTART
	v_med3_f32 v19, v19, v24, v25
v_med3_f32 v20, v20, v24, v25
v_cvt_pk_fp8_f32 v21, v19, v20
	;;#ASMEND
	v_perm_b32 v19, v21, v26, 0x5040100
	v_dual_mul_f32 v18, v18, v23 :: v_dual_and_b32 v21, 0xffffff00, v21
	v_mul_f32_e32 v17, v17, v23
	v_mul_f32_e32 v15, v15, v23
	s_delay_alu instid0(VALU_DEP_4) | instskip(NEXT) | instid1(VALU_DEP_1)
	v_lshrrev_b32_e32 v20, 16, v19
	v_and_b32_e32 v20, 0xff, v20
	s_delay_alu instid0(VALU_DEP_1)
	v_or_b32_e32 v20, v20, v21
	v_mul_f32_e32 v16, v16, v23
	;;#ASMSTART
	v_med3_f32 v18, v18, v24, v25
v_med3_f32 v17, v17, v24, v25
v_cvt_pk_fp8_f32 v21, v18, v17
	;;#ASMEND
	;;#ASMSTART
	v_med3_f32 v15, v15, v24, v25
v_med3_f32 v16, v16, v24, v25
v_cvt_pk_fp8_f32 v17, v15, v16
	;;#ASMEND
	v_lshlrev_b32_e32 v15, 16, v17
	v_lshlrev_b32_e32 v17, 16, v20
	s_delay_alu instid0(VALU_DEP_2) | instskip(NEXT) | instid1(VALU_DEP_2)
	v_and_or_b32 v16, 0xffff, v21, v15
	v_and_or_b32 v15, 0xffff, v19, v17
	buffer_store_b64 v[15:16], v13, s[36:39], 0 offen
	;;#ASMSTART
	s_nop 0
	;;#ASMEND
.LBB64_20:
	s_or_b32 exec_lo, exec_lo, s2
	s_cmp_eq_u32 s4, 1
	s_mov_b32 s35, 1
	s_cbranch_scc1 .LBB64_35
.LBB64_21:
	s_abs_i32 s43, s5
	v_mov_b32_e32 v17, 0x43e00000
	v_cvt_f32_u32_e32 v15, s43
	s_sub_i32 s23, 0, s43
	s_ashr_i32 s44, s5, 31
	s_mov_b32 s31, -1
	s_mov_b32 s46, 0x76543210
	v_rcp_iflag_f32_e32 v15, v15
	v_add_nc_u32_e32 v14, 4, v14
	v_mov_b32_e32 v16, 0xc3e00000
	s_waitcnt_depctr 0xfff
	v_mul_f32_e32 v15, 0x4f7ffffe, v15
	s_delay_alu instid0(VALU_DEP_1) | instskip(NEXT) | instid1(VALU_DEP_1)
	v_cvt_u32_f32_e32 v15, v15
	v_readfirstlane_b32 s2, v15
	v_mov_b32_e32 v15, 0
	s_delay_alu instid0(VALU_DEP_2) | instskip(NEXT) | instid1(SALU_CYCLE_1)
	s_mul_i32 s23, s23, s2
	s_mul_hi_u32 s23, s2, s23
	s_delay_alu instid0(SALU_CYCLE_1)
	s_add_i32 s45, s2, s23
	s_branch .LBB64_24
.LBB64_22:                              ;   in Loop: Header=BB64_24 Depth=1
	s_or_b32 exec_lo, exec_lo, s2
.LBB64_23:                              ;   in Loop: Header=BB64_24 Depth=1
	v_add_nc_u32_e32 v14, 4, v14
	s_add_i32 s35, s35, 1
	s_delay_alu instid0(SALU_CYCLE_1)
	s_cmp_eq_u32 s4, s35
	s_cbranch_scc1 .LBB64_35
.LBB64_24:                              ; =>This Inner Loop Header: Depth=1
	s_and_b32 s2, s35, 31
	s_delay_alu instid0(SALU_CYCLE_1)
	s_cmp_lg_u32 s2, 0
	s_cbranch_scc1 .LBB64_26
; %bb.25:                               ;   in Loop: Header=BB64_24 Depth=1
	s_mov_b32 s23, s31
	buffer_load_b32 v8, v14, s[20:23], 0 offen
	s_waitcnt vmcnt(3) expcnt(0) lgkmcnt(55)
.LBB64_26:                              ;   in Loop: Header=BB64_24 Depth=1
	s_waitcnt vmcnt(0)
	v_readlane_b32 s2, v8, s2
	s_delay_alu instid0(VALU_DEP_1)
	s_cmp_lt_i32 s2, 0
	s_cbranch_scc1 .LBB64_23
; %bb.27:                               ;   in Loop: Header=BB64_24 Depth=1
	s_add_i32 s23, s34, s35
	s_delay_alu instid0(SALU_CYCLE_1)
	s_abs_i32 s36, s23
	s_ashr_i32 s37, s23, 31
	s_mul_hi_u32 s24, s36, s42
	s_xor_b32 s27, s37, s41
	s_mul_i32 s25, s24, s11
	s_add_i32 s28, s24, 1
	s_sub_i32 s25, s36, s25
	s_delay_alu instid0(SALU_CYCLE_1)
	s_sub_i32 s29, s25, s11
	s_cmp_ge_u32 s25, s11
	s_cselect_b32 s24, s28, s24
	s_cselect_b32 s25, s29, s25
	s_add_i32 s28, s24, 1
	s_cmp_ge_u32 s25, s11
	s_cselect_b32 s24, s28, s24
	s_delay_alu instid0(SALU_CYCLE_1) | instskip(NEXT) | instid1(SALU_CYCLE_1)
	s_xor_b32 s24, s24, s27
	s_sub_i32 s24, s24, s27
	s_delay_alu instid0(SALU_CYCLE_1) | instskip(SKIP_2) | instid1(SALU_CYCLE_1)
	s_mul_i32 s25, s24, s6
	s_mul_i32 s24, s24, s7
	s_sub_i32 s25, s23, s25
	s_mul_i32 s28, s25, s8
	s_delay_alu instid0(SALU_CYCLE_1) | instskip(NEXT) | instid1(SALU_CYCLE_1)
	s_add_i32 s28, s28, s24
	s_cmp_eq_u32 s28, s40
	s_cbranch_scc1 .LBB64_29
; %bb.28:                               ;   in Loop: Header=BB64_24 Depth=1
	s_mul_hi_i32 s25, s28, s33
	s_mul_i32 s24, s28, s33
	s_mov_b32 s27, s31
	s_lshl_b64 s[24:25], s[24:25], 1
	s_mov_b32 s40, s28
	s_add_u32 s24, s16, s24
	s_addc_u32 s25, s17, s25
	s_delay_alu instid0(SALU_CYCLE_1)
	s_and_b32 s25, s25, 0xffff
	buffer_load_b128 v[3:6], v9, s[24:27], 0 offen
	s_waitcnt vmcnt(0)
	v_cvt_f32_f16_e32 v0, v3
	v_lshrrev_b32_e32 v1, 16, v3
	v_cvt_f32_f16_e32 v2, v4
	v_lshrrev_b32_e32 v3, 16, v4
	;; [unrolled: 2-line block ×3, first 2 shown]
	v_lshrrev_b32_e32 v7, 16, v6
	v_cvt_f32_f16_e32 v6, v6
	v_cvt_f32_f16_e32 v1, v1
	;; [unrolled: 1-line block ×5, first 2 shown]
.LBB64_29:                              ;   in Loop: Header=BB64_24 Depth=1
	s_mul_i32 s24, s2, s3
	s_delay_alu instid0(SALU_CYCLE_1) | instskip(NEXT) | instid1(SALU_CYCLE_1)
	s_ashr_i32 s25, s24, 31
	s_lshl_b64 s[24:25], s[24:25], 2
	s_delay_alu instid0(SALU_CYCLE_1) | instskip(SKIP_1) | instid1(SALU_CYCLE_1)
	s_add_u32 s28, s18, s24
	s_addc_u32 s2, s19, s25
	s_and_b32 s29, s2, 0xffff
	s_clause 0x1
	buffer_load_b128 v[18:21], v10, s[28:31], 0 offen
	buffer_load_b128 v[26:29], v10, s[28:31], 16 offen
	s_waitcnt vmcnt(1)
	v_dual_mul_f32 v24, v0, v18 :: v_dual_mul_f32 v25, v1, v19
	v_dual_mul_f32 v22, v2, v20 :: v_dual_mul_f32 v23, v3, v21
	s_waitcnt vmcnt(0)
	v_dual_mul_f32 v21, v4, v26 :: v_dual_mul_f32 v20, v5, v27
	s_delay_alu instid0(VALU_DEP_3) | instskip(SKIP_1) | instid1(VALU_DEP_2)
	v_max3_f32 v18, |v24|, 0x2edbe6ff, |v25|
	v_mul_f32_e32 v19, v7, v29
	v_max3_f32 v26, v18, |v22|, |v23|
	v_mul_f32_e32 v18, v6, v28
	s_delay_alu instid0(VALU_DEP_2) | instskip(NEXT) | instid1(VALU_DEP_1)
	v_max3_f32 v26, v26, |v21|, |v20|
	v_max3_f32 v26, v26, |v18|, |v19|
	s_delay_alu instid0(VALU_DEP_1) | instskip(NEXT) | instid1(VALU_DEP_1)
	v_mov_b32_dpp v27, v26 quad_perm:[1,0,3,2] row_mask:0xf bank_mask:0xf
	v_cmp_gt_f32_e64 s2, v26, v27
	s_delay_alu instid0(VALU_DEP_1) | instskip(NEXT) | instid1(VALU_DEP_1)
	v_cndmask_b32_e64 v26, v27, v26, s2
	v_mov_b32_dpp v27, v26 quad_perm:[2,3,0,1] row_mask:0xf bank_mask:0xf
	s_delay_alu instid0(VALU_DEP_1) | instskip(NEXT) | instid1(VALU_DEP_1)
	v_cmp_gt_f32_e64 s2, v26, v27
	v_cndmask_b32_e64 v26, v27, v26, s2
	s_delay_alu instid0(VALU_DEP_1) | instskip(NEXT) | instid1(VALU_DEP_1)
	v_mov_b32_dpp v27, v26 row_xmask:7 row_mask:0xf bank_mask:0xf
	v_cmp_gt_f32_e64 s2, v26, v27
	s_delay_alu instid0(VALU_DEP_1) | instskip(NEXT) | instid1(VALU_DEP_1)
	v_cndmask_b32_e64 v26, v27, v26, s2
	v_mov_b32_dpp v27, v26 row_xmask:15 row_mask:0xf bank_mask:0xf
	s_delay_alu instid0(VALU_DEP_1)
	v_cmp_gt_f32_e64 s2, v26, v27
	s_and_saveexec_b32 s24, vcc_lo
	s_cbranch_execz .LBB64_31
; %bb.30:                               ;   in Loop: Header=BB64_24 Depth=1
	s_delay_alu instid0(VALU_DEP_1) | instskip(NEXT) | instid1(VALU_DEP_1)
	v_cndmask_b32_e64 v26, v27, v26, s2
	v_permlanex16_b32 v27, v26, s46, 0xfedcba98 op_sel:[1,1]
	s_delay_alu instid0(VALU_DEP_1) | instskip(NEXT) | instid1(VALU_DEP_1)
	v_cmp_gt_f32_e64 s2, v26, v27
	v_cndmask_b32_e64 v26, v27, v26, s2
	ds_store_b32 v11, v26
.LBB64_31:                              ;   in Loop: Header=BB64_24 Depth=1
	s_or_b32 exec_lo, exec_lo, s24
	s_waitcnt lgkmcnt(0)
	s_waitcnt_vscnt null, 0x0
	s_barrier
	buffer_gl0_inv
	ds_load_b32 v26, v12
	s_mul_hi_u32 s24, s36, s45
	s_xor_b32 s27, s37, s44
	s_mul_i32 s25, s24, s43
	s_waitcnt lgkmcnt(0)
	v_mov_b32_dpp v27, v26 quad_perm:[1,0,3,2] row_mask:0xf bank_mask:0xf
	s_delay_alu instid0(VALU_DEP_1) | instskip(NEXT) | instid1(VALU_DEP_1)
	v_cmp_gt_f32_e64 s2, v26, v27
	v_cndmask_b32_e64 v26, v27, v26, s2
	s_sub_i32 s2, s36, s25
	s_add_i32 s25, s24, 1
	s_sub_i32 s28, s2, s43
	s_cmp_ge_u32 s2, s43
	v_mov_b32_dpp v27, v26 quad_perm:[2,3,0,1] row_mask:0xf bank_mask:0xf
	s_cselect_b32 s24, s25, s24
	s_cselect_b32 s25, s28, s2
	s_delay_alu instid0(VALU_DEP_1) | instskip(NEXT) | instid1(VALU_DEP_1)
	v_cmp_gt_f32_e64 s2, v26, v27
	v_cndmask_b32_e64 v26, v27, v26, s2
	s_add_i32 s2, s24, 1
	s_cmp_ge_u32 s25, s43
	s_cselect_b32 s2, s2, s24
	s_delay_alu instid0(VALU_DEP_1) | instskip(SKIP_1) | instid1(SALU_CYCLE_1)
	v_mov_b32_dpp v27, v26 row_xmask:7 row_mask:0xf bank_mask:0xf
	s_xor_b32 s2, s2, s27
	s_sub_i32 s24, s2, s27
	s_delay_alu instid0(VALU_DEP_1) | instskip(NEXT) | instid1(VALU_DEP_1)
	v_cmp_gt_f32_e64 s2, v26, v27
	v_cndmask_b32_e64 v26, v27, v26, s2
	s_mul_i32 s2, s24, s5
	s_mul_i32 s24, s24, s9
	s_sub_i32 s2, s23, s2
	s_delay_alu instid0(VALU_DEP_1) | instskip(SKIP_1) | instid1(SALU_CYCLE_1)
	v_mul_f32_e32 v26, 0x3b124925, v26
	s_mul_i32 s2, s2, s10
	s_add_i32 s24, s2, s24
	s_and_saveexec_b32 s2, s0
	s_cbranch_execz .LBB64_33
; %bb.32:                               ;   in Loop: Header=BB64_24 Depth=1
	s_ashr_i32 s25, s24, 31
	s_delay_alu instid0(SALU_CYCLE_1) | instskip(NEXT) | instid1(SALU_CYCLE_1)
	s_lshl_b64 s[28:29], s[24:25], 2
	s_add_u32 s28, s14, s28
	s_addc_u32 s29, s15, s29
	global_store_b32 v15, v26, s[28:29]
.LBB64_33:                              ;   in Loop: Header=BB64_24 Depth=1
	s_or_b32 exec_lo, exec_lo, s2
	s_and_saveexec_b32 s2, s1
	s_cbranch_execz .LBB64_22
; %bb.34:                               ;   in Loop: Header=BB64_24 Depth=1
	v_rcp_f32_e32 v26, v26
	s_mul_i32 s23, s24, s33
	s_mul_hi_i32 s24, s24, s33
	s_add_u32 s36, s12, s23
	s_addc_u32 s23, s13, s24
	s_mov_b32 s39, s31
	s_and_b32 s37, s23, 0xffff
	s_waitcnt_depctr 0xfff
	v_mul_f32_e32 v24, v24, v26
	v_mul_f32_e32 v25, v25, v26
	;; [unrolled: 1-line block ×4, first 2 shown]
	;;#ASMSTART
	v_med3_f32 v24, v24, v16, v17
v_med3_f32 v25, v25, v16, v17
v_cvt_pk_fp8_f32 v27, v24, v25
	;;#ASMEND
	;;#ASMSTART
	v_med3_f32 v22, v22, v16, v17
v_med3_f32 v23, v23, v16, v17
v_cvt_pk_fp8_f32 v24, v22, v23
	;;#ASMEND
	v_perm_b32 v22, v24, v27, 0x5040100
	v_and_b32_e32 v24, 0xffffff00, v24
	v_mul_f32_e32 v20, v20, v26
	v_mul_f32_e32 v18, v18, v26
	;; [unrolled: 1-line block ×3, first 2 shown]
	v_lshrrev_b32_e32 v23, 16, v22
	s_delay_alu instid0(VALU_DEP_1) | instskip(NEXT) | instid1(VALU_DEP_1)
	v_and_b32_e32 v23, 0xff, v23
	v_or_b32_e32 v23, v23, v24
	v_mul_f32_e32 v21, v21, v26
	;;#ASMSTART
	v_med3_f32 v21, v21, v16, v17
v_med3_f32 v20, v20, v16, v17
v_cvt_pk_fp8_f32 v24, v21, v20
	;;#ASMEND
	;;#ASMSTART
	v_med3_f32 v18, v18, v16, v17
v_med3_f32 v19, v19, v16, v17
v_cvt_pk_fp8_f32 v20, v18, v19
	;;#ASMEND
	v_lshlrev_b32_e32 v18, 16, v20
	v_lshlrev_b32_e32 v20, 16, v23
	s_delay_alu instid0(VALU_DEP_2) | instskip(NEXT) | instid1(VALU_DEP_2)
	v_and_or_b32 v19, 0xffff, v24, v18
	v_and_or_b32 v18, 0xffff, v22, v20
	buffer_store_b64 v[18:19], v13, s[36:39], 0 offen
	;;#ASMSTART
	s_nop 0
	;;#ASMEND
	s_branch .LBB64_22
.LBB64_35:
	s_nop 0
	s_sendmsg sendmsg(MSG_DEALLOC_VGPRS)
	s_endpgm
	.section	.rodata,"a",@progbits
	.p2align	6, 0x0
	.amdhsa_kernel _ZN5aiter36smooth_per_token_scaled_quant_kernelIDF16_DB8_Li256ELi8ELb1ELb1ELb0ELi1024EEEvPT0_PfPT_S4_PiS7_iiPKiiiiiiiii
		.amdhsa_group_segment_fixed_size 32
		.amdhsa_private_segment_fixed_size 0
		.amdhsa_kernarg_size 96
		.amdhsa_user_sgpr_count 15
		.amdhsa_user_sgpr_dispatch_ptr 0
		.amdhsa_user_sgpr_queue_ptr 0
		.amdhsa_user_sgpr_kernarg_segment_ptr 1
		.amdhsa_user_sgpr_dispatch_id 0
		.amdhsa_user_sgpr_private_segment_size 0
		.amdhsa_wavefront_size32 1
		.amdhsa_uses_dynamic_stack 0
		.amdhsa_enable_private_segment 0
		.amdhsa_system_sgpr_workgroup_id_x 1
		.amdhsa_system_sgpr_workgroup_id_y 0
		.amdhsa_system_sgpr_workgroup_id_z 0
		.amdhsa_system_sgpr_workgroup_info 0
		.amdhsa_system_vgpr_workitem_id 0
		.amdhsa_next_free_vgpr 30
		.amdhsa_next_free_sgpr 47
		.amdhsa_reserve_vcc 1
		.amdhsa_float_round_mode_32 0
		.amdhsa_float_round_mode_16_64 0
		.amdhsa_float_denorm_mode_32 3
		.amdhsa_float_denorm_mode_16_64 3
		.amdhsa_dx10_clamp 1
		.amdhsa_ieee_mode 1
		.amdhsa_fp16_overflow 0
		.amdhsa_workgroup_processor_mode 1
		.amdhsa_memory_ordered 1
		.amdhsa_forward_progress 0
		.amdhsa_shared_vgpr_count 0
		.amdhsa_exception_fp_ieee_invalid_op 0
		.amdhsa_exception_fp_denorm_src 0
		.amdhsa_exception_fp_ieee_div_zero 0
		.amdhsa_exception_fp_ieee_overflow 0
		.amdhsa_exception_fp_ieee_underflow 0
		.amdhsa_exception_fp_ieee_inexact 0
		.amdhsa_exception_int_div_zero 0
	.end_amdhsa_kernel
	.section	.text._ZN5aiter36smooth_per_token_scaled_quant_kernelIDF16_DB8_Li256ELi8ELb1ELb1ELb0ELi1024EEEvPT0_PfPT_S4_PiS7_iiPKiiiiiiiii,"axG",@progbits,_ZN5aiter36smooth_per_token_scaled_quant_kernelIDF16_DB8_Li256ELi8ELb1ELb1ELb0ELi1024EEEvPT0_PfPT_S4_PiS7_iiPKiiiiiiiii,comdat
.Lfunc_end64:
	.size	_ZN5aiter36smooth_per_token_scaled_quant_kernelIDF16_DB8_Li256ELi8ELb1ELb1ELb0ELi1024EEEvPT0_PfPT_S4_PiS7_iiPKiiiiiiiii, .Lfunc_end64-_ZN5aiter36smooth_per_token_scaled_quant_kernelIDF16_DB8_Li256ELi8ELb1ELb1ELb0ELi1024EEEvPT0_PfPT_S4_PiS7_iiPKiiiiiiiii
                                        ; -- End function
	.section	.AMDGPU.csdata,"",@progbits
; Kernel info:
; codeLenInByte = 3300
; NumSgprs: 49
; NumVgprs: 30
; ScratchSize: 0
; MemoryBound: 0
; FloatMode: 240
; IeeeMode: 1
; LDSByteSize: 32 bytes/workgroup (compile time only)
; SGPRBlocks: 6
; VGPRBlocks: 3
; NumSGPRsForWavesPerEU: 49
; NumVGPRsForWavesPerEU: 30
; Occupancy: 16
; WaveLimiterHint : 0
; COMPUTE_PGM_RSRC2:SCRATCH_EN: 0
; COMPUTE_PGM_RSRC2:USER_SGPR: 15
; COMPUTE_PGM_RSRC2:TRAP_HANDLER: 0
; COMPUTE_PGM_RSRC2:TGID_X_EN: 1
; COMPUTE_PGM_RSRC2:TGID_Y_EN: 0
; COMPUTE_PGM_RSRC2:TGID_Z_EN: 0
; COMPUTE_PGM_RSRC2:TIDIG_COMP_CNT: 0
	.section	.text._ZN5aiter36smooth_per_token_scaled_quant_kernelItDB8_Li256ELi8ELb1ELb1ELb0ELi1024EEEvPT0_PfPT_S4_PiS7_iiPKiiiiiiiii,"axG",@progbits,_ZN5aiter36smooth_per_token_scaled_quant_kernelItDB8_Li256ELi8ELb1ELb1ELb0ELi1024EEEvPT0_PfPT_S4_PiS7_iiPKiiiiiiiii,comdat
	.protected	_ZN5aiter36smooth_per_token_scaled_quant_kernelItDB8_Li256ELi8ELb1ELb1ELb0ELi1024EEEvPT0_PfPT_S4_PiS7_iiPKiiiiiiiii ; -- Begin function _ZN5aiter36smooth_per_token_scaled_quant_kernelItDB8_Li256ELi8ELb1ELb1ELb0ELi1024EEEvPT0_PfPT_S4_PiS7_iiPKiiiiiiiii
	.globl	_ZN5aiter36smooth_per_token_scaled_quant_kernelItDB8_Li256ELi8ELb1ELb1ELb0ELi1024EEEvPT0_PfPT_S4_PiS7_iiPKiiiiiiiii
	.p2align	8
	.type	_ZN5aiter36smooth_per_token_scaled_quant_kernelItDB8_Li256ELi8ELb1ELb1ELb0ELi1024EEEvPT0_PfPT_S4_PiS7_iiPKiiiiiiiii,@function
_ZN5aiter36smooth_per_token_scaled_quant_kernelItDB8_Li256ELi8ELb1ELb1ELb0ELi1024EEEvPT0_PfPT_S4_PiS7_iiPKiiiiiiiii: ; @_ZN5aiter36smooth_per_token_scaled_quant_kernelItDB8_Li256ELi8ELb1ELb1ELb0ELi1024EEEvPT0_PfPT_S4_PiS7_iiPKiiiiiiiii
; %bb.0:
	s_clause 0x1
	s_load_b64 s[2:3], s[0:1], 0x38
	s_load_b256 s[4:11], s[0:1], 0x40
	s_waitcnt lgkmcnt(0)
	s_cmp_lg_u64 s[2:3], 0
	s_cbranch_scc0 .LBB65_11
; %bb.1:
	s_load_b32 s2, s[2:3], 0x0
	s_waitcnt lgkmcnt(0)
	s_mul_i32 s4, s2, s4
	s_cbranch_execnz .LBB65_3
.LBB65_2:
	s_mul_i32 s4, s6, s5
.LBB65_3:
	s_load_b64 s[2:3], s[0:1], 0x30
	s_abs_i32 s14, s4
	s_waitcnt lgkmcnt(0)
	s_abs_i32 s11, s2
	s_delay_alu instid0(SALU_CYCLE_1) | instskip(SKIP_1) | instid1(VALU_DEP_1)
	v_cvt_f32_u32_e32 v1, s11
	s_sub_i32 s13, 0, s11
	v_rcp_iflag_f32_e32 v1, v1
	s_waitcnt_depctr 0xfff
	v_mul_f32_e32 v1, 0x4f7ffffe, v1
	s_delay_alu instid0(VALU_DEP_1) | instskip(NEXT) | instid1(VALU_DEP_1)
	v_cvt_u32_f32_e32 v1, v1
	v_readfirstlane_b32 s12, v1
	s_delay_alu instid0(VALU_DEP_1) | instskip(NEXT) | instid1(SALU_CYCLE_1)
	s_mul_i32 s13, s13, s12
	s_mul_hi_u32 s13, s12, s13
	s_delay_alu instid0(SALU_CYCLE_1) | instskip(SKIP_4) | instid1(SALU_CYCLE_1)
	s_add_i32 s12, s12, s13
	s_xor_b32 s13, s4, s2
	s_mul_hi_u32 s12, s14, s12
	s_ashr_i32 s13, s13, 31
	s_mul_i32 s16, s12, s11
	s_sub_i32 s14, s14, s16
	s_add_i32 s16, s12, 1
	s_sub_i32 s17, s14, s11
	s_cmp_ge_u32 s14, s11
	s_cselect_b32 s12, s16, s12
	s_cselect_b32 s14, s17, s14
	s_add_i32 s16, s12, 1
	s_cmp_ge_u32 s14, s11
	s_cselect_b32 s11, s16, s12
	s_mov_b32 s12, 0
	s_xor_b32 s11, s11, s13
	s_delay_alu instid0(SALU_CYCLE_1) | instskip(NEXT) | instid1(SALU_CYCLE_1)
	s_sub_i32 s11, s11, s13
	s_mul_i32 s2, s11, s2
	s_delay_alu instid0(SALU_CYCLE_1) | instskip(NEXT) | instid1(SALU_CYCLE_1)
	s_sub_i32 s13, s4, s2
	s_cmp_lt_u32 s15, s13
	s_cselect_b32 s2, -1, 0
	s_add_i32 s4, s11, 1
	s_cmp_ge_u32 s15, s13
	s_cbranch_scc0 .LBB65_5
; %bb.4:
	s_sub_i32 s14, s15, s13
	s_mul_i32 s13, s13, s4
	s_mul_i32 s14, s14, s11
	s_delay_alu instid0(SALU_CYCLE_1)
	s_add_i32 s34, s14, s13
	s_and_not1_b32 vcc_lo, exec_lo, s12
	s_cbranch_vccz .LBB65_6
	s_branch .LBB65_7
.LBB65_5:
                                        ; implicit-def: $sgpr34
.LBB65_6:
	s_mul_i32 s34, s4, s15
.LBB65_7:
	v_cndmask_b32_e64 v1, 0, 1, s2
	s_delay_alu instid0(VALU_DEP_1) | instskip(NEXT) | instid1(VALU_DEP_1)
	v_readfirstlane_b32 s2, v1
	s_add_i32 s4, s11, s2
	s_delay_alu instid0(SALU_CYCLE_1)
	s_cmp_lt_i32 s4, 1
	s_cbranch_scc1 .LBB65_35
; %bb.8:
	s_load_b64 s[12:13], s[0:1], 0x20
	s_ashr_i32 s35, s34, 31
	v_and_b32_e32 v1, 31, v0
	s_lshl_b64 s[14:15], s[34:35], 2
	s_mov_b32 s40, -1
	v_lshrrev_b32_e32 v3, 3, v0
	s_mov_b32 s23, s40
	v_cmp_eq_u32_e32 vcc_lo, 31, v1
	v_and_b32_e32 v4, 7, v0
	v_lshlrev_b32_e32 v9, 4, v0
	v_lshlrev_b32_e32 v10, 5, v0
	v_and_b32_e32 v11, 0x7c, v3
	v_lshlrev_b32_e32 v13, 3, v0
	v_lshlrev_b32_e32 v12, 2, v4
	s_mov_b32 s33, s3
	s_waitcnt lgkmcnt(0)
	s_add_u32 s20, s12, s14
	s_addc_u32 s2, s13, s15
	s_abs_i32 s11, s6
	s_lshl_b32 s22, s4, 2
	v_cvt_f32_u32_e32 v2, s11
	s_and_b32 s21, s2, 0xffff
	s_load_b256 s[12:19], s[0:1], 0x0
	s_add_i32 s1, s3, 7
	v_cmp_eq_u32_e64 s0, 0, v0
	v_rcp_iflag_f32_e32 v2, v2
	v_lshlrev_b32_e32 v14, 2, v1
	s_ashr_i32 s2, s1, 31
	s_lshl_b32 s26, s3, 1
	s_lshr_b32 s2, s2, 29
	s_lshl_b32 s30, s3, 2
	s_add_i32 s1, s1, s2
	s_ashr_i32 s41, s6, 31
	s_ashr_i32 s1, s1, 3
	s_waitcnt_depctr 0xfff
	v_mul_f32_e32 v1, 0x4f7ffffe, v2
	buffer_load_b32 v8, v14, s[20:23], 0 offen
	s_add_i32 s23, s3, 3
	v_cmp_gt_u32_e64 s1, s1, v0
	s_ashr_i32 s2, s23, 31
	v_cvt_u32_f32_e32 v1, v1
	s_lshr_b32 s2, s2, 30
	s_waitcnt vmcnt(3) expcnt(0) lgkmcnt(55)
	s_add_i32 s23, s23, s2
	s_sub_i32 s2, 0, s11
	v_readfirstlane_b32 s42, v1
	s_and_b32 s38, s23, -4
	s_waitcnt vmcnt(0) lgkmcnt(0)
	s_barrier
	buffer_gl0_inv
	s_mul_i32 s23, s2, s42
	s_delay_alu instid0(SALU_CYCLE_1) | instskip(NEXT) | instid1(SALU_CYCLE_1)
	s_mul_hi_u32 s23, s42, s23
	s_add_i32 s42, s42, s23
	v_readlane_b32 s2, v8, 0
	s_delay_alu instid0(VALU_DEP_1)
	s_cmp_lt_i32 s2, 0
	s_cbranch_scc1 .LBB65_12
; %bb.9:
	s_abs_i32 s23, s34
	s_xor_b32 s27, s35, s41
	s_mul_hi_u32 s24, s23, s42
	s_mov_b32 s31, -1
	s_mul_i32 s25, s24, s11
	s_add_i32 s28, s24, 1
	s_sub_i32 s25, s23, s25
	s_delay_alu instid0(SALU_CYCLE_1)
	s_sub_i32 s29, s25, s11
	s_cmp_ge_u32 s25, s11
	s_cselect_b32 s24, s28, s24
	s_cselect_b32 s25, s29, s25
	s_add_i32 s28, s24, 1
	s_cmp_ge_u32 s25, s11
	s_cselect_b32 s24, s28, s24
	s_delay_alu instid0(SALU_CYCLE_1) | instskip(NEXT) | instid1(SALU_CYCLE_1)
	s_xor_b32 s24, s24, s27
	s_sub_i32 s24, s24, s27
	s_delay_alu instid0(SALU_CYCLE_1) | instskip(SKIP_2) | instid1(SALU_CYCLE_1)
	s_mul_i32 s25, s24, s6
	s_mul_i32 s24, s24, s7
	s_sub_i32 s25, s34, s25
	s_mul_i32 s25, s25, s8
	s_delay_alu instid0(SALU_CYCLE_1) | instskip(NEXT) | instid1(SALU_CYCLE_1)
	s_add_i32 s40, s25, s24
	s_cmp_eq_u32 s40, -1
	s_cbranch_scc1 .LBB65_13
; %bb.10:
	s_mul_hi_i32 s25, s40, s33
	s_mul_i32 s24, s40, s33
	s_mov_b32 s27, s31
	s_lshl_b64 s[24:25], s[24:25], 1
	s_delay_alu instid0(SALU_CYCLE_1) | instskip(SKIP_1) | instid1(SALU_CYCLE_1)
	s_add_u32 s24, s16, s24
	s_addc_u32 s25, s17, s25
	s_and_b32 s25, s25, 0xffff
	buffer_load_b128 v[0:3], v9, s[24:27], 0 offen
	s_waitcnt vmcnt(0)
	v_lshrrev_b32_e32 v4, 16, v0
	v_and_b32_e32 v0, 0xffff, v0
	v_lshrrev_b32_e32 v5, 16, v1
	v_and_b32_e32 v6, 0xffff, v1
	;; [unrolled: 2-line block ×4, first 2 shown]
	v_cvt_f32_u32_e32 v1, v4
	v_cvt_f32_u32_e32 v0, v0
	;; [unrolled: 1-line block ×8, first 2 shown]
	s_branch .LBB65_14
.LBB65_11:
                                        ; implicit-def: $sgpr4
	s_branch .LBB65_2
.LBB65_12:
                                        ; implicit-def: $vgpr0_vgpr1_vgpr2_vgpr3_vgpr4_vgpr5_vgpr6_vgpr7
	s_cmp_eq_u32 s4, 1
	s_mov_b32 s35, 1
	s_cbranch_scc0 .LBB65_21
	s_branch .LBB65_35
.LBB65_13:
                                        ; implicit-def: $vgpr0_vgpr1_vgpr2_vgpr3_vgpr4_vgpr5_vgpr6_vgpr7
.LBB65_14:
	s_mul_i32 s24, s2, s3
	s_delay_alu instid0(SALU_CYCLE_1) | instskip(NEXT) | instid1(SALU_CYCLE_1)
	s_ashr_i32 s25, s24, 31
	s_lshl_b64 s[24:25], s[24:25], 2
	s_delay_alu instid0(SALU_CYCLE_1) | instskip(SKIP_1) | instid1(SALU_CYCLE_1)
	s_add_u32 s28, s18, s24
	s_addc_u32 s2, s19, s25
	s_and_b32 s29, s2, 0xffff
	s_clause 0x1
	buffer_load_b128 v[15:18], v10, s[28:31], 0 offen
	buffer_load_b128 v[23:26], v10, s[28:31], 16 offen
	s_waitcnt vmcnt(1)
	v_dual_mul_f32 v21, v0, v15 :: v_dual_mul_f32 v22, v1, v16
	v_dual_mul_f32 v19, v2, v17 :: v_dual_mul_f32 v20, v3, v18
	s_waitcnt vmcnt(0)
	v_dual_mul_f32 v18, v4, v23 :: v_dual_mul_f32 v17, v5, v24
	s_delay_alu instid0(VALU_DEP_3) | instskip(SKIP_1) | instid1(VALU_DEP_2)
	v_max3_f32 v15, |v21|, 0x2edbe6ff, |v22|
	v_mul_f32_e32 v16, v7, v26
	v_max3_f32 v23, v15, |v19|, |v20|
	v_mul_f32_e32 v15, v6, v25
	s_delay_alu instid0(VALU_DEP_2) | instskip(NEXT) | instid1(VALU_DEP_1)
	v_max3_f32 v23, v23, |v18|, |v17|
	v_max3_f32 v23, v23, |v15|, |v16|
	s_delay_alu instid0(VALU_DEP_1) | instskip(NEXT) | instid1(VALU_DEP_1)
	v_mov_b32_dpp v24, v23 quad_perm:[1,0,3,2] row_mask:0xf bank_mask:0xf
	v_cmp_gt_f32_e64 s2, v23, v24
	s_delay_alu instid0(VALU_DEP_1) | instskip(NEXT) | instid1(VALU_DEP_1)
	v_cndmask_b32_e64 v23, v24, v23, s2
	v_mov_b32_dpp v24, v23 quad_perm:[2,3,0,1] row_mask:0xf bank_mask:0xf
	s_delay_alu instid0(VALU_DEP_1) | instskip(NEXT) | instid1(VALU_DEP_1)
	v_cmp_gt_f32_e64 s2, v23, v24
	v_cndmask_b32_e64 v23, v24, v23, s2
	s_delay_alu instid0(VALU_DEP_1) | instskip(NEXT) | instid1(VALU_DEP_1)
	v_mov_b32_dpp v24, v23 row_xmask:7 row_mask:0xf bank_mask:0xf
	v_cmp_gt_f32_e64 s2, v23, v24
	s_delay_alu instid0(VALU_DEP_1) | instskip(NEXT) | instid1(VALU_DEP_1)
	v_cndmask_b32_e64 v23, v24, v23, s2
	v_mov_b32_dpp v24, v23 row_xmask:15 row_mask:0xf bank_mask:0xf
	s_delay_alu instid0(VALU_DEP_1)
	v_cmp_gt_f32_e64 s2, v23, v24
	s_and_saveexec_b32 s24, vcc_lo
	s_cbranch_execz .LBB65_16
; %bb.15:
	s_delay_alu instid0(VALU_DEP_1)
	v_cndmask_b32_e64 v23, v24, v23, s2
	s_mov_b32 s2, 0x76543210
	s_delay_alu instid0(VALU_DEP_1) | instid1(SALU_CYCLE_1)
	v_permlanex16_b32 v24, v23, s2, 0xfedcba98 op_sel:[1,1]
	s_delay_alu instid0(VALU_DEP_1) | instskip(NEXT) | instid1(VALU_DEP_1)
	v_cmp_gt_f32_e64 s2, v23, v24
	v_cndmask_b32_e64 v23, v24, v23, s2
	ds_store_b32 v11, v23
.LBB65_16:
	s_or_b32 exec_lo, exec_lo, s24
	s_waitcnt lgkmcnt(0)
	s_barrier
	buffer_gl0_inv
	ds_load_b32 v24, v12
	s_abs_i32 s24, s5
	s_delay_alu instid0(SALU_CYCLE_1) | instskip(SKIP_1) | instid1(VALU_DEP_1)
	v_cvt_f32_u32_e32 v23, s24
	s_sub_i32 s27, 0, s24
	v_rcp_iflag_f32_e32 v23, v23
	s_waitcnt_depctr 0xfff
	v_mul_f32_e32 v23, 0x4f7ffffe, v23
	s_waitcnt lgkmcnt(0)
	v_mov_b32_dpp v25, v24 quad_perm:[1,0,3,2] row_mask:0xf bank_mask:0xf
	s_delay_alu instid0(VALU_DEP_2) | instskip(NEXT) | instid1(VALU_DEP_2)
	v_cvt_u32_f32_e32 v23, v23
	v_cmp_gt_f32_e64 s2, v24, v25
	s_delay_alu instid0(VALU_DEP_2) | instskip(NEXT) | instid1(VALU_DEP_2)
	v_readfirstlane_b32 s25, v23
	v_cndmask_b32_e64 v23, v25, v24, s2
	s_delay_alu instid0(VALU_DEP_2) | instskip(NEXT) | instid1(VALU_DEP_1)
	s_mul_i32 s27, s27, s25
	v_mov_b32_dpp v24, v23 quad_perm:[2,3,0,1] row_mask:0xf bank_mask:0xf
	s_mul_hi_u32 s2, s25, s27
	s_delay_alu instid0(SALU_CYCLE_1)
	s_add_i32 s25, s25, s2
	s_ashr_i32 s2, s5, 31
	s_mul_hi_u32 s25, s23, s25
	s_xor_b32 s27, s35, s2
	v_cmp_gt_f32_e64 s2, v23, v24
	s_mul_i32 s28, s25, s24
	s_delay_alu instid0(VALU_DEP_1)
	v_cndmask_b32_e64 v23, v24, v23, s2
	s_sub_i32 s2, s23, s28
	s_add_i32 s23, s25, 1
	s_sub_i32 s28, s2, s24
	s_cmp_ge_u32 s2, s24
	v_mov_b32_dpp v24, v23 row_xmask:7 row_mask:0xf bank_mask:0xf
	s_cselect_b32 s23, s23, s25
	s_cselect_b32 s2, s28, s2
	s_add_i32 s25, s23, 1
	s_cmp_ge_u32 s2, s24
	s_cselect_b32 s2, s25, s23
	s_delay_alu instid0(SALU_CYCLE_1) | instskip(SKIP_1) | instid1(VALU_DEP_1)
	s_xor_b32 s23, s2, s27
	v_cmp_gt_f32_e64 s2, v23, v24
	v_cndmask_b32_e64 v23, v24, v23, s2
	s_sub_i32 s2, s23, s27
	s_delay_alu instid0(SALU_CYCLE_1) | instskip(SKIP_4) | instid1(SALU_CYCLE_1)
	s_mul_i32 s23, s2, s5
	s_mul_i32 s2, s2, s9
	s_sub_i32 s23, s34, s23
	v_mul_f32_e32 v23, 0x3b124925, v23
	s_mul_i32 s23, s23, s10
	s_add_i32 s24, s23, s2
	s_and_saveexec_b32 s2, s0
	s_cbranch_execz .LBB65_18
; %bb.17:
	s_ashr_i32 s25, s24, 31
	v_mov_b32_e32 v24, 0
	s_lshl_b64 s[28:29], s[24:25], 2
	s_delay_alu instid0(SALU_CYCLE_1)
	s_add_u32 s28, s14, s28
	s_addc_u32 s29, s15, s29
	global_store_b32 v24, v23, s[28:29]
.LBB65_18:
	s_or_b32 exec_lo, exec_lo, s2
	s_and_saveexec_b32 s2, s1
	s_cbranch_execz .LBB65_20
; %bb.19:
	v_rcp_f32_e32 v23, v23
	v_mov_b32_e32 v24, 0xc3e00000
	v_mov_b32_e32 v25, 0x43e00000
	s_mul_i32 s23, s24, s33
	s_mul_hi_i32 s24, s24, s33
	s_add_u32 s36, s12, s23
	s_addc_u32 s23, s13, s24
	s_mov_b32 s39, -1
	s_and_b32 s37, s23, 0xffff
	s_waitcnt_depctr 0xfff
	v_mul_f32_e32 v22, v22, v23
	v_mul_f32_e32 v21, v21, v23
	;; [unrolled: 1-line block ×4, first 2 shown]
	;;#ASMSTART
	v_med3_f32 v21, v21, v24, v25
v_med3_f32 v22, v22, v24, v25
v_cvt_pk_fp8_f32 v26, v21, v22
	;;#ASMEND
	;;#ASMSTART
	v_med3_f32 v19, v19, v24, v25
v_med3_f32 v20, v20, v24, v25
v_cvt_pk_fp8_f32 v21, v19, v20
	;;#ASMEND
	v_perm_b32 v19, v21, v26, 0x5040100
	v_dual_mul_f32 v18, v18, v23 :: v_dual_and_b32 v21, 0xffffff00, v21
	v_mul_f32_e32 v17, v17, v23
	v_mul_f32_e32 v15, v15, v23
	s_delay_alu instid0(VALU_DEP_4) | instskip(NEXT) | instid1(VALU_DEP_1)
	v_lshrrev_b32_e32 v20, 16, v19
	v_and_b32_e32 v20, 0xff, v20
	s_delay_alu instid0(VALU_DEP_1)
	v_or_b32_e32 v20, v20, v21
	v_mul_f32_e32 v16, v16, v23
	;;#ASMSTART
	v_med3_f32 v18, v18, v24, v25
v_med3_f32 v17, v17, v24, v25
v_cvt_pk_fp8_f32 v21, v18, v17
	;;#ASMEND
	;;#ASMSTART
	v_med3_f32 v15, v15, v24, v25
v_med3_f32 v16, v16, v24, v25
v_cvt_pk_fp8_f32 v17, v15, v16
	;;#ASMEND
	v_lshlrev_b32_e32 v15, 16, v17
	v_lshlrev_b32_e32 v17, 16, v20
	s_delay_alu instid0(VALU_DEP_2) | instskip(NEXT) | instid1(VALU_DEP_2)
	v_and_or_b32 v16, 0xffff, v21, v15
	v_and_or_b32 v15, 0xffff, v19, v17
	buffer_store_b64 v[15:16], v13, s[36:39], 0 offen
	;;#ASMSTART
	s_nop 0
	;;#ASMEND
.LBB65_20:
	s_or_b32 exec_lo, exec_lo, s2
	s_cmp_eq_u32 s4, 1
	s_mov_b32 s35, 1
	s_cbranch_scc1 .LBB65_35
.LBB65_21:
	s_abs_i32 s43, s5
	v_mov_b32_e32 v17, 0x43e00000
	v_cvt_f32_u32_e32 v15, s43
	s_sub_i32 s23, 0, s43
	s_ashr_i32 s44, s5, 31
	s_mov_b32 s31, -1
	s_mov_b32 s46, 0x76543210
	v_rcp_iflag_f32_e32 v15, v15
	v_add_nc_u32_e32 v14, 4, v14
	v_mov_b32_e32 v16, 0xc3e00000
	s_waitcnt_depctr 0xfff
	v_mul_f32_e32 v15, 0x4f7ffffe, v15
	s_delay_alu instid0(VALU_DEP_1) | instskip(NEXT) | instid1(VALU_DEP_1)
	v_cvt_u32_f32_e32 v15, v15
	v_readfirstlane_b32 s2, v15
	v_mov_b32_e32 v15, 0
	s_delay_alu instid0(VALU_DEP_2) | instskip(NEXT) | instid1(SALU_CYCLE_1)
	s_mul_i32 s23, s23, s2
	s_mul_hi_u32 s23, s2, s23
	s_delay_alu instid0(SALU_CYCLE_1)
	s_add_i32 s45, s2, s23
	s_branch .LBB65_24
.LBB65_22:                              ;   in Loop: Header=BB65_24 Depth=1
	s_or_b32 exec_lo, exec_lo, s2
.LBB65_23:                              ;   in Loop: Header=BB65_24 Depth=1
	v_add_nc_u32_e32 v14, 4, v14
	s_add_i32 s35, s35, 1
	s_delay_alu instid0(SALU_CYCLE_1)
	s_cmp_eq_u32 s4, s35
	s_cbranch_scc1 .LBB65_35
.LBB65_24:                              ; =>This Inner Loop Header: Depth=1
	s_and_b32 s2, s35, 31
	s_delay_alu instid0(SALU_CYCLE_1)
	s_cmp_lg_u32 s2, 0
	s_cbranch_scc1 .LBB65_26
; %bb.25:                               ;   in Loop: Header=BB65_24 Depth=1
	s_mov_b32 s23, s31
	buffer_load_b32 v8, v14, s[20:23], 0 offen
	s_waitcnt vmcnt(3) expcnt(0) lgkmcnt(55)
.LBB65_26:                              ;   in Loop: Header=BB65_24 Depth=1
	s_waitcnt vmcnt(0)
	v_readlane_b32 s2, v8, s2
	s_delay_alu instid0(VALU_DEP_1)
	s_cmp_lt_i32 s2, 0
	s_cbranch_scc1 .LBB65_23
; %bb.27:                               ;   in Loop: Header=BB65_24 Depth=1
	s_add_i32 s23, s34, s35
	s_delay_alu instid0(SALU_CYCLE_1)
	s_abs_i32 s36, s23
	s_ashr_i32 s37, s23, 31
	s_mul_hi_u32 s24, s36, s42
	s_xor_b32 s27, s37, s41
	s_mul_i32 s25, s24, s11
	s_add_i32 s28, s24, 1
	s_sub_i32 s25, s36, s25
	s_delay_alu instid0(SALU_CYCLE_1)
	s_sub_i32 s29, s25, s11
	s_cmp_ge_u32 s25, s11
	s_cselect_b32 s24, s28, s24
	s_cselect_b32 s25, s29, s25
	s_add_i32 s28, s24, 1
	s_cmp_ge_u32 s25, s11
	s_cselect_b32 s24, s28, s24
	s_delay_alu instid0(SALU_CYCLE_1) | instskip(NEXT) | instid1(SALU_CYCLE_1)
	s_xor_b32 s24, s24, s27
	s_sub_i32 s24, s24, s27
	s_delay_alu instid0(SALU_CYCLE_1) | instskip(SKIP_2) | instid1(SALU_CYCLE_1)
	s_mul_i32 s25, s24, s6
	s_mul_i32 s24, s24, s7
	s_sub_i32 s25, s23, s25
	s_mul_i32 s28, s25, s8
	s_delay_alu instid0(SALU_CYCLE_1) | instskip(NEXT) | instid1(SALU_CYCLE_1)
	s_add_i32 s28, s28, s24
	s_cmp_eq_u32 s28, s40
	s_cbranch_scc1 .LBB65_29
; %bb.28:                               ;   in Loop: Header=BB65_24 Depth=1
	s_mul_hi_i32 s25, s28, s33
	s_mul_i32 s24, s28, s33
	s_mov_b32 s27, s31
	s_lshl_b64 s[24:25], s[24:25], 1
	s_mov_b32 s40, s28
	s_add_u32 s24, s16, s24
	s_addc_u32 s25, s17, s25
	s_delay_alu instid0(SALU_CYCLE_1)
	s_and_b32 s25, s25, 0xffff
	buffer_load_b128 v[0:3], v9, s[24:27], 0 offen
	s_waitcnt vmcnt(0)
	v_lshrrev_b32_e32 v4, 16, v0
	v_and_b32_e32 v0, 0xffff, v0
	v_lshrrev_b32_e32 v5, 16, v1
	v_and_b32_e32 v6, 0xffff, v1
	;; [unrolled: 2-line block ×4, first 2 shown]
	v_cvt_f32_u32_e32 v1, v4
	v_cvt_f32_u32_e32 v0, v0
	;; [unrolled: 1-line block ×8, first 2 shown]
.LBB65_29:                              ;   in Loop: Header=BB65_24 Depth=1
	s_mul_i32 s24, s2, s3
	s_delay_alu instid0(SALU_CYCLE_1) | instskip(NEXT) | instid1(SALU_CYCLE_1)
	s_ashr_i32 s25, s24, 31
	s_lshl_b64 s[24:25], s[24:25], 2
	s_delay_alu instid0(SALU_CYCLE_1) | instskip(SKIP_1) | instid1(SALU_CYCLE_1)
	s_add_u32 s28, s18, s24
	s_addc_u32 s2, s19, s25
	s_and_b32 s29, s2, 0xffff
	s_clause 0x1
	buffer_load_b128 v[18:21], v10, s[28:31], 0 offen
	buffer_load_b128 v[26:29], v10, s[28:31], 16 offen
	s_waitcnt vmcnt(1)
	v_dual_mul_f32 v24, v0, v18 :: v_dual_mul_f32 v25, v1, v19
	v_dual_mul_f32 v22, v2, v20 :: v_dual_mul_f32 v23, v3, v21
	s_waitcnt vmcnt(0)
	v_dual_mul_f32 v21, v4, v26 :: v_dual_mul_f32 v20, v5, v27
	s_delay_alu instid0(VALU_DEP_3) | instskip(SKIP_1) | instid1(VALU_DEP_2)
	v_max3_f32 v18, |v24|, 0x2edbe6ff, |v25|
	v_mul_f32_e32 v19, v7, v29
	v_max3_f32 v26, v18, |v22|, |v23|
	v_mul_f32_e32 v18, v6, v28
	s_delay_alu instid0(VALU_DEP_2) | instskip(NEXT) | instid1(VALU_DEP_1)
	v_max3_f32 v26, v26, |v21|, |v20|
	v_max3_f32 v26, v26, |v18|, |v19|
	s_delay_alu instid0(VALU_DEP_1) | instskip(NEXT) | instid1(VALU_DEP_1)
	v_mov_b32_dpp v27, v26 quad_perm:[1,0,3,2] row_mask:0xf bank_mask:0xf
	v_cmp_gt_f32_e64 s2, v26, v27
	s_delay_alu instid0(VALU_DEP_1) | instskip(NEXT) | instid1(VALU_DEP_1)
	v_cndmask_b32_e64 v26, v27, v26, s2
	v_mov_b32_dpp v27, v26 quad_perm:[2,3,0,1] row_mask:0xf bank_mask:0xf
	s_delay_alu instid0(VALU_DEP_1) | instskip(NEXT) | instid1(VALU_DEP_1)
	v_cmp_gt_f32_e64 s2, v26, v27
	v_cndmask_b32_e64 v26, v27, v26, s2
	s_delay_alu instid0(VALU_DEP_1) | instskip(NEXT) | instid1(VALU_DEP_1)
	v_mov_b32_dpp v27, v26 row_xmask:7 row_mask:0xf bank_mask:0xf
	v_cmp_gt_f32_e64 s2, v26, v27
	s_delay_alu instid0(VALU_DEP_1) | instskip(NEXT) | instid1(VALU_DEP_1)
	v_cndmask_b32_e64 v26, v27, v26, s2
	v_mov_b32_dpp v27, v26 row_xmask:15 row_mask:0xf bank_mask:0xf
	s_delay_alu instid0(VALU_DEP_1)
	v_cmp_gt_f32_e64 s2, v26, v27
	s_and_saveexec_b32 s24, vcc_lo
	s_cbranch_execz .LBB65_31
; %bb.30:                               ;   in Loop: Header=BB65_24 Depth=1
	s_delay_alu instid0(VALU_DEP_1) | instskip(NEXT) | instid1(VALU_DEP_1)
	v_cndmask_b32_e64 v26, v27, v26, s2
	v_permlanex16_b32 v27, v26, s46, 0xfedcba98 op_sel:[1,1]
	s_delay_alu instid0(VALU_DEP_1) | instskip(NEXT) | instid1(VALU_DEP_1)
	v_cmp_gt_f32_e64 s2, v26, v27
	v_cndmask_b32_e64 v26, v27, v26, s2
	ds_store_b32 v11, v26
.LBB65_31:                              ;   in Loop: Header=BB65_24 Depth=1
	s_or_b32 exec_lo, exec_lo, s24
	s_waitcnt lgkmcnt(0)
	s_waitcnt_vscnt null, 0x0
	s_barrier
	buffer_gl0_inv
	ds_load_b32 v26, v12
	s_mul_hi_u32 s24, s36, s45
	s_xor_b32 s27, s37, s44
	s_mul_i32 s25, s24, s43
	s_waitcnt lgkmcnt(0)
	v_mov_b32_dpp v27, v26 quad_perm:[1,0,3,2] row_mask:0xf bank_mask:0xf
	s_delay_alu instid0(VALU_DEP_1) | instskip(NEXT) | instid1(VALU_DEP_1)
	v_cmp_gt_f32_e64 s2, v26, v27
	v_cndmask_b32_e64 v26, v27, v26, s2
	s_sub_i32 s2, s36, s25
	s_add_i32 s25, s24, 1
	s_sub_i32 s28, s2, s43
	s_cmp_ge_u32 s2, s43
	v_mov_b32_dpp v27, v26 quad_perm:[2,3,0,1] row_mask:0xf bank_mask:0xf
	s_cselect_b32 s24, s25, s24
	s_cselect_b32 s25, s28, s2
	s_delay_alu instid0(VALU_DEP_1) | instskip(NEXT) | instid1(VALU_DEP_1)
	v_cmp_gt_f32_e64 s2, v26, v27
	v_cndmask_b32_e64 v26, v27, v26, s2
	s_add_i32 s2, s24, 1
	s_cmp_ge_u32 s25, s43
	s_cselect_b32 s2, s2, s24
	s_delay_alu instid0(VALU_DEP_1) | instskip(SKIP_1) | instid1(SALU_CYCLE_1)
	v_mov_b32_dpp v27, v26 row_xmask:7 row_mask:0xf bank_mask:0xf
	s_xor_b32 s2, s2, s27
	s_sub_i32 s24, s2, s27
	s_delay_alu instid0(VALU_DEP_1) | instskip(NEXT) | instid1(VALU_DEP_1)
	v_cmp_gt_f32_e64 s2, v26, v27
	v_cndmask_b32_e64 v26, v27, v26, s2
	s_mul_i32 s2, s24, s5
	s_mul_i32 s24, s24, s9
	s_sub_i32 s2, s23, s2
	s_delay_alu instid0(VALU_DEP_1) | instskip(SKIP_1) | instid1(SALU_CYCLE_1)
	v_mul_f32_e32 v26, 0x3b124925, v26
	s_mul_i32 s2, s2, s10
	s_add_i32 s24, s2, s24
	s_and_saveexec_b32 s2, s0
	s_cbranch_execz .LBB65_33
; %bb.32:                               ;   in Loop: Header=BB65_24 Depth=1
	s_ashr_i32 s25, s24, 31
	s_delay_alu instid0(SALU_CYCLE_1) | instskip(NEXT) | instid1(SALU_CYCLE_1)
	s_lshl_b64 s[28:29], s[24:25], 2
	s_add_u32 s28, s14, s28
	s_addc_u32 s29, s15, s29
	global_store_b32 v15, v26, s[28:29]
.LBB65_33:                              ;   in Loop: Header=BB65_24 Depth=1
	s_or_b32 exec_lo, exec_lo, s2
	s_and_saveexec_b32 s2, s1
	s_cbranch_execz .LBB65_22
; %bb.34:                               ;   in Loop: Header=BB65_24 Depth=1
	v_rcp_f32_e32 v26, v26
	s_mul_i32 s23, s24, s33
	s_mul_hi_i32 s24, s24, s33
	s_add_u32 s36, s12, s23
	s_addc_u32 s23, s13, s24
	s_mov_b32 s39, s31
	s_and_b32 s37, s23, 0xffff
	s_waitcnt_depctr 0xfff
	v_mul_f32_e32 v24, v24, v26
	v_mul_f32_e32 v25, v25, v26
	;; [unrolled: 1-line block ×4, first 2 shown]
	;;#ASMSTART
	v_med3_f32 v24, v24, v16, v17
v_med3_f32 v25, v25, v16, v17
v_cvt_pk_fp8_f32 v27, v24, v25
	;;#ASMEND
	;;#ASMSTART
	v_med3_f32 v22, v22, v16, v17
v_med3_f32 v23, v23, v16, v17
v_cvt_pk_fp8_f32 v24, v22, v23
	;;#ASMEND
	v_perm_b32 v22, v24, v27, 0x5040100
	v_and_b32_e32 v24, 0xffffff00, v24
	v_mul_f32_e32 v20, v20, v26
	v_mul_f32_e32 v18, v18, v26
	;; [unrolled: 1-line block ×3, first 2 shown]
	v_lshrrev_b32_e32 v23, 16, v22
	s_delay_alu instid0(VALU_DEP_1) | instskip(NEXT) | instid1(VALU_DEP_1)
	v_and_b32_e32 v23, 0xff, v23
	v_or_b32_e32 v23, v23, v24
	v_mul_f32_e32 v21, v21, v26
	;;#ASMSTART
	v_med3_f32 v21, v21, v16, v17
v_med3_f32 v20, v20, v16, v17
v_cvt_pk_fp8_f32 v24, v21, v20
	;;#ASMEND
	;;#ASMSTART
	v_med3_f32 v18, v18, v16, v17
v_med3_f32 v19, v19, v16, v17
v_cvt_pk_fp8_f32 v20, v18, v19
	;;#ASMEND
	v_lshlrev_b32_e32 v18, 16, v20
	v_lshlrev_b32_e32 v20, 16, v23
	s_delay_alu instid0(VALU_DEP_2) | instskip(NEXT) | instid1(VALU_DEP_2)
	v_and_or_b32 v19, 0xffff, v24, v18
	v_and_or_b32 v18, 0xffff, v22, v20
	buffer_store_b64 v[18:19], v13, s[36:39], 0 offen
	;;#ASMSTART
	s_nop 0
	;;#ASMEND
	s_branch .LBB65_22
.LBB65_35:
	s_nop 0
	s_sendmsg sendmsg(MSG_DEALLOC_VGPRS)
	s_endpgm
	.section	.rodata,"a",@progbits
	.p2align	6, 0x0
	.amdhsa_kernel _ZN5aiter36smooth_per_token_scaled_quant_kernelItDB8_Li256ELi8ELb1ELb1ELb0ELi1024EEEvPT0_PfPT_S4_PiS7_iiPKiiiiiiiii
		.amdhsa_group_segment_fixed_size 32
		.amdhsa_private_segment_fixed_size 0
		.amdhsa_kernarg_size 96
		.amdhsa_user_sgpr_count 15
		.amdhsa_user_sgpr_dispatch_ptr 0
		.amdhsa_user_sgpr_queue_ptr 0
		.amdhsa_user_sgpr_kernarg_segment_ptr 1
		.amdhsa_user_sgpr_dispatch_id 0
		.amdhsa_user_sgpr_private_segment_size 0
		.amdhsa_wavefront_size32 1
		.amdhsa_uses_dynamic_stack 0
		.amdhsa_enable_private_segment 0
		.amdhsa_system_sgpr_workgroup_id_x 1
		.amdhsa_system_sgpr_workgroup_id_y 0
		.amdhsa_system_sgpr_workgroup_id_z 0
		.amdhsa_system_sgpr_workgroup_info 0
		.amdhsa_system_vgpr_workitem_id 0
		.amdhsa_next_free_vgpr 30
		.amdhsa_next_free_sgpr 47
		.amdhsa_reserve_vcc 1
		.amdhsa_float_round_mode_32 0
		.amdhsa_float_round_mode_16_64 0
		.amdhsa_float_denorm_mode_32 3
		.amdhsa_float_denorm_mode_16_64 3
		.amdhsa_dx10_clamp 1
		.amdhsa_ieee_mode 1
		.amdhsa_fp16_overflow 0
		.amdhsa_workgroup_processor_mode 1
		.amdhsa_memory_ordered 1
		.amdhsa_forward_progress 0
		.amdhsa_shared_vgpr_count 0
		.amdhsa_exception_fp_ieee_invalid_op 0
		.amdhsa_exception_fp_denorm_src 0
		.amdhsa_exception_fp_ieee_div_zero 0
		.amdhsa_exception_fp_ieee_overflow 0
		.amdhsa_exception_fp_ieee_underflow 0
		.amdhsa_exception_fp_ieee_inexact 0
		.amdhsa_exception_int_div_zero 0
	.end_amdhsa_kernel
	.section	.text._ZN5aiter36smooth_per_token_scaled_quant_kernelItDB8_Li256ELi8ELb1ELb1ELb0ELi1024EEEvPT0_PfPT_S4_PiS7_iiPKiiiiiiiii,"axG",@progbits,_ZN5aiter36smooth_per_token_scaled_quant_kernelItDB8_Li256ELi8ELb1ELb1ELb0ELi1024EEEvPT0_PfPT_S4_PiS7_iiPKiiiiiiiii,comdat
.Lfunc_end65:
	.size	_ZN5aiter36smooth_per_token_scaled_quant_kernelItDB8_Li256ELi8ELb1ELb1ELb0ELi1024EEEvPT0_PfPT_S4_PiS7_iiPKiiiiiiiii, .Lfunc_end65-_ZN5aiter36smooth_per_token_scaled_quant_kernelItDB8_Li256ELi8ELb1ELb1ELb0ELi1024EEEvPT0_PfPT_S4_PiS7_iiPKiiiiiiiii
                                        ; -- End function
	.section	.AMDGPU.csdata,"",@progbits
; Kernel info:
; codeLenInByte = 3364
; NumSgprs: 49
; NumVgprs: 30
; ScratchSize: 0
; MemoryBound: 0
; FloatMode: 240
; IeeeMode: 1
; LDSByteSize: 32 bytes/workgroup (compile time only)
; SGPRBlocks: 6
; VGPRBlocks: 3
; NumSGPRsForWavesPerEU: 49
; NumVGPRsForWavesPerEU: 30
; Occupancy: 16
; WaveLimiterHint : 0
; COMPUTE_PGM_RSRC2:SCRATCH_EN: 0
; COMPUTE_PGM_RSRC2:USER_SGPR: 15
; COMPUTE_PGM_RSRC2:TRAP_HANDLER: 0
; COMPUTE_PGM_RSRC2:TGID_X_EN: 1
; COMPUTE_PGM_RSRC2:TGID_Y_EN: 0
; COMPUTE_PGM_RSRC2:TGID_Z_EN: 0
; COMPUTE_PGM_RSRC2:TIDIG_COMP_CNT: 0
	.section	.text._ZN5aiter36smooth_per_token_scaled_quant_kernelIDF16_DB8_Li256ELi8ELb1ELb0ELb0ELi1024EEEvPT0_PfPT_S4_PiS7_iiPKiiiiiiiii,"axG",@progbits,_ZN5aiter36smooth_per_token_scaled_quant_kernelIDF16_DB8_Li256ELi8ELb1ELb0ELb0ELi1024EEEvPT0_PfPT_S4_PiS7_iiPKiiiiiiiii,comdat
	.protected	_ZN5aiter36smooth_per_token_scaled_quant_kernelIDF16_DB8_Li256ELi8ELb1ELb0ELb0ELi1024EEEvPT0_PfPT_S4_PiS7_iiPKiiiiiiiii ; -- Begin function _ZN5aiter36smooth_per_token_scaled_quant_kernelIDF16_DB8_Li256ELi8ELb1ELb0ELb0ELi1024EEEvPT0_PfPT_S4_PiS7_iiPKiiiiiiiii
	.globl	_ZN5aiter36smooth_per_token_scaled_quant_kernelIDF16_DB8_Li256ELi8ELb1ELb0ELb0ELi1024EEEvPT0_PfPT_S4_PiS7_iiPKiiiiiiiii
	.p2align	8
	.type	_ZN5aiter36smooth_per_token_scaled_quant_kernelIDF16_DB8_Li256ELi8ELb1ELb0ELb0ELi1024EEEvPT0_PfPT_S4_PiS7_iiPKiiiiiiiii,@function
_ZN5aiter36smooth_per_token_scaled_quant_kernelIDF16_DB8_Li256ELi8ELb1ELb0ELb0ELi1024EEEvPT0_PfPT_S4_PiS7_iiPKiiiiiiiii: ; @_ZN5aiter36smooth_per_token_scaled_quant_kernelIDF16_DB8_Li256ELi8ELb1ELb0ELb0ELi1024EEEvPT0_PfPT_S4_PiS7_iiPKiiiiiiiii
; %bb.0:
	s_clause 0x1
	s_load_b64 s[2:3], s[0:1], 0x38
	s_load_b256 s[4:11], s[0:1], 0x40
	s_waitcnt lgkmcnt(0)
	s_cmp_lg_u64 s[2:3], 0
	s_cbranch_scc0 .LBB66_19
; %bb.1:
	s_load_b32 s2, s[2:3], 0x0
	s_waitcnt lgkmcnt(0)
	s_mul_i32 s4, s2, s4
	s_cbranch_execnz .LBB66_3
.LBB66_2:
	s_mul_i32 s4, s6, s5
.LBB66_3:
	s_load_b64 s[2:3], s[0:1], 0x30
	s_abs_i32 s14, s4
	s_waitcnt lgkmcnt(0)
	s_abs_i32 s11, s2
	s_delay_alu instid0(SALU_CYCLE_1) | instskip(SKIP_1) | instid1(VALU_DEP_1)
	v_cvt_f32_u32_e32 v1, s11
	s_sub_i32 s13, 0, s11
	v_rcp_iflag_f32_e32 v1, v1
	s_waitcnt_depctr 0xfff
	v_mul_f32_e32 v1, 0x4f7ffffe, v1
	s_delay_alu instid0(VALU_DEP_1) | instskip(NEXT) | instid1(VALU_DEP_1)
	v_cvt_u32_f32_e32 v1, v1
	v_readfirstlane_b32 s12, v1
	s_delay_alu instid0(VALU_DEP_1) | instskip(NEXT) | instid1(SALU_CYCLE_1)
	s_mul_i32 s13, s13, s12
	s_mul_hi_u32 s13, s12, s13
	s_delay_alu instid0(SALU_CYCLE_1) | instskip(SKIP_4) | instid1(SALU_CYCLE_1)
	s_add_i32 s12, s12, s13
	s_xor_b32 s13, s4, s2
	s_mul_hi_u32 s12, s14, s12
	s_ashr_i32 s13, s13, 31
	s_mul_i32 s16, s12, s11
	s_sub_i32 s14, s14, s16
	s_add_i32 s16, s12, 1
	s_sub_i32 s17, s14, s11
	s_cmp_ge_u32 s14, s11
	s_cselect_b32 s12, s16, s12
	s_cselect_b32 s14, s17, s14
	s_add_i32 s16, s12, 1
	s_cmp_ge_u32 s14, s11
	s_cselect_b32 s11, s16, s12
	s_delay_alu instid0(SALU_CYCLE_1) | instskip(NEXT) | instid1(SALU_CYCLE_1)
	s_xor_b32 s11, s11, s13
	s_sub_i32 s11, s11, s13
	s_mov_b32 s13, 0
	s_mul_i32 s2, s11, s2
	s_delay_alu instid0(SALU_CYCLE_1) | instskip(NEXT) | instid1(SALU_CYCLE_1)
	s_sub_i32 s4, s4, s2
	s_cmp_lt_u32 s15, s4
	s_cselect_b32 s2, -1, 0
	s_add_i32 s12, s11, 1
	s_cmp_ge_u32 s15, s4
	s_cbranch_scc0 .LBB66_5
; %bb.4:
	s_sub_i32 s14, s15, s4
	s_mul_i32 s4, s4, s12
	s_mul_i32 s14, s14, s11
	s_delay_alu instid0(SALU_CYCLE_1)
	s_add_i32 s4, s14, s4
	s_and_not1_b32 vcc_lo, exec_lo, s13
	s_cbranch_vccz .LBB66_6
	s_branch .LBB66_7
.LBB66_5:
                                        ; implicit-def: $sgpr4
.LBB66_6:
	s_mul_i32 s4, s12, s15
.LBB66_7:
	v_cndmask_b32_e64 v1, 0, 1, s2
	s_delay_alu instid0(VALU_DEP_1) | instskip(NEXT) | instid1(VALU_DEP_1)
	v_readfirstlane_b32 s2, v1
	s_add_i32 s11, s11, s2
	s_delay_alu instid0(SALU_CYCLE_1)
	s_cmp_lt_i32 s11, 1
	s_cbranch_scc1 .LBB66_18
; %bb.8:
	s_abs_i32 s34, s6
	s_abs_i32 s35, s5
	v_cvt_f32_u32_e32 v6, s34
	v_cvt_f32_u32_e32 v7, s35
	v_and_b32_e32 v3, 31, v0
	v_lshrrev_b32_e32 v4, 3, v0
	v_and_b32_e32 v5, 7, v0
	v_rcp_iflag_f32_e32 v6, v6
	v_rcp_iflag_f32_e32 v7, v7
	s_load_b256 s[12:19], s[0:1], 0x0
	s_add_i32 s1, s3, 7
	v_lshlrev_b32_e32 v2, 5, v0
	s_ashr_i32 s0, s1, 31
	v_cmp_eq_u32_e32 vcc_lo, 31, v3
	v_and_b32_e32 v3, 0x7c, v4
	v_lshlrev_b32_e32 v4, 2, v5
	s_lshr_b32 s2, s0, 29
	s_waitcnt_depctr 0xfff
	v_mul_f32_e32 v5, 0x4f7ffffe, v6
	v_dual_mul_f32 v6, 0x4f7ffffe, v7 :: v_dual_lshlrev_b32 v1, 4, v0
	s_add_i32 s1, s1, s2
	s_add_i32 s2, s3, 3
	s_mov_b32 s33, s3
	s_lshl_b32 s22, s3, 1
	s_lshl_b32 s26, s3, 2
	s_ashr_i32 s3, s2, 31
	v_cvt_u32_f32_e32 v5, v5
	s_lshr_b32 s3, s3, 30
	v_cvt_u32_f32_e32 v6, v6
	s_add_i32 s2, s2, s3
	s_sub_i32 s3, 0, s34
	s_and_b32 s30, s2, -4
	v_readfirstlane_b32 s2, v5
	v_readfirstlane_b32 s20, v6
	s_sub_i32 s21, 0, s35
	s_ashr_i32 s1, s1, 3
	v_cmp_eq_u32_e64 s0, 0, v0
	s_mul_i32 s3, s3, s2
	s_mul_i32 s21, s21, s20
	s_mul_hi_u32 s3, s2, s3
	v_cmp_gt_u32_e64 s1, s1, v0
	v_dual_mov_b32 v7, 0x43e00000 :: v_dual_lshlrev_b32 v0, 3, v0
	v_dual_mov_b32 v5, 0 :: v_dual_mov_b32 v6, 0xc3e00000
	s_mov_b32 s23, -1
	s_waitcnt lgkmcnt(0)
	s_and_b32 s19, s19, 0xffff
	s_add_i32 s37, s2, s3
	s_mul_hi_u32 s2, s20, s21
	s_mov_b32 s27, s23
	s_ashr_i32 s36, s6, 31
	s_ashr_i32 s38, s5, 31
	s_add_i32 s39, s20, s2
	s_mov_b32 s24, s18
	s_mov_b32 s25, s19
	;; [unrolled: 1-line block ×4, first 2 shown]
                                        ; implicit-def: $vgpr8
                                        ; implicit-def: $vgpr11
                                        ; implicit-def: $vgpr9
                                        ; implicit-def: $vgpr12
                                        ; implicit-def: $vgpr10
                                        ; implicit-def: $vgpr14
                                        ; implicit-def: $vgpr13
                                        ; implicit-def: $vgpr15
	s_branch .LBB66_10
.LBB66_9:                               ;   in Loop: Header=BB66_10 Depth=1
	s_or_b32 exec_lo, exec_lo, s3
	s_add_i32 s11, s11, -1
	s_add_i32 s4, s4, 1
	s_cmp_eq_u32 s11, 0
	s_cbranch_scc1 .LBB66_18
.LBB66_10:                              ; =>This Inner Loop Header: Depth=1
	s_abs_i32 s3, s4
	s_ashr_i32 s28, s4, 31
	s_mul_hi_u32 s2, s3, s37
	s_xor_b32 s21, s28, s36
	s_mul_i32 s20, s2, s34
	s_add_i32 s29, s2, 1
	s_sub_i32 s20, s3, s20
	s_delay_alu instid0(SALU_CYCLE_1)
	s_sub_i32 s31, s20, s34
	s_cmp_ge_u32 s20, s34
	s_cselect_b32 s2, s29, s2
	s_cselect_b32 s20, s31, s20
	s_add_i32 s29, s2, 1
	s_cmp_ge_u32 s20, s34
	s_cselect_b32 s2, s29, s2
	s_delay_alu instid0(SALU_CYCLE_1) | instskip(NEXT) | instid1(SALU_CYCLE_1)
	s_xor_b32 s2, s2, s21
	s_sub_i32 s2, s2, s21
	s_delay_alu instid0(SALU_CYCLE_1) | instskip(SKIP_2) | instid1(SALU_CYCLE_1)
	s_mul_i32 s20, s2, s6
	s_mul_i32 s2, s2, s7
	s_sub_i32 s20, s4, s20
	s_mul_i32 s20, s20, s8
	s_delay_alu instid0(SALU_CYCLE_1) | instskip(NEXT) | instid1(SALU_CYCLE_1)
	s_add_i32 s2, s20, s2
	s_cmp_eq_u32 s2, s19
	s_cbranch_scc1 .LBB66_12
; %bb.11:                               ;   in Loop: Header=BB66_10 Depth=1
	s_mul_hi_i32 s21, s2, s33
	s_mul_i32 s20, s2, s33
	s_delay_alu instid0(SALU_CYCLE_1) | instskip(NEXT) | instid1(SALU_CYCLE_1)
	s_lshl_b64 s[20:21], s[20:21], 1
	s_add_u32 s20, s16, s20
	s_addc_u32 s19, s17, s21
	s_delay_alu instid0(SALU_CYCLE_1)
	s_and_b32 s21, s19, 0xffff
	s_mov_b32 s19, s2
	buffer_load_b128 v[9:12], v1, s[20:23], 0 offen
	s_waitcnt vmcnt(0)
	v_lshrrev_b32_e32 v14, 16, v9
	v_lshrrev_b32_e32 v15, 16, v10
	;; [unrolled: 1-line block ×4, first 2 shown]
	v_cvt_f32_f16_e32 v8, v9
	v_cvt_f32_f16_e32 v9, v10
	;; [unrolled: 1-line block ×8, first 2 shown]
.LBB66_12:                              ;   in Loop: Header=BB66_10 Depth=1
	s_clause 0x1
	buffer_load_b128 v[16:19], v2, s[24:27], 0 offen
	buffer_load_b128 v[24:27], v2, s[24:27], 16 offen
	s_waitcnt vmcnt(1)
	v_dual_mul_f32 v22, v8, v16 :: v_dual_mul_f32 v23, v11, v17
	v_dual_mul_f32 v20, v9, v18 :: v_dual_mul_f32 v21, v12, v19
	s_waitcnt vmcnt(0)
	v_mul_f32_e32 v19, v10, v24
	v_dual_mul_f32 v17, v14, v25 :: v_dual_mul_f32 v18, v15, v27
	v_max3_f32 v16, |v22|, 0x2edbe6ff, |v23|
	s_delay_alu instid0(VALU_DEP_1) | instskip(SKIP_1) | instid1(VALU_DEP_2)
	v_max3_f32 v24, v16, |v20|, |v21|
	v_mul_f32_e32 v16, v13, v26
	v_max3_f32 v24, v24, |v19|, |v17|
	s_delay_alu instid0(VALU_DEP_1) | instskip(NEXT) | instid1(VALU_DEP_1)
	v_max3_f32 v24, v24, |v16|, |v18|
	v_mov_b32_dpp v25, v24 quad_perm:[1,0,3,2] row_mask:0xf bank_mask:0xf
	s_delay_alu instid0(VALU_DEP_1) | instskip(NEXT) | instid1(VALU_DEP_1)
	v_cmp_gt_f32_e64 s2, v24, v25
	v_cndmask_b32_e64 v24, v25, v24, s2
	s_delay_alu instid0(VALU_DEP_1) | instskip(NEXT) | instid1(VALU_DEP_1)
	v_mov_b32_dpp v25, v24 quad_perm:[2,3,0,1] row_mask:0xf bank_mask:0xf
	v_cmp_gt_f32_e64 s2, v24, v25
	s_delay_alu instid0(VALU_DEP_1) | instskip(NEXT) | instid1(VALU_DEP_1)
	v_cndmask_b32_e64 v24, v25, v24, s2
	v_mov_b32_dpp v25, v24 row_xmask:7 row_mask:0xf bank_mask:0xf
	s_delay_alu instid0(VALU_DEP_1) | instskip(NEXT) | instid1(VALU_DEP_1)
	v_cmp_gt_f32_e64 s2, v24, v25
	v_cndmask_b32_e64 v24, v25, v24, s2
	s_delay_alu instid0(VALU_DEP_1) | instskip(NEXT) | instid1(VALU_DEP_1)
	v_mov_b32_dpp v25, v24 row_xmask:15 row_mask:0xf bank_mask:0xf
	v_cmp_gt_f32_e64 s2, v24, v25
	s_and_saveexec_b32 s20, vcc_lo
	s_cbranch_execz .LBB66_14
; %bb.13:                               ;   in Loop: Header=BB66_10 Depth=1
	s_delay_alu instid0(VALU_DEP_1) | instskip(NEXT) | instid1(VALU_DEP_1)
	v_cndmask_b32_e64 v24, v25, v24, s2
	v_permlanex16_b32 v25, v24, s18, 0xfedcba98 op_sel:[1,1]
	s_delay_alu instid0(VALU_DEP_1) | instskip(NEXT) | instid1(VALU_DEP_1)
	v_cmp_gt_f32_e64 s2, v24, v25
	v_cndmask_b32_e64 v24, v25, v24, s2
	ds_store_b32 v3, v24
.LBB66_14:                              ;   in Loop: Header=BB66_10 Depth=1
	s_or_b32 exec_lo, exec_lo, s20
	s_waitcnt lgkmcnt(0)
	s_waitcnt_vscnt null, 0x0
	s_barrier
	buffer_gl0_inv
	ds_load_b32 v24, v4
	s_mul_hi_u32 s20, s3, s39
	s_xor_b32 s28, s28, s38
	s_mul_i32 s21, s20, s35
	s_waitcnt lgkmcnt(0)
	v_mov_b32_dpp v25, v24 quad_perm:[1,0,3,2] row_mask:0xf bank_mask:0xf
	s_delay_alu instid0(VALU_DEP_1) | instskip(NEXT) | instid1(VALU_DEP_1)
	v_cmp_gt_f32_e64 s2, v24, v25
	v_cndmask_b32_e64 v24, v25, v24, s2
	s_sub_i32 s2, s3, s21
	s_add_i32 s3, s20, 1
	s_sub_i32 s21, s2, s35
	s_cmp_ge_u32 s2, s35
	v_mov_b32_dpp v25, v24 quad_perm:[2,3,0,1] row_mask:0xf bank_mask:0xf
	s_cselect_b32 s3, s3, s20
	s_cselect_b32 s20, s21, s2
	s_delay_alu instid0(VALU_DEP_1) | instskip(NEXT) | instid1(VALU_DEP_1)
	v_cmp_gt_f32_e64 s2, v24, v25
	v_cndmask_b32_e64 v24, v25, v24, s2
	s_add_i32 s2, s3, 1
	s_cmp_ge_u32 s20, s35
	s_cselect_b32 s2, s2, s3
	s_delay_alu instid0(VALU_DEP_1) | instskip(SKIP_1) | instid1(SALU_CYCLE_1)
	v_mov_b32_dpp v25, v24 row_xmask:7 row_mask:0xf bank_mask:0xf
	s_xor_b32 s2, s2, s28
	s_sub_i32 s3, s2, s28
	s_delay_alu instid0(VALU_DEP_1) | instskip(NEXT) | instid1(VALU_DEP_1)
	v_cmp_gt_f32_e64 s2, v24, v25
	v_cndmask_b32_e64 v24, v25, v24, s2
	s_mul_i32 s2, s3, s5
	s_mul_i32 s3, s3, s9
	s_sub_i32 s2, s4, s2
	s_delay_alu instid0(VALU_DEP_1) | instskip(SKIP_1) | instid1(SALU_CYCLE_1)
	v_mul_f32_e32 v24, 0x3b124925, v24
	s_mul_i32 s2, s2, s10
	s_add_i32 s2, s2, s3
	s_and_saveexec_b32 s20, s0
	s_cbranch_execz .LBB66_16
; %bb.15:                               ;   in Loop: Header=BB66_10 Depth=1
	s_ashr_i32 s3, s2, 31
	s_delay_alu instid0(SALU_CYCLE_1) | instskip(NEXT) | instid1(SALU_CYCLE_1)
	s_lshl_b64 s[28:29], s[2:3], 2
	s_add_u32 s28, s14, s28
	s_addc_u32 s29, s15, s29
	global_store_b32 v5, v24, s[28:29]
.LBB66_16:                              ;   in Loop: Header=BB66_10 Depth=1
	s_or_b32 exec_lo, exec_lo, s20
	s_and_saveexec_b32 s3, s1
	s_cbranch_execz .LBB66_9
; %bb.17:                               ;   in Loop: Header=BB66_10 Depth=1
	v_rcp_f32_e32 v24, v24
	s_mul_i32 s20, s2, s33
	s_mul_hi_i32 s2, s2, s33
	s_add_u32 s28, s12, s20
	s_addc_u32 s2, s13, s2
	s_mov_b32 s31, s23
	s_and_b32 s29, s2, 0xffff
	s_waitcnt_depctr 0xfff
	v_mul_f32_e32 v22, v22, v24
	v_mul_f32_e32 v23, v23, v24
	;; [unrolled: 1-line block ×4, first 2 shown]
	;;#ASMSTART
	v_med3_f32 v22, v22, v6, v7
v_med3_f32 v23, v23, v6, v7
v_cvt_pk_fp8_f32 v25, v22, v23
	;;#ASMEND
	;;#ASMSTART
	v_med3_f32 v20, v20, v6, v7
v_med3_f32 v21, v21, v6, v7
v_cvt_pk_fp8_f32 v22, v20, v21
	;;#ASMEND
	v_perm_b32 v20, v22, v25, 0x5040100
	v_dual_mul_f32 v17, v17, v24 :: v_dual_and_b32 v22, 0xffffff00, v22
	v_mul_f32_e32 v16, v16, v24
	v_mul_f32_e32 v18, v18, v24
	s_delay_alu instid0(VALU_DEP_4) | instskip(NEXT) | instid1(VALU_DEP_1)
	v_lshrrev_b32_e32 v21, 16, v20
	v_and_b32_e32 v21, 0xff, v21
	s_delay_alu instid0(VALU_DEP_1)
	v_or_b32_e32 v21, v21, v22
	v_mul_f32_e32 v19, v19, v24
	;;#ASMSTART
	v_med3_f32 v19, v19, v6, v7
v_med3_f32 v17, v17, v6, v7
v_cvt_pk_fp8_f32 v22, v19, v17
	;;#ASMEND
	;;#ASMSTART
	v_med3_f32 v16, v16, v6, v7
v_med3_f32 v18, v18, v6, v7
v_cvt_pk_fp8_f32 v17, v16, v18
	;;#ASMEND
	v_lshlrev_b32_e32 v16, 16, v17
	v_lshlrev_b32_e32 v18, 16, v21
	s_delay_alu instid0(VALU_DEP_2) | instskip(NEXT) | instid1(VALU_DEP_2)
	v_and_or_b32 v17, 0xffff, v22, v16
	v_and_or_b32 v16, 0xffff, v20, v18
	buffer_store_b64 v[16:17], v0, s[28:31], 0 offen
	;;#ASMSTART
	s_nop 0
	;;#ASMEND
	s_branch .LBB66_9
.LBB66_18:
	s_nop 0
	s_sendmsg sendmsg(MSG_DEALLOC_VGPRS)
	s_endpgm
.LBB66_19:
                                        ; implicit-def: $sgpr4
	s_branch .LBB66_2
	.section	.rodata,"a",@progbits
	.p2align	6, 0x0
	.amdhsa_kernel _ZN5aiter36smooth_per_token_scaled_quant_kernelIDF16_DB8_Li256ELi8ELb1ELb0ELb0ELi1024EEEvPT0_PfPT_S4_PiS7_iiPKiiiiiiiii
		.amdhsa_group_segment_fixed_size 32
		.amdhsa_private_segment_fixed_size 0
		.amdhsa_kernarg_size 96
		.amdhsa_user_sgpr_count 15
		.amdhsa_user_sgpr_dispatch_ptr 0
		.amdhsa_user_sgpr_queue_ptr 0
		.amdhsa_user_sgpr_kernarg_segment_ptr 1
		.amdhsa_user_sgpr_dispatch_id 0
		.amdhsa_user_sgpr_private_segment_size 0
		.amdhsa_wavefront_size32 1
		.amdhsa_uses_dynamic_stack 0
		.amdhsa_enable_private_segment 0
		.amdhsa_system_sgpr_workgroup_id_x 1
		.amdhsa_system_sgpr_workgroup_id_y 0
		.amdhsa_system_sgpr_workgroup_id_z 0
		.amdhsa_system_sgpr_workgroup_info 0
		.amdhsa_system_vgpr_workitem_id 0
		.amdhsa_next_free_vgpr 28
		.amdhsa_next_free_sgpr 40
		.amdhsa_reserve_vcc 1
		.amdhsa_float_round_mode_32 0
		.amdhsa_float_round_mode_16_64 0
		.amdhsa_float_denorm_mode_32 3
		.amdhsa_float_denorm_mode_16_64 3
		.amdhsa_dx10_clamp 1
		.amdhsa_ieee_mode 1
		.amdhsa_fp16_overflow 0
		.amdhsa_workgroup_processor_mode 1
		.amdhsa_memory_ordered 1
		.amdhsa_forward_progress 0
		.amdhsa_shared_vgpr_count 0
		.amdhsa_exception_fp_ieee_invalid_op 0
		.amdhsa_exception_fp_denorm_src 0
		.amdhsa_exception_fp_ieee_div_zero 0
		.amdhsa_exception_fp_ieee_overflow 0
		.amdhsa_exception_fp_ieee_underflow 0
		.amdhsa_exception_fp_ieee_inexact 0
		.amdhsa_exception_int_div_zero 0
	.end_amdhsa_kernel
	.section	.text._ZN5aiter36smooth_per_token_scaled_quant_kernelIDF16_DB8_Li256ELi8ELb1ELb0ELb0ELi1024EEEvPT0_PfPT_S4_PiS7_iiPKiiiiiiiii,"axG",@progbits,_ZN5aiter36smooth_per_token_scaled_quant_kernelIDF16_DB8_Li256ELi8ELb1ELb0ELb0ELi1024EEEvPT0_PfPT_S4_PiS7_iiPKiiiiiiiii,comdat
.Lfunc_end66:
	.size	_ZN5aiter36smooth_per_token_scaled_quant_kernelIDF16_DB8_Li256ELi8ELb1ELb0ELb0ELi1024EEEvPT0_PfPT_S4_PiS7_iiPKiiiiiiiii, .Lfunc_end66-_ZN5aiter36smooth_per_token_scaled_quant_kernelIDF16_DB8_Li256ELi8ELb1ELb0ELb0ELi1024EEEvPT0_PfPT_S4_PiS7_iiPKiiiiiiiii
                                        ; -- End function
	.section	.AMDGPU.csdata,"",@progbits
; Kernel info:
; codeLenInByte = 1780
; NumSgprs: 42
; NumVgprs: 28
; ScratchSize: 0
; MemoryBound: 0
; FloatMode: 240
; IeeeMode: 1
; LDSByteSize: 32 bytes/workgroup (compile time only)
; SGPRBlocks: 5
; VGPRBlocks: 3
; NumSGPRsForWavesPerEU: 42
; NumVGPRsForWavesPerEU: 28
; Occupancy: 16
; WaveLimiterHint : 0
; COMPUTE_PGM_RSRC2:SCRATCH_EN: 0
; COMPUTE_PGM_RSRC2:USER_SGPR: 15
; COMPUTE_PGM_RSRC2:TRAP_HANDLER: 0
; COMPUTE_PGM_RSRC2:TGID_X_EN: 1
; COMPUTE_PGM_RSRC2:TGID_Y_EN: 0
; COMPUTE_PGM_RSRC2:TGID_Z_EN: 0
; COMPUTE_PGM_RSRC2:TIDIG_COMP_CNT: 0
	.section	.text._ZN5aiter36smooth_per_token_scaled_quant_kernelItDB8_Li256ELi8ELb1ELb0ELb0ELi1024EEEvPT0_PfPT_S4_PiS7_iiPKiiiiiiiii,"axG",@progbits,_ZN5aiter36smooth_per_token_scaled_quant_kernelItDB8_Li256ELi8ELb1ELb0ELb0ELi1024EEEvPT0_PfPT_S4_PiS7_iiPKiiiiiiiii,comdat
	.protected	_ZN5aiter36smooth_per_token_scaled_quant_kernelItDB8_Li256ELi8ELb1ELb0ELb0ELi1024EEEvPT0_PfPT_S4_PiS7_iiPKiiiiiiiii ; -- Begin function _ZN5aiter36smooth_per_token_scaled_quant_kernelItDB8_Li256ELi8ELb1ELb0ELb0ELi1024EEEvPT0_PfPT_S4_PiS7_iiPKiiiiiiiii
	.globl	_ZN5aiter36smooth_per_token_scaled_quant_kernelItDB8_Li256ELi8ELb1ELb0ELb0ELi1024EEEvPT0_PfPT_S4_PiS7_iiPKiiiiiiiii
	.p2align	8
	.type	_ZN5aiter36smooth_per_token_scaled_quant_kernelItDB8_Li256ELi8ELb1ELb0ELb0ELi1024EEEvPT0_PfPT_S4_PiS7_iiPKiiiiiiiii,@function
_ZN5aiter36smooth_per_token_scaled_quant_kernelItDB8_Li256ELi8ELb1ELb0ELb0ELi1024EEEvPT0_PfPT_S4_PiS7_iiPKiiiiiiiii: ; @_ZN5aiter36smooth_per_token_scaled_quant_kernelItDB8_Li256ELi8ELb1ELb0ELb0ELi1024EEEvPT0_PfPT_S4_PiS7_iiPKiiiiiiiii
; %bb.0:
	s_clause 0x1
	s_load_b64 s[2:3], s[0:1], 0x38
	s_load_b256 s[4:11], s[0:1], 0x40
	s_waitcnt lgkmcnt(0)
	s_cmp_lg_u64 s[2:3], 0
	s_cbranch_scc0 .LBB67_19
; %bb.1:
	s_load_b32 s2, s[2:3], 0x0
	s_waitcnt lgkmcnt(0)
	s_mul_i32 s4, s2, s4
	s_cbranch_execnz .LBB67_3
.LBB67_2:
	s_mul_i32 s4, s6, s5
.LBB67_3:
	s_load_b64 s[2:3], s[0:1], 0x30
	s_abs_i32 s14, s4
	s_waitcnt lgkmcnt(0)
	s_abs_i32 s11, s2
	s_delay_alu instid0(SALU_CYCLE_1) | instskip(SKIP_1) | instid1(VALU_DEP_1)
	v_cvt_f32_u32_e32 v1, s11
	s_sub_i32 s13, 0, s11
	v_rcp_iflag_f32_e32 v1, v1
	s_waitcnt_depctr 0xfff
	v_mul_f32_e32 v1, 0x4f7ffffe, v1
	s_delay_alu instid0(VALU_DEP_1) | instskip(NEXT) | instid1(VALU_DEP_1)
	v_cvt_u32_f32_e32 v1, v1
	v_readfirstlane_b32 s12, v1
	s_delay_alu instid0(VALU_DEP_1) | instskip(NEXT) | instid1(SALU_CYCLE_1)
	s_mul_i32 s13, s13, s12
	s_mul_hi_u32 s13, s12, s13
	s_delay_alu instid0(SALU_CYCLE_1) | instskip(SKIP_4) | instid1(SALU_CYCLE_1)
	s_add_i32 s12, s12, s13
	s_xor_b32 s13, s4, s2
	s_mul_hi_u32 s12, s14, s12
	s_ashr_i32 s13, s13, 31
	s_mul_i32 s16, s12, s11
	s_sub_i32 s14, s14, s16
	s_add_i32 s16, s12, 1
	s_sub_i32 s17, s14, s11
	s_cmp_ge_u32 s14, s11
	s_cselect_b32 s12, s16, s12
	s_cselect_b32 s14, s17, s14
	s_add_i32 s16, s12, 1
	s_cmp_ge_u32 s14, s11
	s_cselect_b32 s11, s16, s12
	s_delay_alu instid0(SALU_CYCLE_1) | instskip(NEXT) | instid1(SALU_CYCLE_1)
	s_xor_b32 s11, s11, s13
	s_sub_i32 s11, s11, s13
	s_mov_b32 s13, 0
	s_mul_i32 s2, s11, s2
	s_delay_alu instid0(SALU_CYCLE_1) | instskip(NEXT) | instid1(SALU_CYCLE_1)
	s_sub_i32 s4, s4, s2
	s_cmp_lt_u32 s15, s4
	s_cselect_b32 s2, -1, 0
	s_add_i32 s12, s11, 1
	s_cmp_ge_u32 s15, s4
	s_cbranch_scc0 .LBB67_5
; %bb.4:
	s_sub_i32 s14, s15, s4
	s_mul_i32 s4, s4, s12
	s_mul_i32 s14, s14, s11
	s_delay_alu instid0(SALU_CYCLE_1)
	s_add_i32 s4, s14, s4
	s_and_not1_b32 vcc_lo, exec_lo, s13
	s_cbranch_vccz .LBB67_6
	s_branch .LBB67_7
.LBB67_5:
                                        ; implicit-def: $sgpr4
.LBB67_6:
	s_mul_i32 s4, s12, s15
.LBB67_7:
	v_cndmask_b32_e64 v1, 0, 1, s2
	s_delay_alu instid0(VALU_DEP_1) | instskip(NEXT) | instid1(VALU_DEP_1)
	v_readfirstlane_b32 s2, v1
	s_add_i32 s11, s11, s2
	s_delay_alu instid0(SALU_CYCLE_1)
	s_cmp_lt_i32 s11, 1
	s_cbranch_scc1 .LBB67_18
; %bb.8:
	s_abs_i32 s34, s6
	s_abs_i32 s35, s5
	v_cvt_f32_u32_e32 v6, s34
	v_cvt_f32_u32_e32 v7, s35
	v_and_b32_e32 v3, 31, v0
	v_lshrrev_b32_e32 v4, 3, v0
	v_and_b32_e32 v5, 7, v0
	v_rcp_iflag_f32_e32 v6, v6
	v_rcp_iflag_f32_e32 v7, v7
	s_load_b256 s[12:19], s[0:1], 0x0
	s_add_i32 s1, s3, 7
	v_lshlrev_b32_e32 v2, 5, v0
	s_ashr_i32 s0, s1, 31
	v_cmp_eq_u32_e32 vcc_lo, 31, v3
	v_and_b32_e32 v3, 0x7c, v4
	v_lshlrev_b32_e32 v4, 2, v5
	s_lshr_b32 s2, s0, 29
	s_waitcnt_depctr 0xfff
	v_mul_f32_e32 v5, 0x4f7ffffe, v6
	v_dual_mul_f32 v6, 0x4f7ffffe, v7 :: v_dual_lshlrev_b32 v1, 4, v0
	s_add_i32 s1, s1, s2
	s_add_i32 s2, s3, 3
	s_mov_b32 s33, s3
	s_lshl_b32 s22, s3, 1
	s_lshl_b32 s26, s3, 2
	s_ashr_i32 s3, s2, 31
	v_cvt_u32_f32_e32 v5, v5
	s_lshr_b32 s3, s3, 30
	v_cvt_u32_f32_e32 v6, v6
	s_add_i32 s2, s2, s3
	s_sub_i32 s3, 0, s34
	s_and_b32 s30, s2, -4
	v_readfirstlane_b32 s2, v5
	v_readfirstlane_b32 s20, v6
	s_sub_i32 s21, 0, s35
	s_ashr_i32 s1, s1, 3
	v_cmp_eq_u32_e64 s0, 0, v0
	s_mul_i32 s3, s3, s2
	s_mul_i32 s21, s21, s20
	s_mul_hi_u32 s3, s2, s3
	v_cmp_gt_u32_e64 s1, s1, v0
	v_dual_mov_b32 v7, 0x43e00000 :: v_dual_lshlrev_b32 v0, 3, v0
	v_dual_mov_b32 v5, 0 :: v_dual_mov_b32 v6, 0xc3e00000
	s_mov_b32 s23, -1
	s_waitcnt lgkmcnt(0)
	s_and_b32 s19, s19, 0xffff
	s_add_i32 s37, s2, s3
	s_mul_hi_u32 s2, s20, s21
	s_mov_b32 s27, s23
	s_ashr_i32 s36, s6, 31
	s_ashr_i32 s38, s5, 31
	s_add_i32 s39, s20, s2
	s_mov_b32 s24, s18
	s_mov_b32 s25, s19
	;; [unrolled: 1-line block ×4, first 2 shown]
                                        ; implicit-def: $vgpr8
                                        ; implicit-def: $vgpr9
                                        ; implicit-def: $vgpr10
                                        ; implicit-def: $vgpr11
                                        ; implicit-def: $vgpr12
                                        ; implicit-def: $vgpr13
                                        ; implicit-def: $vgpr14
                                        ; implicit-def: $vgpr15
	s_branch .LBB67_10
.LBB67_9:                               ;   in Loop: Header=BB67_10 Depth=1
	s_or_b32 exec_lo, exec_lo, s3
	s_add_i32 s11, s11, -1
	s_add_i32 s4, s4, 1
	s_cmp_eq_u32 s11, 0
	s_cbranch_scc1 .LBB67_18
.LBB67_10:                              ; =>This Inner Loop Header: Depth=1
	s_abs_i32 s3, s4
	s_ashr_i32 s28, s4, 31
	s_mul_hi_u32 s2, s3, s37
	s_xor_b32 s21, s28, s36
	s_mul_i32 s20, s2, s34
	s_add_i32 s29, s2, 1
	s_sub_i32 s20, s3, s20
	s_delay_alu instid0(SALU_CYCLE_1)
	s_sub_i32 s31, s20, s34
	s_cmp_ge_u32 s20, s34
	s_cselect_b32 s2, s29, s2
	s_cselect_b32 s20, s31, s20
	s_add_i32 s29, s2, 1
	s_cmp_ge_u32 s20, s34
	s_cselect_b32 s2, s29, s2
	s_delay_alu instid0(SALU_CYCLE_1) | instskip(NEXT) | instid1(SALU_CYCLE_1)
	s_xor_b32 s2, s2, s21
	s_sub_i32 s2, s2, s21
	s_delay_alu instid0(SALU_CYCLE_1) | instskip(SKIP_2) | instid1(SALU_CYCLE_1)
	s_mul_i32 s20, s2, s6
	s_mul_i32 s2, s2, s7
	s_sub_i32 s20, s4, s20
	s_mul_i32 s20, s20, s8
	s_delay_alu instid0(SALU_CYCLE_1) | instskip(NEXT) | instid1(SALU_CYCLE_1)
	s_add_i32 s2, s20, s2
	s_cmp_eq_u32 s2, s19
	s_cbranch_scc1 .LBB67_12
; %bb.11:                               ;   in Loop: Header=BB67_10 Depth=1
	s_mul_hi_i32 s21, s2, s33
	s_mul_i32 s20, s2, s33
	s_delay_alu instid0(SALU_CYCLE_1) | instskip(NEXT) | instid1(SALU_CYCLE_1)
	s_lshl_b64 s[20:21], s[20:21], 1
	s_add_u32 s20, s16, s20
	s_addc_u32 s19, s17, s21
	s_delay_alu instid0(SALU_CYCLE_1)
	s_and_b32 s21, s19, 0xffff
	s_mov_b32 s19, s2
	buffer_load_b128 v[8:11], v1, s[20:23], 0 offen
	s_waitcnt vmcnt(0)
	v_and_b32_e32 v12, 0xffff, v8
	v_lshrrev_b32_e32 v13, 16, v8
	v_and_b32_e32 v14, 0xffff, v9
	v_lshrrev_b32_e32 v15, 16, v9
	;; [unrolled: 2-line block ×4, first 2 shown]
	v_cvt_f32_u32_e32 v8, v12
	v_cvt_f32_u32_e32 v9, v13
	;; [unrolled: 1-line block ×8, first 2 shown]
.LBB67_12:                              ;   in Loop: Header=BB67_10 Depth=1
	s_clause 0x1
	buffer_load_b128 v[16:19], v2, s[24:27], 0 offen
	buffer_load_b128 v[24:27], v2, s[24:27], 16 offen
	s_waitcnt vmcnt(1)
	v_dual_mul_f32 v22, v8, v16 :: v_dual_mul_f32 v23, v9, v17
	v_dual_mul_f32 v20, v10, v18 :: v_dual_mul_f32 v21, v11, v19
	s_waitcnt vmcnt(0)
	v_mul_f32_e32 v19, v12, v24
	v_dual_mul_f32 v17, v13, v25 :: v_dual_mul_f32 v18, v15, v27
	v_max3_f32 v16, |v22|, 0x2edbe6ff, |v23|
	s_delay_alu instid0(VALU_DEP_1) | instskip(SKIP_1) | instid1(VALU_DEP_2)
	v_max3_f32 v24, v16, |v20|, |v21|
	v_mul_f32_e32 v16, v14, v26
	v_max3_f32 v24, v24, |v19|, |v17|
	s_delay_alu instid0(VALU_DEP_1) | instskip(NEXT) | instid1(VALU_DEP_1)
	v_max3_f32 v24, v24, |v16|, |v18|
	v_mov_b32_dpp v25, v24 quad_perm:[1,0,3,2] row_mask:0xf bank_mask:0xf
	s_delay_alu instid0(VALU_DEP_1) | instskip(NEXT) | instid1(VALU_DEP_1)
	v_cmp_gt_f32_e64 s2, v24, v25
	v_cndmask_b32_e64 v24, v25, v24, s2
	s_delay_alu instid0(VALU_DEP_1) | instskip(NEXT) | instid1(VALU_DEP_1)
	v_mov_b32_dpp v25, v24 quad_perm:[2,3,0,1] row_mask:0xf bank_mask:0xf
	v_cmp_gt_f32_e64 s2, v24, v25
	s_delay_alu instid0(VALU_DEP_1) | instskip(NEXT) | instid1(VALU_DEP_1)
	v_cndmask_b32_e64 v24, v25, v24, s2
	v_mov_b32_dpp v25, v24 row_xmask:7 row_mask:0xf bank_mask:0xf
	s_delay_alu instid0(VALU_DEP_1) | instskip(NEXT) | instid1(VALU_DEP_1)
	v_cmp_gt_f32_e64 s2, v24, v25
	v_cndmask_b32_e64 v24, v25, v24, s2
	s_delay_alu instid0(VALU_DEP_1) | instskip(NEXT) | instid1(VALU_DEP_1)
	v_mov_b32_dpp v25, v24 row_xmask:15 row_mask:0xf bank_mask:0xf
	v_cmp_gt_f32_e64 s2, v24, v25
	s_and_saveexec_b32 s20, vcc_lo
	s_cbranch_execz .LBB67_14
; %bb.13:                               ;   in Loop: Header=BB67_10 Depth=1
	s_delay_alu instid0(VALU_DEP_1) | instskip(NEXT) | instid1(VALU_DEP_1)
	v_cndmask_b32_e64 v24, v25, v24, s2
	v_permlanex16_b32 v25, v24, s18, 0xfedcba98 op_sel:[1,1]
	s_delay_alu instid0(VALU_DEP_1) | instskip(NEXT) | instid1(VALU_DEP_1)
	v_cmp_gt_f32_e64 s2, v24, v25
	v_cndmask_b32_e64 v24, v25, v24, s2
	ds_store_b32 v3, v24
.LBB67_14:                              ;   in Loop: Header=BB67_10 Depth=1
	s_or_b32 exec_lo, exec_lo, s20
	s_waitcnt lgkmcnt(0)
	s_waitcnt_vscnt null, 0x0
	s_barrier
	buffer_gl0_inv
	ds_load_b32 v24, v4
	s_mul_hi_u32 s20, s3, s39
	s_xor_b32 s28, s28, s38
	s_mul_i32 s21, s20, s35
	s_waitcnt lgkmcnt(0)
	v_mov_b32_dpp v25, v24 quad_perm:[1,0,3,2] row_mask:0xf bank_mask:0xf
	s_delay_alu instid0(VALU_DEP_1) | instskip(NEXT) | instid1(VALU_DEP_1)
	v_cmp_gt_f32_e64 s2, v24, v25
	v_cndmask_b32_e64 v24, v25, v24, s2
	s_sub_i32 s2, s3, s21
	s_add_i32 s3, s20, 1
	s_sub_i32 s21, s2, s35
	s_cmp_ge_u32 s2, s35
	v_mov_b32_dpp v25, v24 quad_perm:[2,3,0,1] row_mask:0xf bank_mask:0xf
	s_cselect_b32 s3, s3, s20
	s_cselect_b32 s20, s21, s2
	s_delay_alu instid0(VALU_DEP_1) | instskip(NEXT) | instid1(VALU_DEP_1)
	v_cmp_gt_f32_e64 s2, v24, v25
	v_cndmask_b32_e64 v24, v25, v24, s2
	s_add_i32 s2, s3, 1
	s_cmp_ge_u32 s20, s35
	s_cselect_b32 s2, s2, s3
	s_delay_alu instid0(VALU_DEP_1) | instskip(SKIP_1) | instid1(SALU_CYCLE_1)
	v_mov_b32_dpp v25, v24 row_xmask:7 row_mask:0xf bank_mask:0xf
	s_xor_b32 s2, s2, s28
	s_sub_i32 s3, s2, s28
	s_delay_alu instid0(VALU_DEP_1) | instskip(NEXT) | instid1(VALU_DEP_1)
	v_cmp_gt_f32_e64 s2, v24, v25
	v_cndmask_b32_e64 v24, v25, v24, s2
	s_mul_i32 s2, s3, s5
	s_mul_i32 s3, s3, s9
	s_sub_i32 s2, s4, s2
	s_delay_alu instid0(VALU_DEP_1) | instskip(SKIP_1) | instid1(SALU_CYCLE_1)
	v_mul_f32_e32 v24, 0x3b124925, v24
	s_mul_i32 s2, s2, s10
	s_add_i32 s2, s2, s3
	s_and_saveexec_b32 s20, s0
	s_cbranch_execz .LBB67_16
; %bb.15:                               ;   in Loop: Header=BB67_10 Depth=1
	s_ashr_i32 s3, s2, 31
	s_delay_alu instid0(SALU_CYCLE_1) | instskip(NEXT) | instid1(SALU_CYCLE_1)
	s_lshl_b64 s[28:29], s[2:3], 2
	s_add_u32 s28, s14, s28
	s_addc_u32 s29, s15, s29
	global_store_b32 v5, v24, s[28:29]
.LBB67_16:                              ;   in Loop: Header=BB67_10 Depth=1
	s_or_b32 exec_lo, exec_lo, s20
	s_and_saveexec_b32 s3, s1
	s_cbranch_execz .LBB67_9
; %bb.17:                               ;   in Loop: Header=BB67_10 Depth=1
	v_rcp_f32_e32 v24, v24
	s_mul_i32 s20, s2, s33
	s_mul_hi_i32 s2, s2, s33
	s_add_u32 s28, s12, s20
	s_addc_u32 s2, s13, s2
	s_mov_b32 s31, s23
	s_and_b32 s29, s2, 0xffff
	s_waitcnt_depctr 0xfff
	v_mul_f32_e32 v22, v22, v24
	v_mul_f32_e32 v23, v23, v24
	;; [unrolled: 1-line block ×4, first 2 shown]
	;;#ASMSTART
	v_med3_f32 v22, v22, v6, v7
v_med3_f32 v23, v23, v6, v7
v_cvt_pk_fp8_f32 v25, v22, v23
	;;#ASMEND
	;;#ASMSTART
	v_med3_f32 v20, v20, v6, v7
v_med3_f32 v21, v21, v6, v7
v_cvt_pk_fp8_f32 v22, v20, v21
	;;#ASMEND
	v_perm_b32 v20, v22, v25, 0x5040100
	v_dual_mul_f32 v17, v17, v24 :: v_dual_and_b32 v22, 0xffffff00, v22
	v_mul_f32_e32 v16, v16, v24
	v_mul_f32_e32 v18, v18, v24
	s_delay_alu instid0(VALU_DEP_4) | instskip(NEXT) | instid1(VALU_DEP_1)
	v_lshrrev_b32_e32 v21, 16, v20
	v_and_b32_e32 v21, 0xff, v21
	s_delay_alu instid0(VALU_DEP_1)
	v_or_b32_e32 v21, v21, v22
	v_mul_f32_e32 v19, v19, v24
	;;#ASMSTART
	v_med3_f32 v19, v19, v6, v7
v_med3_f32 v17, v17, v6, v7
v_cvt_pk_fp8_f32 v22, v19, v17
	;;#ASMEND
	;;#ASMSTART
	v_med3_f32 v16, v16, v6, v7
v_med3_f32 v18, v18, v6, v7
v_cvt_pk_fp8_f32 v17, v16, v18
	;;#ASMEND
	v_lshlrev_b32_e32 v16, 16, v17
	v_lshlrev_b32_e32 v18, 16, v21
	s_delay_alu instid0(VALU_DEP_2) | instskip(NEXT) | instid1(VALU_DEP_2)
	v_and_or_b32 v17, 0xffff, v22, v16
	v_and_or_b32 v16, 0xffff, v20, v18
	buffer_store_b64 v[16:17], v0, s[28:31], 0 offen
	;;#ASMSTART
	s_nop 0
	;;#ASMEND
	s_branch .LBB67_9
.LBB67_18:
	s_nop 0
	s_sendmsg sendmsg(MSG_DEALLOC_VGPRS)
	s_endpgm
.LBB67_19:
                                        ; implicit-def: $sgpr4
	s_branch .LBB67_2
	.section	.rodata,"a",@progbits
	.p2align	6, 0x0
	.amdhsa_kernel _ZN5aiter36smooth_per_token_scaled_quant_kernelItDB8_Li256ELi8ELb1ELb0ELb0ELi1024EEEvPT0_PfPT_S4_PiS7_iiPKiiiiiiiii
		.amdhsa_group_segment_fixed_size 32
		.amdhsa_private_segment_fixed_size 0
		.amdhsa_kernarg_size 96
		.amdhsa_user_sgpr_count 15
		.amdhsa_user_sgpr_dispatch_ptr 0
		.amdhsa_user_sgpr_queue_ptr 0
		.amdhsa_user_sgpr_kernarg_segment_ptr 1
		.amdhsa_user_sgpr_dispatch_id 0
		.amdhsa_user_sgpr_private_segment_size 0
		.amdhsa_wavefront_size32 1
		.amdhsa_uses_dynamic_stack 0
		.amdhsa_enable_private_segment 0
		.amdhsa_system_sgpr_workgroup_id_x 1
		.amdhsa_system_sgpr_workgroup_id_y 0
		.amdhsa_system_sgpr_workgroup_id_z 0
		.amdhsa_system_sgpr_workgroup_info 0
		.amdhsa_system_vgpr_workitem_id 0
		.amdhsa_next_free_vgpr 28
		.amdhsa_next_free_sgpr 40
		.amdhsa_reserve_vcc 1
		.amdhsa_float_round_mode_32 0
		.amdhsa_float_round_mode_16_64 0
		.amdhsa_float_denorm_mode_32 3
		.amdhsa_float_denorm_mode_16_64 3
		.amdhsa_dx10_clamp 1
		.amdhsa_ieee_mode 1
		.amdhsa_fp16_overflow 0
		.amdhsa_workgroup_processor_mode 1
		.amdhsa_memory_ordered 1
		.amdhsa_forward_progress 0
		.amdhsa_shared_vgpr_count 0
		.amdhsa_exception_fp_ieee_invalid_op 0
		.amdhsa_exception_fp_denorm_src 0
		.amdhsa_exception_fp_ieee_div_zero 0
		.amdhsa_exception_fp_ieee_overflow 0
		.amdhsa_exception_fp_ieee_underflow 0
		.amdhsa_exception_fp_ieee_inexact 0
		.amdhsa_exception_int_div_zero 0
	.end_amdhsa_kernel
	.section	.text._ZN5aiter36smooth_per_token_scaled_quant_kernelItDB8_Li256ELi8ELb1ELb0ELb0ELi1024EEEvPT0_PfPT_S4_PiS7_iiPKiiiiiiiii,"axG",@progbits,_ZN5aiter36smooth_per_token_scaled_quant_kernelItDB8_Li256ELi8ELb1ELb0ELb0ELi1024EEEvPT0_PfPT_S4_PiS7_iiPKiiiiiiiii,comdat
.Lfunc_end67:
	.size	_ZN5aiter36smooth_per_token_scaled_quant_kernelItDB8_Li256ELi8ELb1ELb0ELb0ELi1024EEEvPT0_PfPT_S4_PiS7_iiPKiiiiiiiii, .Lfunc_end67-_ZN5aiter36smooth_per_token_scaled_quant_kernelItDB8_Li256ELi8ELb1ELb0ELb0ELi1024EEEvPT0_PfPT_S4_PiS7_iiPKiiiiiiiii
                                        ; -- End function
	.section	.AMDGPU.csdata,"",@progbits
; Kernel info:
; codeLenInByte = 1812
; NumSgprs: 42
; NumVgprs: 28
; ScratchSize: 0
; MemoryBound: 0
; FloatMode: 240
; IeeeMode: 1
; LDSByteSize: 32 bytes/workgroup (compile time only)
; SGPRBlocks: 5
; VGPRBlocks: 3
; NumSGPRsForWavesPerEU: 42
; NumVGPRsForWavesPerEU: 28
; Occupancy: 16
; WaveLimiterHint : 0
; COMPUTE_PGM_RSRC2:SCRATCH_EN: 0
; COMPUTE_PGM_RSRC2:USER_SGPR: 15
; COMPUTE_PGM_RSRC2:TRAP_HANDLER: 0
; COMPUTE_PGM_RSRC2:TGID_X_EN: 1
; COMPUTE_PGM_RSRC2:TGID_Y_EN: 0
; COMPUTE_PGM_RSRC2:TGID_Z_EN: 0
; COMPUTE_PGM_RSRC2:TIDIG_COMP_CNT: 0
	.section	.text._ZN5aiter36smooth_per_token_scaled_quant_kernelIDF16_DB8_Li256ELi8ELb0ELb1ELb1ELi1024EEEvPT0_PfPT_S4_PiS7_iiPKiiiiiiiii,"axG",@progbits,_ZN5aiter36smooth_per_token_scaled_quant_kernelIDF16_DB8_Li256ELi8ELb0ELb1ELb1ELi1024EEEvPT0_PfPT_S4_PiS7_iiPKiiiiiiiii,comdat
	.protected	_ZN5aiter36smooth_per_token_scaled_quant_kernelIDF16_DB8_Li256ELi8ELb0ELb1ELb1ELi1024EEEvPT0_PfPT_S4_PiS7_iiPKiiiiiiiii ; -- Begin function _ZN5aiter36smooth_per_token_scaled_quant_kernelIDF16_DB8_Li256ELi8ELb0ELb1ELb1ELi1024EEEvPT0_PfPT_S4_PiS7_iiPKiiiiiiiii
	.globl	_ZN5aiter36smooth_per_token_scaled_quant_kernelIDF16_DB8_Li256ELi8ELb0ELb1ELb1ELi1024EEEvPT0_PfPT_S4_PiS7_iiPKiiiiiiiii
	.p2align	8
	.type	_ZN5aiter36smooth_per_token_scaled_quant_kernelIDF16_DB8_Li256ELi8ELb0ELb1ELb1ELi1024EEEvPT0_PfPT_S4_PiS7_iiPKiiiiiiiii,@function
_ZN5aiter36smooth_per_token_scaled_quant_kernelIDF16_DB8_Li256ELi8ELb0ELb1ELb1ELi1024EEEvPT0_PfPT_S4_PiS7_iiPKiiiiiiiii: ; @_ZN5aiter36smooth_per_token_scaled_quant_kernelIDF16_DB8_Li256ELi8ELb0ELb1ELb1ELi1024EEEvPT0_PfPT_S4_PiS7_iiPKiiiiiiiii
; %bb.0:
	s_clause 0x2
	s_load_b64 s[2:3], s[0:1], 0x38
	s_load_b64 s[16:17], s[0:1], 0x28
	s_load_b256 s[4:11], s[0:1], 0x40
	s_waitcnt lgkmcnt(0)
	s_cmp_lg_u64 s[2:3], 0
	s_cbranch_scc0 .LBB68_11
; %bb.1:
	s_load_b32 s2, s[2:3], 0x0
	s_waitcnt lgkmcnt(0)
	s_mul_i32 s4, s2, s4
	s_cbranch_execnz .LBB68_3
.LBB68_2:
	s_mul_i32 s4, s6, s5
.LBB68_3:
	s_load_b64 s[2:3], s[0:1], 0x30
	s_lshl_b32 s18, s11, 2
	s_and_b32 s17, s17, 0xffff
	s_mov_b32 s19, -1
	s_abs_i32 s13, s4
	s_waitcnt lgkmcnt(0)
	s_abs_i32 s5, s2
	s_delay_alu instid0(SALU_CYCLE_1) | instskip(SKIP_1) | instid1(VALU_DEP_1)
	v_cvt_f32_u32_e32 v6, s5
	s_sub_i32 s12, 0, s5
	v_rcp_iflag_f32_e32 v6, v6
	s_waitcnt_depctr 0xfff
	v_dual_mul_f32 v6, 0x4f7ffffe, v6 :: v_dual_lshlrev_b32 v1, 2, v0
	s_clause 0x3
	buffer_load_b32 v2, v1, s[16:19], 0 offen
	buffer_load_b32 v3, v1, s[16:19], 0 offen offset:1024
	buffer_load_b32 v4, v1, s[16:19], 0 offen offset:2048
	;; [unrolled: 1-line block ×3, first 2 shown]
	s_waitcnt vmcnt(2)
	ds_store_2addr_stride64_b32 v1, v2, v3 offset1:4
	s_waitcnt vmcnt(0)
	ds_store_2addr_stride64_b32 v1, v4, v5 offset0:8 offset1:12
	v_cvt_u32_f32_e32 v6, v6
	s_delay_alu instid0(VALU_DEP_1) | instskip(NEXT) | instid1(VALU_DEP_1)
	v_readfirstlane_b32 s11, v6
	s_mul_i32 s12, s12, s11
	s_delay_alu instid0(SALU_CYCLE_1) | instskip(NEXT) | instid1(SALU_CYCLE_1)
	s_mul_hi_u32 s12, s11, s12
	s_add_i32 s11, s11, s12
	s_xor_b32 s12, s4, s2
	s_mul_hi_u32 s11, s13, s11
	s_ashr_i32 s12, s12, 31
	s_mul_i32 s14, s11, s5
	s_delay_alu instid0(SALU_CYCLE_1)
	s_sub_i32 s13, s13, s14
	s_add_i32 s14, s11, 1
	s_sub_i32 s16, s13, s5
	s_cmp_ge_u32 s13, s5
	s_cselect_b32 s11, s14, s11
	s_cselect_b32 s13, s16, s13
	s_add_i32 s14, s11, 1
	s_cmp_ge_u32 s13, s5
	s_cselect_b32 s5, s14, s11
	s_delay_alu instid0(SALU_CYCLE_1) | instskip(NEXT) | instid1(SALU_CYCLE_1)
	s_xor_b32 s5, s5, s12
	s_sub_i32 s11, s5, s12
	s_delay_alu instid0(SALU_CYCLE_1) | instskip(NEXT) | instid1(SALU_CYCLE_1)
	s_mul_i32 s2, s11, s2
	s_sub_i32 s12, s4, s2
                                        ; implicit-def: $sgpr4
	s_delay_alu instid0(SALU_CYCLE_1)
	s_cmp_lt_u32 s15, s12
	s_cselect_b32 s2, -1, 0
	s_add_i32 s5, s11, 1
	s_cmp_ge_u32 s15, s12
	s_cbranch_scc0 .LBB68_5
; %bb.4:
	s_sub_i32 s4, s15, s12
	s_mul_i32 s12, s12, s5
	s_mul_i32 s4, s4, s11
	s_mov_b32 s19, 0
	s_add_i32 s4, s4, s12
.LBB68_5:
	s_and_not1_b32 vcc_lo, exec_lo, s19
	s_cbranch_vccnz .LBB68_7
; %bb.6:
	s_mul_i32 s4, s5, s15
.LBB68_7:
	v_cndmask_b32_e64 v1, 0, 1, s2
	s_delay_alu instid0(VALU_DEP_1) | instskip(NEXT) | instid1(VALU_DEP_1)
	v_readfirstlane_b32 s2, v1
	s_add_i32 s11, s11, s2
	s_delay_alu instid0(SALU_CYCLE_1)
	s_cmp_lt_i32 s11, 1
	s_cbranch_scc1 .LBB68_35
; %bb.8:
	s_load_b64 s[12:13], s[0:1], 0x20
	s_ashr_i32 s5, s4, 31
	v_and_b32_e32 v1, 31, v0
	s_lshl_b64 s[14:15], s[4:5], 2
	s_mov_b32 s34, -1
	v_and_b32_e32 v4, 7, v0
	s_mov_b32 s23, s34
	v_cmp_eq_u32_e32 vcc_lo, 31, v1
	v_lshlrev_b32_e32 v8, 4, v0
	v_lshlrev_b32_e32 v9, 5, v0
	v_lshl_or_b32 v11, v4, 2, 0x1000
	v_lshlrev_b32_e32 v13, 3, v0
	s_mov_b32 s41, s3
	s_waitcnt lgkmcnt(0)
	s_add_u32 s20, s12, s14
	s_addc_u32 s2, s13, s15
	s_abs_i32 s33, s6
	s_lshl_b32 s22, s11, 2
	v_cvt_f32_u32_e32 v3, s33
	s_and_b32 s21, s2, 0xffff
	s_load_b256 s[12:19], s[0:1], 0x0
	s_movk_i32 s0, 0x7c
	s_add_i32 s1, s3, 7
	v_rcp_iflag_f32_e32 v3, v3
	v_lshlrev_b32_e32 v14, 2, v1
	v_lshrrev_b32_e32 v1, 3, v0
	s_ashr_i32 s2, s1, 31
	s_lshl_b32 s26, s3, 1
	s_lshr_b32 s2, s2, 29
	s_lshl_b32 s30, s3, 2
	v_and_or_b32 v10, v1, s0, 0x1000
	s_add_i32 s1, s1, s2
	v_cmp_eq_u32_e64 s0, 0, v0
	s_waitcnt_depctr 0xfff
	v_mul_f32_e32 v1, 0x4f7ffffe, v3
	buffer_load_b32 v2, v14, s[20:23], 0 offen
	s_waitcnt vmcnt(0) expcnt(0) lgkmcnt(0)
	s_barrier
	buffer_gl0_inv
	v_cvt_u32_f32_e32 v1, v1
	s_add_i32 s23, s3, 3
	s_ashr_i32 s1, s1, 3
	s_ashr_i32 s2, s23, 31
	v_cmp_gt_u32_e64 s1, s1, v0
	v_readfirstlane_b32 s40, v1
	s_lshr_b32 s2, s2, 30
	s_ashr_i32 s35, s6, 31
	s_add_i32 s23, s23, s2
	s_sub_i32 s2, 0, s33
	s_and_b32 s38, s23, -4
	s_mul_i32 s23, s2, s40
	s_delay_alu instid0(SALU_CYCLE_1) | instskip(NEXT) | instid1(SALU_CYCLE_1)
	s_mul_hi_u32 s23, s40, s23
	s_add_i32 s40, s40, s23
	v_lshlrev_b32_e32 v2, 2, v2
	ds_load_b32 v12, v2
	s_waitcnt lgkmcnt(0)
	v_readlane_b32 s2, v12, 0
	s_delay_alu instid0(VALU_DEP_1)
	s_cmp_lt_i32 s2, 0
	s_cbranch_scc1 .LBB68_12
; %bb.9:
	s_abs_i32 s23, s4
	s_xor_b32 s5, s5, s35
	s_mul_hi_u32 s24, s23, s40
	s_mov_b32 s31, -1
	s_mul_i32 s25, s24, s33
	s_delay_alu instid0(SALU_CYCLE_1)
	s_sub_i32 s23, s23, s25
	s_add_i32 s25, s24, 1
	s_sub_i32 s27, s23, s33
	s_cmp_ge_u32 s23, s33
	s_cselect_b32 s24, s25, s24
	s_cselect_b32 s23, s27, s23
	s_add_i32 s25, s24, 1
	s_cmp_ge_u32 s23, s33
	s_cselect_b32 s23, s25, s24
	s_delay_alu instid0(SALU_CYCLE_1) | instskip(NEXT) | instid1(SALU_CYCLE_1)
	s_xor_b32 s23, s23, s5
	s_sub_i32 s5, s23, s5
	s_delay_alu instid0(SALU_CYCLE_1) | instskip(SKIP_2) | instid1(SALU_CYCLE_1)
	s_mul_i32 s23, s5, s6
	s_mul_i32 s25, s5, s7
	s_sub_i32 s23, s4, s23
	s_mul_i32 s24, s23, s8
	s_delay_alu instid0(SALU_CYCLE_1) | instskip(NEXT) | instid1(SALU_CYCLE_1)
	s_add_i32 s34, s24, s25
	s_cmp_eq_u32 s34, -1
	s_cbranch_scc1 .LBB68_13
; %bb.10:
	s_mul_hi_i32 s25, s34, s41
	s_mul_i32 s24, s34, s41
	s_mov_b32 s27, s31
	s_lshl_b64 s[24:25], s[24:25], 1
	s_delay_alu instid0(SALU_CYCLE_1) | instskip(SKIP_1) | instid1(SALU_CYCLE_1)
	s_add_u32 s24, s16, s24
	s_addc_u32 s25, s17, s25
	s_and_b32 s25, s25, 0xffff
	buffer_load_b128 v[3:6], v8, s[24:27], 0 offen
	s_waitcnt vmcnt(0)
	v_cvt_f32_f16_e32 v0, v3
	v_lshrrev_b32_e32 v1, 16, v3
	v_cvt_f32_f16_e32 v2, v4
	v_lshrrev_b32_e32 v3, 16, v4
	;; [unrolled: 2-line block ×3, first 2 shown]
	v_lshrrev_b32_e32 v7, 16, v6
	v_cvt_f32_f16_e32 v6, v6
	v_cvt_f32_f16_e32 v1, v1
	;; [unrolled: 1-line block ×5, first 2 shown]
	s_branch .LBB68_14
.LBB68_11:
                                        ; implicit-def: $sgpr4
	s_branch .LBB68_2
.LBB68_12:
                                        ; implicit-def: $vgpr0_vgpr1_vgpr2_vgpr3_vgpr4_vgpr5_vgpr6_vgpr7
	s_cmp_eq_u32 s11, 1
	s_mov_b32 s5, 1
	s_cbranch_scc0 .LBB68_21
	s_branch .LBB68_35
.LBB68_13:
                                        ; implicit-def: $vgpr0_vgpr1_vgpr2_vgpr3_vgpr4_vgpr5_vgpr6_vgpr7
.LBB68_14:
	s_mul_i32 s24, s2, s3
	s_delay_alu instid0(SALU_CYCLE_1) | instskip(NEXT) | instid1(SALU_CYCLE_1)
	s_ashr_i32 s25, s24, 31
	s_lshl_b64 s[24:25], s[24:25], 2
	s_delay_alu instid0(SALU_CYCLE_1) | instskip(SKIP_1) | instid1(SALU_CYCLE_1)
	s_add_u32 s28, s18, s24
	s_addc_u32 s2, s19, s25
	s_and_b32 s29, s2, 0xffff
	s_clause 0x1
	buffer_load_b128 v[15:18], v9, s[28:31], 0 offen
	buffer_load_b128 v[23:26], v9, s[28:31], 16 offen
	s_waitcnt vmcnt(1)
	v_dual_mul_f32 v21, v0, v15 :: v_dual_mul_f32 v22, v1, v16
	v_dual_mul_f32 v19, v2, v17 :: v_dual_mul_f32 v20, v3, v18
	s_waitcnt vmcnt(0)
	v_dual_mul_f32 v18, v4, v23 :: v_dual_mul_f32 v17, v5, v24
	s_delay_alu instid0(VALU_DEP_3) | instskip(SKIP_1) | instid1(VALU_DEP_2)
	v_max3_f32 v15, |v21|, 0x2edbe6ff, |v22|
	v_mul_f32_e32 v16, v7, v26
	v_max3_f32 v23, v15, |v19|, |v20|
	v_mul_f32_e32 v15, v6, v25
	s_delay_alu instid0(VALU_DEP_2) | instskip(NEXT) | instid1(VALU_DEP_1)
	v_max3_f32 v23, v23, |v18|, |v17|
	v_max3_f32 v23, v23, |v15|, |v16|
	s_delay_alu instid0(VALU_DEP_1) | instskip(NEXT) | instid1(VALU_DEP_1)
	v_mov_b32_dpp v24, v23 quad_perm:[1,0,3,2] row_mask:0xf bank_mask:0xf
	v_cmp_gt_f32_e64 s2, v23, v24
	s_delay_alu instid0(VALU_DEP_1) | instskip(NEXT) | instid1(VALU_DEP_1)
	v_cndmask_b32_e64 v23, v24, v23, s2
	v_mov_b32_dpp v24, v23 quad_perm:[2,3,0,1] row_mask:0xf bank_mask:0xf
	s_delay_alu instid0(VALU_DEP_1) | instskip(NEXT) | instid1(VALU_DEP_1)
	v_cmp_gt_f32_e64 s2, v23, v24
	v_cndmask_b32_e64 v23, v24, v23, s2
	s_delay_alu instid0(VALU_DEP_1) | instskip(NEXT) | instid1(VALU_DEP_1)
	v_mov_b32_dpp v24, v23 row_xmask:7 row_mask:0xf bank_mask:0xf
	v_cmp_gt_f32_e64 s2, v23, v24
	s_delay_alu instid0(VALU_DEP_1) | instskip(NEXT) | instid1(VALU_DEP_1)
	v_cndmask_b32_e64 v23, v24, v23, s2
	v_mov_b32_dpp v24, v23 row_xmask:15 row_mask:0xf bank_mask:0xf
	s_delay_alu instid0(VALU_DEP_1)
	v_cmp_gt_f32_e64 s2, v23, v24
	s_and_saveexec_b32 s24, vcc_lo
	s_cbranch_execz .LBB68_16
; %bb.15:
	s_delay_alu instid0(VALU_DEP_1)
	v_cndmask_b32_e64 v23, v24, v23, s2
	s_mov_b32 s2, 0x76543210
	s_delay_alu instid0(VALU_DEP_1) | instid1(SALU_CYCLE_1)
	v_permlanex16_b32 v24, v23, s2, 0xfedcba98 op_sel:[1,1]
	s_delay_alu instid0(VALU_DEP_1) | instskip(NEXT) | instid1(VALU_DEP_1)
	v_cmp_gt_f32_e64 s2, v23, v24
	v_cndmask_b32_e64 v23, v24, v23, s2
	ds_store_b32 v10, v23
.LBB68_16:
	s_or_b32 exec_lo, exec_lo, s24
	s_waitcnt lgkmcnt(0)
	s_barrier
	buffer_gl0_inv
	ds_load_b32 v23, v11
	s_mul_i32 s5, s5, s9
	s_waitcnt lgkmcnt(0)
	v_mov_b32_dpp v24, v23 quad_perm:[1,0,3,2] row_mask:0xf bank_mask:0xf
	s_delay_alu instid0(VALU_DEP_1) | instskip(NEXT) | instid1(VALU_DEP_1)
	v_cmp_gt_f32_e64 s2, v23, v24
	v_cndmask_b32_e64 v23, v24, v23, s2
	s_delay_alu instid0(VALU_DEP_1) | instskip(NEXT) | instid1(VALU_DEP_1)
	v_mov_b32_dpp v24, v23 quad_perm:[2,3,0,1] row_mask:0xf bank_mask:0xf
	v_cmp_gt_f32_e64 s2, v23, v24
	s_delay_alu instid0(VALU_DEP_1) | instskip(NEXT) | instid1(VALU_DEP_1)
	v_cndmask_b32_e64 v23, v24, v23, s2
	v_mov_b32_dpp v24, v23 row_xmask:7 row_mask:0xf bank_mask:0xf
	s_delay_alu instid0(VALU_DEP_1) | instskip(NEXT) | instid1(VALU_DEP_1)
	v_cmp_gt_f32_e64 s2, v23, v24
	v_cndmask_b32_e64 v23, v24, v23, s2
	s_mul_i32 s2, s23, s10
	s_delay_alu instid0(SALU_CYCLE_1) | instskip(NEXT) | instid1(VALU_DEP_1)
	s_add_i32 s24, s2, s5
	v_mul_f32_e32 v23, 0x3b124925, v23
	s_and_saveexec_b32 s2, s0
	s_cbranch_execz .LBB68_18
; %bb.17:
	s_ashr_i32 s25, s24, 31
	v_mov_b32_e32 v24, 0
	s_lshl_b64 s[28:29], s[24:25], 2
	s_delay_alu instid0(SALU_CYCLE_1)
	s_add_u32 s28, s14, s28
	s_addc_u32 s29, s15, s29
	global_store_b32 v24, v23, s[28:29]
.LBB68_18:
	s_or_b32 exec_lo, exec_lo, s2
	s_and_saveexec_b32 s2, s1
	s_cbranch_execz .LBB68_20
; %bb.19:
	v_rcp_f32_e32 v23, v23
	v_mov_b32_e32 v24, 0xc3e00000
	v_mov_b32_e32 v25, 0x43e00000
	s_mul_i32 s5, s24, s41
	s_mul_hi_i32 s23, s24, s41
	s_add_u32 s36, s12, s5
	s_addc_u32 s5, s13, s23
	s_mov_b32 s39, -1
	s_and_b32 s37, s5, 0xffff
	s_waitcnt_depctr 0xfff
	v_mul_f32_e32 v22, v22, v23
	v_mul_f32_e32 v21, v21, v23
	;; [unrolled: 1-line block ×4, first 2 shown]
	;;#ASMSTART
	v_med3_f32 v21, v21, v24, v25
v_med3_f32 v22, v22, v24, v25
v_cvt_pk_fp8_f32 v26, v21, v22
	;;#ASMEND
	;;#ASMSTART
	v_med3_f32 v19, v19, v24, v25
v_med3_f32 v20, v20, v24, v25
v_cvt_pk_fp8_f32 v21, v19, v20
	;;#ASMEND
	v_perm_b32 v19, v21, v26, 0x5040100
	v_dual_mul_f32 v18, v18, v23 :: v_dual_and_b32 v21, 0xffffff00, v21
	v_mul_f32_e32 v17, v17, v23
	v_mul_f32_e32 v15, v15, v23
	s_delay_alu instid0(VALU_DEP_4) | instskip(NEXT) | instid1(VALU_DEP_1)
	v_lshrrev_b32_e32 v20, 16, v19
	v_and_b32_e32 v20, 0xff, v20
	s_delay_alu instid0(VALU_DEP_1)
	v_or_b32_e32 v20, v20, v21
	v_mul_f32_e32 v16, v16, v23
	;;#ASMSTART
	v_med3_f32 v18, v18, v24, v25
v_med3_f32 v17, v17, v24, v25
v_cvt_pk_fp8_f32 v21, v18, v17
	;;#ASMEND
	;;#ASMSTART
	v_med3_f32 v15, v15, v24, v25
v_med3_f32 v16, v16, v24, v25
v_cvt_pk_fp8_f32 v17, v15, v16
	;;#ASMEND
	v_lshlrev_b32_e32 v15, 16, v17
	v_lshlrev_b32_e32 v17, 16, v20
	s_delay_alu instid0(VALU_DEP_2) | instskip(NEXT) | instid1(VALU_DEP_2)
	v_and_or_b32 v16, 0xffff, v21, v15
	v_and_or_b32 v15, 0xffff, v19, v17
	buffer_store_b64 v[15:16], v13, s[36:39], 0 offen
	;;#ASMSTART
	s_nop 0
	;;#ASMEND
.LBB68_20:
	s_or_b32 exec_lo, exec_lo, s2
	s_cmp_eq_u32 s11, 1
	s_mov_b32 s5, 1
	s_cbranch_scc1 .LBB68_35
.LBB68_21:
	v_dual_mov_b32 v15, 0 :: v_dual_add_nc_u32 v14, 4, v14
	v_mov_b32_e32 v16, 0xc3e00000
	v_mov_b32_e32 v17, 0x43e00000
	s_mov_b32 s31, -1
	s_mov_b32 s42, 0x76543210
	s_branch .LBB68_24
.LBB68_22:                              ;   in Loop: Header=BB68_24 Depth=1
	s_or_b32 exec_lo, exec_lo, s2
.LBB68_23:                              ;   in Loop: Header=BB68_24 Depth=1
	v_add_nc_u32_e32 v14, 4, v14
	s_add_i32 s5, s5, 1
	s_delay_alu instid0(SALU_CYCLE_1)
	s_cmp_eq_u32 s11, s5
	s_cbranch_scc1 .LBB68_35
.LBB68_24:                              ; =>This Inner Loop Header: Depth=1
	s_and_b32 s2, s5, 31
	s_delay_alu instid0(SALU_CYCLE_1)
	s_cmp_lg_u32 s2, 0
	s_cbranch_scc1 .LBB68_26
; %bb.25:                               ;   in Loop: Header=BB68_24 Depth=1
	s_mov_b32 s23, s31
	buffer_load_b32 v12, v14, s[20:23], 0 offen
	s_waitcnt vmcnt(0) expcnt(0) lgkmcnt(55)
	v_lshlrev_b32_e32 v12, 2, v12
	ds_load_b32 v12, v12
.LBB68_26:                              ;   in Loop: Header=BB68_24 Depth=1
	s_waitcnt lgkmcnt(0)
	v_readlane_b32 s2, v12, s2
	s_delay_alu instid0(VALU_DEP_1)
	s_cmp_lt_i32 s2, 0
	s_cbranch_scc1 .LBB68_23
; %bb.27:                               ;   in Loop: Header=BB68_24 Depth=1
	s_add_i32 s24, s4, s5
	s_delay_alu instid0(SALU_CYCLE_1) | instskip(SKIP_4) | instid1(SALU_CYCLE_1)
	s_abs_i32 s23, s24
	s_ashr_i32 s27, s24, 31
	s_mul_hi_u32 s25, s23, s40
	s_xor_b32 s27, s27, s35
	s_mul_i32 s28, s25, s33
	s_sub_i32 s23, s23, s28
	s_add_i32 s28, s25, 1
	s_sub_i32 s29, s23, s33
	s_cmp_ge_u32 s23, s33
	s_cselect_b32 s25, s28, s25
	s_cselect_b32 s23, s29, s23
	s_add_i32 s28, s25, 1
	s_cmp_ge_u32 s23, s33
	s_cselect_b32 s23, s28, s25
	s_delay_alu instid0(SALU_CYCLE_1) | instskip(NEXT) | instid1(SALU_CYCLE_1)
	s_xor_b32 s23, s23, s27
	s_sub_i32 s23, s23, s27
	s_delay_alu instid0(SALU_CYCLE_1) | instskip(NEXT) | instid1(SALU_CYCLE_1)
	s_mul_i32 s25, s23, s6
	s_sub_i32 s36, s24, s25
	s_mul_i32 s24, s23, s7
	s_mul_i32 s28, s36, s8
	s_delay_alu instid0(SALU_CYCLE_1) | instskip(NEXT) | instid1(SALU_CYCLE_1)
	s_add_i32 s28, s28, s24
	s_cmp_eq_u32 s28, s34
	s_cbranch_scc1 .LBB68_29
; %bb.28:                               ;   in Loop: Header=BB68_24 Depth=1
	s_mul_hi_i32 s25, s28, s41
	s_mul_i32 s24, s28, s41
	s_mov_b32 s27, s31
	s_lshl_b64 s[24:25], s[24:25], 1
	s_mov_b32 s34, s28
	s_add_u32 s24, s16, s24
	s_addc_u32 s25, s17, s25
	s_delay_alu instid0(SALU_CYCLE_1)
	s_and_b32 s25, s25, 0xffff
	buffer_load_b128 v[3:6], v8, s[24:27], 0 offen
	s_waitcnt vmcnt(0)
	v_cvt_f32_f16_e32 v0, v3
	v_lshrrev_b32_e32 v1, 16, v3
	v_cvt_f32_f16_e32 v2, v4
	v_lshrrev_b32_e32 v3, 16, v4
	;; [unrolled: 2-line block ×3, first 2 shown]
	v_lshrrev_b32_e32 v7, 16, v6
	v_cvt_f32_f16_e32 v6, v6
	v_cvt_f32_f16_e32 v1, v1
	;; [unrolled: 1-line block ×5, first 2 shown]
.LBB68_29:                              ;   in Loop: Header=BB68_24 Depth=1
	s_mul_i32 s24, s2, s3
	s_delay_alu instid0(SALU_CYCLE_1) | instskip(NEXT) | instid1(SALU_CYCLE_1)
	s_ashr_i32 s25, s24, 31
	s_lshl_b64 s[24:25], s[24:25], 2
	s_delay_alu instid0(SALU_CYCLE_1) | instskip(SKIP_1) | instid1(SALU_CYCLE_1)
	s_add_u32 s28, s18, s24
	s_addc_u32 s2, s19, s25
	s_and_b32 s29, s2, 0xffff
	s_clause 0x1
	buffer_load_b128 v[18:21], v9, s[28:31], 0 offen
	buffer_load_b128 v[26:29], v9, s[28:31], 16 offen
	s_waitcnt vmcnt(1)
	v_dual_mul_f32 v24, v0, v18 :: v_dual_mul_f32 v25, v1, v19
	v_dual_mul_f32 v22, v2, v20 :: v_dual_mul_f32 v23, v3, v21
	s_waitcnt vmcnt(0)
	v_dual_mul_f32 v21, v4, v26 :: v_dual_mul_f32 v20, v5, v27
	s_delay_alu instid0(VALU_DEP_3) | instskip(SKIP_1) | instid1(VALU_DEP_2)
	v_max3_f32 v18, |v24|, 0x2edbe6ff, |v25|
	v_mul_f32_e32 v19, v7, v29
	v_max3_f32 v26, v18, |v22|, |v23|
	v_mul_f32_e32 v18, v6, v28
	s_delay_alu instid0(VALU_DEP_2) | instskip(NEXT) | instid1(VALU_DEP_1)
	v_max3_f32 v26, v26, |v21|, |v20|
	v_max3_f32 v26, v26, |v18|, |v19|
	s_delay_alu instid0(VALU_DEP_1) | instskip(NEXT) | instid1(VALU_DEP_1)
	v_mov_b32_dpp v27, v26 quad_perm:[1,0,3,2] row_mask:0xf bank_mask:0xf
	v_cmp_gt_f32_e64 s2, v26, v27
	s_delay_alu instid0(VALU_DEP_1) | instskip(NEXT) | instid1(VALU_DEP_1)
	v_cndmask_b32_e64 v26, v27, v26, s2
	v_mov_b32_dpp v27, v26 quad_perm:[2,3,0,1] row_mask:0xf bank_mask:0xf
	s_delay_alu instid0(VALU_DEP_1) | instskip(NEXT) | instid1(VALU_DEP_1)
	v_cmp_gt_f32_e64 s2, v26, v27
	v_cndmask_b32_e64 v26, v27, v26, s2
	s_delay_alu instid0(VALU_DEP_1) | instskip(NEXT) | instid1(VALU_DEP_1)
	v_mov_b32_dpp v27, v26 row_xmask:7 row_mask:0xf bank_mask:0xf
	v_cmp_gt_f32_e64 s2, v26, v27
	s_delay_alu instid0(VALU_DEP_1) | instskip(NEXT) | instid1(VALU_DEP_1)
	v_cndmask_b32_e64 v26, v27, v26, s2
	v_mov_b32_dpp v27, v26 row_xmask:15 row_mask:0xf bank_mask:0xf
	s_delay_alu instid0(VALU_DEP_1)
	v_cmp_gt_f32_e64 s2, v26, v27
	s_and_saveexec_b32 s24, vcc_lo
	s_cbranch_execz .LBB68_31
; %bb.30:                               ;   in Loop: Header=BB68_24 Depth=1
	s_delay_alu instid0(VALU_DEP_1) | instskip(NEXT) | instid1(VALU_DEP_1)
	v_cndmask_b32_e64 v26, v27, v26, s2
	v_permlanex16_b32 v27, v26, s42, 0xfedcba98 op_sel:[1,1]
	s_delay_alu instid0(VALU_DEP_1) | instskip(NEXT) | instid1(VALU_DEP_1)
	v_cmp_gt_f32_e64 s2, v26, v27
	v_cndmask_b32_e64 v26, v27, v26, s2
	ds_store_b32 v10, v26
.LBB68_31:                              ;   in Loop: Header=BB68_24 Depth=1
	s_or_b32 exec_lo, exec_lo, s24
	s_waitcnt lgkmcnt(0)
	s_waitcnt_vscnt null, 0x0
	s_barrier
	buffer_gl0_inv
	ds_load_b32 v26, v11
	s_mul_i32 s23, s23, s9
	s_waitcnt lgkmcnt(0)
	v_mov_b32_dpp v27, v26 quad_perm:[1,0,3,2] row_mask:0xf bank_mask:0xf
	s_delay_alu instid0(VALU_DEP_1) | instskip(NEXT) | instid1(VALU_DEP_1)
	v_cmp_gt_f32_e64 s2, v26, v27
	v_cndmask_b32_e64 v26, v27, v26, s2
	s_delay_alu instid0(VALU_DEP_1) | instskip(NEXT) | instid1(VALU_DEP_1)
	v_mov_b32_dpp v27, v26 quad_perm:[2,3,0,1] row_mask:0xf bank_mask:0xf
	v_cmp_gt_f32_e64 s2, v26, v27
	s_delay_alu instid0(VALU_DEP_1) | instskip(NEXT) | instid1(VALU_DEP_1)
	v_cndmask_b32_e64 v26, v27, v26, s2
	v_mov_b32_dpp v27, v26 row_xmask:7 row_mask:0xf bank_mask:0xf
	s_delay_alu instid0(VALU_DEP_1) | instskip(NEXT) | instid1(VALU_DEP_1)
	v_cmp_gt_f32_e64 s2, v26, v27
	v_cndmask_b32_e64 v26, v27, v26, s2
	s_mul_i32 s2, s36, s10
	s_delay_alu instid0(SALU_CYCLE_1) | instskip(NEXT) | instid1(VALU_DEP_1)
	s_add_i32 s24, s2, s23
	v_mul_f32_e32 v26, 0x3b124925, v26
	s_and_saveexec_b32 s2, s0
	s_cbranch_execz .LBB68_33
; %bb.32:                               ;   in Loop: Header=BB68_24 Depth=1
	s_ashr_i32 s25, s24, 31
	s_delay_alu instid0(SALU_CYCLE_1) | instskip(NEXT) | instid1(SALU_CYCLE_1)
	s_lshl_b64 s[28:29], s[24:25], 2
	s_add_u32 s28, s14, s28
	s_addc_u32 s29, s15, s29
	global_store_b32 v15, v26, s[28:29]
.LBB68_33:                              ;   in Loop: Header=BB68_24 Depth=1
	s_or_b32 exec_lo, exec_lo, s2
	s_and_saveexec_b32 s2, s1
	s_cbranch_execz .LBB68_22
; %bb.34:                               ;   in Loop: Header=BB68_24 Depth=1
	v_rcp_f32_e32 v26, v26
	s_mul_i32 s23, s24, s41
	s_mul_hi_i32 s24, s24, s41
	s_add_u32 s36, s12, s23
	s_addc_u32 s23, s13, s24
	s_mov_b32 s39, s31
	s_and_b32 s37, s23, 0xffff
	s_waitcnt_depctr 0xfff
	v_mul_f32_e32 v24, v24, v26
	v_mul_f32_e32 v25, v25, v26
	;; [unrolled: 1-line block ×4, first 2 shown]
	;;#ASMSTART
	v_med3_f32 v24, v24, v16, v17
v_med3_f32 v25, v25, v16, v17
v_cvt_pk_fp8_f32 v27, v24, v25
	;;#ASMEND
	;;#ASMSTART
	v_med3_f32 v22, v22, v16, v17
v_med3_f32 v23, v23, v16, v17
v_cvt_pk_fp8_f32 v24, v22, v23
	;;#ASMEND
	v_perm_b32 v22, v24, v27, 0x5040100
	v_and_b32_e32 v24, 0xffffff00, v24
	v_mul_f32_e32 v20, v20, v26
	v_mul_f32_e32 v18, v18, v26
	;; [unrolled: 1-line block ×3, first 2 shown]
	v_lshrrev_b32_e32 v23, 16, v22
	s_delay_alu instid0(VALU_DEP_1) | instskip(NEXT) | instid1(VALU_DEP_1)
	v_and_b32_e32 v23, 0xff, v23
	v_or_b32_e32 v23, v23, v24
	v_mul_f32_e32 v21, v21, v26
	;;#ASMSTART
	v_med3_f32 v21, v21, v16, v17
v_med3_f32 v20, v20, v16, v17
v_cvt_pk_fp8_f32 v24, v21, v20
	;;#ASMEND
	;;#ASMSTART
	v_med3_f32 v18, v18, v16, v17
v_med3_f32 v19, v19, v16, v17
v_cvt_pk_fp8_f32 v20, v18, v19
	;;#ASMEND
	v_lshlrev_b32_e32 v18, 16, v20
	v_lshlrev_b32_e32 v20, 16, v23
	s_delay_alu instid0(VALU_DEP_2) | instskip(NEXT) | instid1(VALU_DEP_2)
	v_and_or_b32 v19, 0xffff, v24, v18
	v_and_or_b32 v18, 0xffff, v22, v20
	buffer_store_b64 v[18:19], v13, s[36:39], 0 offen
	;;#ASMSTART
	s_nop 0
	;;#ASMEND
	s_branch .LBB68_22
.LBB68_35:
	s_nop 0
	s_sendmsg sendmsg(MSG_DEALLOC_VGPRS)
	s_endpgm
	.section	.rodata,"a",@progbits
	.p2align	6, 0x0
	.amdhsa_kernel _ZN5aiter36smooth_per_token_scaled_quant_kernelIDF16_DB8_Li256ELi8ELb0ELb1ELb1ELi1024EEEvPT0_PfPT_S4_PiS7_iiPKiiiiiiiii
		.amdhsa_group_segment_fixed_size 4128
		.amdhsa_private_segment_fixed_size 0
		.amdhsa_kernarg_size 96
		.amdhsa_user_sgpr_count 15
		.amdhsa_user_sgpr_dispatch_ptr 0
		.amdhsa_user_sgpr_queue_ptr 0
		.amdhsa_user_sgpr_kernarg_segment_ptr 1
		.amdhsa_user_sgpr_dispatch_id 0
		.amdhsa_user_sgpr_private_segment_size 0
		.amdhsa_wavefront_size32 1
		.amdhsa_uses_dynamic_stack 0
		.amdhsa_enable_private_segment 0
		.amdhsa_system_sgpr_workgroup_id_x 1
		.amdhsa_system_sgpr_workgroup_id_y 0
		.amdhsa_system_sgpr_workgroup_id_z 0
		.amdhsa_system_sgpr_workgroup_info 0
		.amdhsa_system_vgpr_workitem_id 0
		.amdhsa_next_free_vgpr 30
		.amdhsa_next_free_sgpr 43
		.amdhsa_reserve_vcc 1
		.amdhsa_float_round_mode_32 0
		.amdhsa_float_round_mode_16_64 0
		.amdhsa_float_denorm_mode_32 3
		.amdhsa_float_denorm_mode_16_64 3
		.amdhsa_dx10_clamp 1
		.amdhsa_ieee_mode 1
		.amdhsa_fp16_overflow 0
		.amdhsa_workgroup_processor_mode 1
		.amdhsa_memory_ordered 1
		.amdhsa_forward_progress 0
		.amdhsa_shared_vgpr_count 0
		.amdhsa_exception_fp_ieee_invalid_op 0
		.amdhsa_exception_fp_denorm_src 0
		.amdhsa_exception_fp_ieee_div_zero 0
		.amdhsa_exception_fp_ieee_overflow 0
		.amdhsa_exception_fp_ieee_underflow 0
		.amdhsa_exception_fp_ieee_inexact 0
		.amdhsa_exception_int_div_zero 0
	.end_amdhsa_kernel
	.section	.text._ZN5aiter36smooth_per_token_scaled_quant_kernelIDF16_DB8_Li256ELi8ELb0ELb1ELb1ELi1024EEEvPT0_PfPT_S4_PiS7_iiPKiiiiiiiii,"axG",@progbits,_ZN5aiter36smooth_per_token_scaled_quant_kernelIDF16_DB8_Li256ELi8ELb0ELb1ELb1ELi1024EEEvPT0_PfPT_S4_PiS7_iiPKiiiiiiiii,comdat
.Lfunc_end68:
	.size	_ZN5aiter36smooth_per_token_scaled_quant_kernelIDF16_DB8_Li256ELi8ELb0ELb1ELb1ELi1024EEEvPT0_PfPT_S4_PiS7_iiPKiiiiiiiii, .Lfunc_end68-_ZN5aiter36smooth_per_token_scaled_quant_kernelIDF16_DB8_Li256ELi8ELb0ELb1ELb1ELi1024EEEvPT0_PfPT_S4_PiS7_iiPKiiiiiiiii
                                        ; -- End function
	.section	.AMDGPU.csdata,"",@progbits
; Kernel info:
; codeLenInByte = 3164
; NumSgprs: 45
; NumVgprs: 30
; ScratchSize: 0
; MemoryBound: 0
; FloatMode: 240
; IeeeMode: 1
; LDSByteSize: 4128 bytes/workgroup (compile time only)
; SGPRBlocks: 5
; VGPRBlocks: 3
; NumSGPRsForWavesPerEU: 45
; NumVGPRsForWavesPerEU: 30
; Occupancy: 16
; WaveLimiterHint : 0
; COMPUTE_PGM_RSRC2:SCRATCH_EN: 0
; COMPUTE_PGM_RSRC2:USER_SGPR: 15
; COMPUTE_PGM_RSRC2:TRAP_HANDLER: 0
; COMPUTE_PGM_RSRC2:TGID_X_EN: 1
; COMPUTE_PGM_RSRC2:TGID_Y_EN: 0
; COMPUTE_PGM_RSRC2:TGID_Z_EN: 0
; COMPUTE_PGM_RSRC2:TIDIG_COMP_CNT: 0
	.section	.text._ZN5aiter36smooth_per_token_scaled_quant_kernelItDB8_Li256ELi8ELb0ELb1ELb1ELi1024EEEvPT0_PfPT_S4_PiS7_iiPKiiiiiiiii,"axG",@progbits,_ZN5aiter36smooth_per_token_scaled_quant_kernelItDB8_Li256ELi8ELb0ELb1ELb1ELi1024EEEvPT0_PfPT_S4_PiS7_iiPKiiiiiiiii,comdat
	.protected	_ZN5aiter36smooth_per_token_scaled_quant_kernelItDB8_Li256ELi8ELb0ELb1ELb1ELi1024EEEvPT0_PfPT_S4_PiS7_iiPKiiiiiiiii ; -- Begin function _ZN5aiter36smooth_per_token_scaled_quant_kernelItDB8_Li256ELi8ELb0ELb1ELb1ELi1024EEEvPT0_PfPT_S4_PiS7_iiPKiiiiiiiii
	.globl	_ZN5aiter36smooth_per_token_scaled_quant_kernelItDB8_Li256ELi8ELb0ELb1ELb1ELi1024EEEvPT0_PfPT_S4_PiS7_iiPKiiiiiiiii
	.p2align	8
	.type	_ZN5aiter36smooth_per_token_scaled_quant_kernelItDB8_Li256ELi8ELb0ELb1ELb1ELi1024EEEvPT0_PfPT_S4_PiS7_iiPKiiiiiiiii,@function
_ZN5aiter36smooth_per_token_scaled_quant_kernelItDB8_Li256ELi8ELb0ELb1ELb1ELi1024EEEvPT0_PfPT_S4_PiS7_iiPKiiiiiiiii: ; @_ZN5aiter36smooth_per_token_scaled_quant_kernelItDB8_Li256ELi8ELb0ELb1ELb1ELi1024EEEvPT0_PfPT_S4_PiS7_iiPKiiiiiiiii
; %bb.0:
	s_clause 0x2
	s_load_b64 s[2:3], s[0:1], 0x38
	s_load_b64 s[16:17], s[0:1], 0x28
	s_load_b256 s[4:11], s[0:1], 0x40
	s_waitcnt lgkmcnt(0)
	s_cmp_lg_u64 s[2:3], 0
	s_cbranch_scc0 .LBB69_11
; %bb.1:
	s_load_b32 s2, s[2:3], 0x0
	s_waitcnt lgkmcnt(0)
	s_mul_i32 s4, s2, s4
	s_cbranch_execnz .LBB69_3
.LBB69_2:
	s_mul_i32 s4, s6, s5
.LBB69_3:
	s_load_b64 s[2:3], s[0:1], 0x30
	s_lshl_b32 s18, s11, 2
	s_and_b32 s17, s17, 0xffff
	s_mov_b32 s19, -1
	s_abs_i32 s13, s4
	s_waitcnt lgkmcnt(0)
	s_abs_i32 s5, s2
	s_delay_alu instid0(SALU_CYCLE_1) | instskip(SKIP_1) | instid1(VALU_DEP_1)
	v_cvt_f32_u32_e32 v6, s5
	s_sub_i32 s12, 0, s5
	v_rcp_iflag_f32_e32 v6, v6
	s_waitcnt_depctr 0xfff
	v_dual_mul_f32 v6, 0x4f7ffffe, v6 :: v_dual_lshlrev_b32 v1, 2, v0
	s_clause 0x3
	buffer_load_b32 v2, v1, s[16:19], 0 offen
	buffer_load_b32 v3, v1, s[16:19], 0 offen offset:1024
	buffer_load_b32 v4, v1, s[16:19], 0 offen offset:2048
	;; [unrolled: 1-line block ×3, first 2 shown]
	s_waitcnt vmcnt(2)
	ds_store_2addr_stride64_b32 v1, v2, v3 offset1:4
	s_waitcnt vmcnt(0)
	ds_store_2addr_stride64_b32 v1, v4, v5 offset0:8 offset1:12
	v_cvt_u32_f32_e32 v6, v6
	s_delay_alu instid0(VALU_DEP_1) | instskip(NEXT) | instid1(VALU_DEP_1)
	v_readfirstlane_b32 s11, v6
	s_mul_i32 s12, s12, s11
	s_delay_alu instid0(SALU_CYCLE_1) | instskip(NEXT) | instid1(SALU_CYCLE_1)
	s_mul_hi_u32 s12, s11, s12
	s_add_i32 s11, s11, s12
	s_xor_b32 s12, s4, s2
	s_mul_hi_u32 s11, s13, s11
	s_ashr_i32 s12, s12, 31
	s_mul_i32 s14, s11, s5
	s_delay_alu instid0(SALU_CYCLE_1)
	s_sub_i32 s13, s13, s14
	s_add_i32 s14, s11, 1
	s_sub_i32 s16, s13, s5
	s_cmp_ge_u32 s13, s5
	s_cselect_b32 s11, s14, s11
	s_cselect_b32 s13, s16, s13
	s_add_i32 s14, s11, 1
	s_cmp_ge_u32 s13, s5
	s_cselect_b32 s5, s14, s11
	s_delay_alu instid0(SALU_CYCLE_1) | instskip(NEXT) | instid1(SALU_CYCLE_1)
	s_xor_b32 s5, s5, s12
	s_sub_i32 s11, s5, s12
	s_delay_alu instid0(SALU_CYCLE_1) | instskip(NEXT) | instid1(SALU_CYCLE_1)
	s_mul_i32 s2, s11, s2
	s_sub_i32 s12, s4, s2
                                        ; implicit-def: $sgpr4
	s_delay_alu instid0(SALU_CYCLE_1)
	s_cmp_lt_u32 s15, s12
	s_cselect_b32 s2, -1, 0
	s_add_i32 s5, s11, 1
	s_cmp_ge_u32 s15, s12
	s_cbranch_scc0 .LBB69_5
; %bb.4:
	s_sub_i32 s4, s15, s12
	s_mul_i32 s12, s12, s5
	s_mul_i32 s4, s4, s11
	s_mov_b32 s19, 0
	s_add_i32 s4, s4, s12
.LBB69_5:
	s_and_not1_b32 vcc_lo, exec_lo, s19
	s_cbranch_vccnz .LBB69_7
; %bb.6:
	s_mul_i32 s4, s5, s15
.LBB69_7:
	v_cndmask_b32_e64 v1, 0, 1, s2
	s_delay_alu instid0(VALU_DEP_1) | instskip(NEXT) | instid1(VALU_DEP_1)
	v_readfirstlane_b32 s2, v1
	s_add_i32 s11, s11, s2
	s_delay_alu instid0(SALU_CYCLE_1)
	s_cmp_lt_i32 s11, 1
	s_cbranch_scc1 .LBB69_35
; %bb.8:
	s_load_b64 s[12:13], s[0:1], 0x20
	s_ashr_i32 s5, s4, 31
	v_and_b32_e32 v1, 31, v0
	s_lshl_b64 s[14:15], s[4:5], 2
	s_mov_b32 s34, -1
	v_and_b32_e32 v4, 7, v0
	s_mov_b32 s23, s34
	v_cmp_eq_u32_e32 vcc_lo, 31, v1
	v_lshlrev_b32_e32 v8, 4, v0
	v_lshlrev_b32_e32 v9, 5, v0
	v_lshl_or_b32 v11, v4, 2, 0x1000
	v_lshlrev_b32_e32 v13, 3, v0
	s_mov_b32 s41, s3
	s_waitcnt lgkmcnt(0)
	s_add_u32 s20, s12, s14
	s_addc_u32 s2, s13, s15
	s_abs_i32 s33, s6
	s_lshl_b32 s22, s11, 2
	v_cvt_f32_u32_e32 v3, s33
	s_and_b32 s21, s2, 0xffff
	s_load_b256 s[12:19], s[0:1], 0x0
	s_movk_i32 s0, 0x7c
	s_add_i32 s1, s3, 7
	v_rcp_iflag_f32_e32 v3, v3
	v_lshlrev_b32_e32 v14, 2, v1
	v_lshrrev_b32_e32 v1, 3, v0
	s_ashr_i32 s2, s1, 31
	s_lshl_b32 s26, s3, 1
	s_lshr_b32 s2, s2, 29
	s_lshl_b32 s30, s3, 2
	v_and_or_b32 v10, v1, s0, 0x1000
	s_add_i32 s1, s1, s2
	v_cmp_eq_u32_e64 s0, 0, v0
	s_waitcnt_depctr 0xfff
	v_mul_f32_e32 v1, 0x4f7ffffe, v3
	buffer_load_b32 v2, v14, s[20:23], 0 offen
	s_waitcnt vmcnt(0) expcnt(0) lgkmcnt(0)
	s_barrier
	buffer_gl0_inv
	v_cvt_u32_f32_e32 v1, v1
	s_add_i32 s23, s3, 3
	s_ashr_i32 s1, s1, 3
	s_ashr_i32 s2, s23, 31
	v_cmp_gt_u32_e64 s1, s1, v0
	v_readfirstlane_b32 s40, v1
	s_lshr_b32 s2, s2, 30
	s_ashr_i32 s35, s6, 31
	s_add_i32 s23, s23, s2
	s_sub_i32 s2, 0, s33
	s_and_b32 s38, s23, -4
	s_mul_i32 s23, s2, s40
	s_delay_alu instid0(SALU_CYCLE_1) | instskip(NEXT) | instid1(SALU_CYCLE_1)
	s_mul_hi_u32 s23, s40, s23
	s_add_i32 s40, s40, s23
	v_lshlrev_b32_e32 v2, 2, v2
	ds_load_b32 v12, v2
	s_waitcnt lgkmcnt(0)
	v_readlane_b32 s2, v12, 0
	s_delay_alu instid0(VALU_DEP_1)
	s_cmp_lt_i32 s2, 0
	s_cbranch_scc1 .LBB69_12
; %bb.9:
	s_abs_i32 s23, s4
	s_xor_b32 s5, s5, s35
	s_mul_hi_u32 s24, s23, s40
	s_mov_b32 s31, -1
	s_mul_i32 s25, s24, s33
	s_delay_alu instid0(SALU_CYCLE_1)
	s_sub_i32 s23, s23, s25
	s_add_i32 s25, s24, 1
	s_sub_i32 s27, s23, s33
	s_cmp_ge_u32 s23, s33
	s_cselect_b32 s24, s25, s24
	s_cselect_b32 s23, s27, s23
	s_add_i32 s25, s24, 1
	s_cmp_ge_u32 s23, s33
	s_cselect_b32 s23, s25, s24
	s_delay_alu instid0(SALU_CYCLE_1) | instskip(NEXT) | instid1(SALU_CYCLE_1)
	s_xor_b32 s23, s23, s5
	s_sub_i32 s5, s23, s5
	s_delay_alu instid0(SALU_CYCLE_1) | instskip(SKIP_2) | instid1(SALU_CYCLE_1)
	s_mul_i32 s23, s5, s6
	s_mul_i32 s25, s5, s7
	s_sub_i32 s23, s4, s23
	s_mul_i32 s24, s23, s8
	s_delay_alu instid0(SALU_CYCLE_1) | instskip(NEXT) | instid1(SALU_CYCLE_1)
	s_add_i32 s34, s24, s25
	s_cmp_eq_u32 s34, -1
	s_cbranch_scc1 .LBB69_13
; %bb.10:
	s_mul_hi_i32 s25, s34, s41
	s_mul_i32 s24, s34, s41
	s_mov_b32 s27, s31
	s_lshl_b64 s[24:25], s[24:25], 1
	s_delay_alu instid0(SALU_CYCLE_1) | instskip(SKIP_1) | instid1(SALU_CYCLE_1)
	s_add_u32 s24, s16, s24
	s_addc_u32 s25, s17, s25
	s_and_b32 s25, s25, 0xffff
	buffer_load_b128 v[0:3], v8, s[24:27], 0 offen
	s_waitcnt vmcnt(0)
	v_lshrrev_b32_e32 v4, 16, v0
	v_and_b32_e32 v0, 0xffff, v0
	v_lshrrev_b32_e32 v5, 16, v1
	v_and_b32_e32 v6, 0xffff, v1
	;; [unrolled: 2-line block ×4, first 2 shown]
	v_cvt_f32_u32_e32 v1, v4
	v_cvt_f32_u32_e32 v0, v0
	;; [unrolled: 1-line block ×8, first 2 shown]
	s_branch .LBB69_14
.LBB69_11:
                                        ; implicit-def: $sgpr4
	s_branch .LBB69_2
.LBB69_12:
                                        ; implicit-def: $vgpr0_vgpr1_vgpr2_vgpr3_vgpr4_vgpr5_vgpr6_vgpr7
	s_cmp_eq_u32 s11, 1
	s_mov_b32 s5, 1
	s_cbranch_scc0 .LBB69_21
	s_branch .LBB69_35
.LBB69_13:
                                        ; implicit-def: $vgpr0_vgpr1_vgpr2_vgpr3_vgpr4_vgpr5_vgpr6_vgpr7
.LBB69_14:
	s_mul_i32 s24, s2, s3
	s_delay_alu instid0(SALU_CYCLE_1) | instskip(NEXT) | instid1(SALU_CYCLE_1)
	s_ashr_i32 s25, s24, 31
	s_lshl_b64 s[24:25], s[24:25], 2
	s_delay_alu instid0(SALU_CYCLE_1) | instskip(SKIP_1) | instid1(SALU_CYCLE_1)
	s_add_u32 s28, s18, s24
	s_addc_u32 s2, s19, s25
	s_and_b32 s29, s2, 0xffff
	s_clause 0x1
	buffer_load_b128 v[15:18], v9, s[28:31], 0 offen
	buffer_load_b128 v[23:26], v9, s[28:31], 16 offen
	s_waitcnt vmcnt(1)
	v_dual_mul_f32 v21, v0, v15 :: v_dual_mul_f32 v22, v1, v16
	v_dual_mul_f32 v19, v2, v17 :: v_dual_mul_f32 v20, v3, v18
	s_waitcnt vmcnt(0)
	v_dual_mul_f32 v18, v4, v23 :: v_dual_mul_f32 v17, v5, v24
	s_delay_alu instid0(VALU_DEP_3) | instskip(SKIP_1) | instid1(VALU_DEP_2)
	v_max3_f32 v15, |v21|, 0x2edbe6ff, |v22|
	v_mul_f32_e32 v16, v7, v26
	v_max3_f32 v23, v15, |v19|, |v20|
	v_mul_f32_e32 v15, v6, v25
	s_delay_alu instid0(VALU_DEP_2) | instskip(NEXT) | instid1(VALU_DEP_1)
	v_max3_f32 v23, v23, |v18|, |v17|
	v_max3_f32 v23, v23, |v15|, |v16|
	s_delay_alu instid0(VALU_DEP_1) | instskip(NEXT) | instid1(VALU_DEP_1)
	v_mov_b32_dpp v24, v23 quad_perm:[1,0,3,2] row_mask:0xf bank_mask:0xf
	v_cmp_gt_f32_e64 s2, v23, v24
	s_delay_alu instid0(VALU_DEP_1) | instskip(NEXT) | instid1(VALU_DEP_1)
	v_cndmask_b32_e64 v23, v24, v23, s2
	v_mov_b32_dpp v24, v23 quad_perm:[2,3,0,1] row_mask:0xf bank_mask:0xf
	s_delay_alu instid0(VALU_DEP_1) | instskip(NEXT) | instid1(VALU_DEP_1)
	v_cmp_gt_f32_e64 s2, v23, v24
	v_cndmask_b32_e64 v23, v24, v23, s2
	s_delay_alu instid0(VALU_DEP_1) | instskip(NEXT) | instid1(VALU_DEP_1)
	v_mov_b32_dpp v24, v23 row_xmask:7 row_mask:0xf bank_mask:0xf
	v_cmp_gt_f32_e64 s2, v23, v24
	s_delay_alu instid0(VALU_DEP_1) | instskip(NEXT) | instid1(VALU_DEP_1)
	v_cndmask_b32_e64 v23, v24, v23, s2
	v_mov_b32_dpp v24, v23 row_xmask:15 row_mask:0xf bank_mask:0xf
	s_delay_alu instid0(VALU_DEP_1)
	v_cmp_gt_f32_e64 s2, v23, v24
	s_and_saveexec_b32 s24, vcc_lo
	s_cbranch_execz .LBB69_16
; %bb.15:
	s_delay_alu instid0(VALU_DEP_1)
	v_cndmask_b32_e64 v23, v24, v23, s2
	s_mov_b32 s2, 0x76543210
	s_delay_alu instid0(VALU_DEP_1) | instid1(SALU_CYCLE_1)
	v_permlanex16_b32 v24, v23, s2, 0xfedcba98 op_sel:[1,1]
	s_delay_alu instid0(VALU_DEP_1) | instskip(NEXT) | instid1(VALU_DEP_1)
	v_cmp_gt_f32_e64 s2, v23, v24
	v_cndmask_b32_e64 v23, v24, v23, s2
	ds_store_b32 v10, v23
.LBB69_16:
	s_or_b32 exec_lo, exec_lo, s24
	s_waitcnt lgkmcnt(0)
	s_barrier
	buffer_gl0_inv
	ds_load_b32 v23, v11
	s_mul_i32 s5, s5, s9
	s_waitcnt lgkmcnt(0)
	v_mov_b32_dpp v24, v23 quad_perm:[1,0,3,2] row_mask:0xf bank_mask:0xf
	s_delay_alu instid0(VALU_DEP_1) | instskip(NEXT) | instid1(VALU_DEP_1)
	v_cmp_gt_f32_e64 s2, v23, v24
	v_cndmask_b32_e64 v23, v24, v23, s2
	s_delay_alu instid0(VALU_DEP_1) | instskip(NEXT) | instid1(VALU_DEP_1)
	v_mov_b32_dpp v24, v23 quad_perm:[2,3,0,1] row_mask:0xf bank_mask:0xf
	v_cmp_gt_f32_e64 s2, v23, v24
	s_delay_alu instid0(VALU_DEP_1) | instskip(NEXT) | instid1(VALU_DEP_1)
	v_cndmask_b32_e64 v23, v24, v23, s2
	v_mov_b32_dpp v24, v23 row_xmask:7 row_mask:0xf bank_mask:0xf
	s_delay_alu instid0(VALU_DEP_1) | instskip(NEXT) | instid1(VALU_DEP_1)
	v_cmp_gt_f32_e64 s2, v23, v24
	v_cndmask_b32_e64 v23, v24, v23, s2
	s_mul_i32 s2, s23, s10
	s_delay_alu instid0(SALU_CYCLE_1) | instskip(NEXT) | instid1(VALU_DEP_1)
	s_add_i32 s24, s2, s5
	v_mul_f32_e32 v23, 0x3b124925, v23
	s_and_saveexec_b32 s2, s0
	s_cbranch_execz .LBB69_18
; %bb.17:
	s_ashr_i32 s25, s24, 31
	v_mov_b32_e32 v24, 0
	s_lshl_b64 s[28:29], s[24:25], 2
	s_delay_alu instid0(SALU_CYCLE_1)
	s_add_u32 s28, s14, s28
	s_addc_u32 s29, s15, s29
	global_store_b32 v24, v23, s[28:29]
.LBB69_18:
	s_or_b32 exec_lo, exec_lo, s2
	s_and_saveexec_b32 s2, s1
	s_cbranch_execz .LBB69_20
; %bb.19:
	v_rcp_f32_e32 v23, v23
	v_mov_b32_e32 v24, 0xc3e00000
	v_mov_b32_e32 v25, 0x43e00000
	s_mul_i32 s5, s24, s41
	s_mul_hi_i32 s23, s24, s41
	s_add_u32 s36, s12, s5
	s_addc_u32 s5, s13, s23
	s_mov_b32 s39, -1
	s_and_b32 s37, s5, 0xffff
	s_waitcnt_depctr 0xfff
	v_mul_f32_e32 v22, v22, v23
	v_mul_f32_e32 v21, v21, v23
	;; [unrolled: 1-line block ×4, first 2 shown]
	;;#ASMSTART
	v_med3_f32 v21, v21, v24, v25
v_med3_f32 v22, v22, v24, v25
v_cvt_pk_fp8_f32 v26, v21, v22
	;;#ASMEND
	;;#ASMSTART
	v_med3_f32 v19, v19, v24, v25
v_med3_f32 v20, v20, v24, v25
v_cvt_pk_fp8_f32 v21, v19, v20
	;;#ASMEND
	v_perm_b32 v19, v21, v26, 0x5040100
	v_dual_mul_f32 v18, v18, v23 :: v_dual_and_b32 v21, 0xffffff00, v21
	v_mul_f32_e32 v17, v17, v23
	v_mul_f32_e32 v15, v15, v23
	s_delay_alu instid0(VALU_DEP_4) | instskip(NEXT) | instid1(VALU_DEP_1)
	v_lshrrev_b32_e32 v20, 16, v19
	v_and_b32_e32 v20, 0xff, v20
	s_delay_alu instid0(VALU_DEP_1)
	v_or_b32_e32 v20, v20, v21
	v_mul_f32_e32 v16, v16, v23
	;;#ASMSTART
	v_med3_f32 v18, v18, v24, v25
v_med3_f32 v17, v17, v24, v25
v_cvt_pk_fp8_f32 v21, v18, v17
	;;#ASMEND
	;;#ASMSTART
	v_med3_f32 v15, v15, v24, v25
v_med3_f32 v16, v16, v24, v25
v_cvt_pk_fp8_f32 v17, v15, v16
	;;#ASMEND
	v_lshlrev_b32_e32 v15, 16, v17
	v_lshlrev_b32_e32 v17, 16, v20
	s_delay_alu instid0(VALU_DEP_2) | instskip(NEXT) | instid1(VALU_DEP_2)
	v_and_or_b32 v16, 0xffff, v21, v15
	v_and_or_b32 v15, 0xffff, v19, v17
	buffer_store_b64 v[15:16], v13, s[36:39], 0 offen
	;;#ASMSTART
	s_nop 0
	;;#ASMEND
.LBB69_20:
	s_or_b32 exec_lo, exec_lo, s2
	s_cmp_eq_u32 s11, 1
	s_mov_b32 s5, 1
	s_cbranch_scc1 .LBB69_35
.LBB69_21:
	v_dual_mov_b32 v15, 0 :: v_dual_add_nc_u32 v14, 4, v14
	v_mov_b32_e32 v16, 0xc3e00000
	v_mov_b32_e32 v17, 0x43e00000
	s_mov_b32 s31, -1
	s_mov_b32 s42, 0x76543210
	s_branch .LBB69_24
.LBB69_22:                              ;   in Loop: Header=BB69_24 Depth=1
	s_or_b32 exec_lo, exec_lo, s2
.LBB69_23:                              ;   in Loop: Header=BB69_24 Depth=1
	v_add_nc_u32_e32 v14, 4, v14
	s_add_i32 s5, s5, 1
	s_delay_alu instid0(SALU_CYCLE_1)
	s_cmp_eq_u32 s11, s5
	s_cbranch_scc1 .LBB69_35
.LBB69_24:                              ; =>This Inner Loop Header: Depth=1
	s_and_b32 s2, s5, 31
	s_delay_alu instid0(SALU_CYCLE_1)
	s_cmp_lg_u32 s2, 0
	s_cbranch_scc1 .LBB69_26
; %bb.25:                               ;   in Loop: Header=BB69_24 Depth=1
	s_mov_b32 s23, s31
	buffer_load_b32 v12, v14, s[20:23], 0 offen
	s_waitcnt vmcnt(0) expcnt(0) lgkmcnt(55)
	v_lshlrev_b32_e32 v12, 2, v12
	ds_load_b32 v12, v12
.LBB69_26:                              ;   in Loop: Header=BB69_24 Depth=1
	s_waitcnt lgkmcnt(0)
	v_readlane_b32 s2, v12, s2
	s_delay_alu instid0(VALU_DEP_1)
	s_cmp_lt_i32 s2, 0
	s_cbranch_scc1 .LBB69_23
; %bb.27:                               ;   in Loop: Header=BB69_24 Depth=1
	s_add_i32 s24, s4, s5
	s_delay_alu instid0(SALU_CYCLE_1) | instskip(SKIP_4) | instid1(SALU_CYCLE_1)
	s_abs_i32 s23, s24
	s_ashr_i32 s27, s24, 31
	s_mul_hi_u32 s25, s23, s40
	s_xor_b32 s27, s27, s35
	s_mul_i32 s28, s25, s33
	s_sub_i32 s23, s23, s28
	s_add_i32 s28, s25, 1
	s_sub_i32 s29, s23, s33
	s_cmp_ge_u32 s23, s33
	s_cselect_b32 s25, s28, s25
	s_cselect_b32 s23, s29, s23
	s_add_i32 s28, s25, 1
	s_cmp_ge_u32 s23, s33
	s_cselect_b32 s23, s28, s25
	s_delay_alu instid0(SALU_CYCLE_1) | instskip(NEXT) | instid1(SALU_CYCLE_1)
	s_xor_b32 s23, s23, s27
	s_sub_i32 s23, s23, s27
	s_delay_alu instid0(SALU_CYCLE_1) | instskip(NEXT) | instid1(SALU_CYCLE_1)
	s_mul_i32 s25, s23, s6
	s_sub_i32 s36, s24, s25
	s_mul_i32 s24, s23, s7
	s_mul_i32 s28, s36, s8
	s_delay_alu instid0(SALU_CYCLE_1) | instskip(NEXT) | instid1(SALU_CYCLE_1)
	s_add_i32 s28, s28, s24
	s_cmp_eq_u32 s28, s34
	s_cbranch_scc1 .LBB69_29
; %bb.28:                               ;   in Loop: Header=BB69_24 Depth=1
	s_mul_hi_i32 s25, s28, s41
	s_mul_i32 s24, s28, s41
	s_mov_b32 s27, s31
	s_lshl_b64 s[24:25], s[24:25], 1
	s_mov_b32 s34, s28
	s_add_u32 s24, s16, s24
	s_addc_u32 s25, s17, s25
	s_delay_alu instid0(SALU_CYCLE_1)
	s_and_b32 s25, s25, 0xffff
	buffer_load_b128 v[0:3], v8, s[24:27], 0 offen
	s_waitcnt vmcnt(0)
	v_lshrrev_b32_e32 v4, 16, v0
	v_and_b32_e32 v0, 0xffff, v0
	v_lshrrev_b32_e32 v5, 16, v1
	v_and_b32_e32 v6, 0xffff, v1
	;; [unrolled: 2-line block ×4, first 2 shown]
	v_cvt_f32_u32_e32 v1, v4
	v_cvt_f32_u32_e32 v0, v0
	;; [unrolled: 1-line block ×8, first 2 shown]
.LBB69_29:                              ;   in Loop: Header=BB69_24 Depth=1
	s_mul_i32 s24, s2, s3
	s_delay_alu instid0(SALU_CYCLE_1) | instskip(NEXT) | instid1(SALU_CYCLE_1)
	s_ashr_i32 s25, s24, 31
	s_lshl_b64 s[24:25], s[24:25], 2
	s_delay_alu instid0(SALU_CYCLE_1) | instskip(SKIP_1) | instid1(SALU_CYCLE_1)
	s_add_u32 s28, s18, s24
	s_addc_u32 s2, s19, s25
	s_and_b32 s29, s2, 0xffff
	s_clause 0x1
	buffer_load_b128 v[18:21], v9, s[28:31], 0 offen
	buffer_load_b128 v[26:29], v9, s[28:31], 16 offen
	s_waitcnt vmcnt(1)
	v_dual_mul_f32 v24, v0, v18 :: v_dual_mul_f32 v25, v1, v19
	v_dual_mul_f32 v22, v2, v20 :: v_dual_mul_f32 v23, v3, v21
	s_waitcnt vmcnt(0)
	v_dual_mul_f32 v21, v4, v26 :: v_dual_mul_f32 v20, v5, v27
	s_delay_alu instid0(VALU_DEP_3) | instskip(SKIP_1) | instid1(VALU_DEP_2)
	v_max3_f32 v18, |v24|, 0x2edbe6ff, |v25|
	v_mul_f32_e32 v19, v7, v29
	v_max3_f32 v26, v18, |v22|, |v23|
	v_mul_f32_e32 v18, v6, v28
	s_delay_alu instid0(VALU_DEP_2) | instskip(NEXT) | instid1(VALU_DEP_1)
	v_max3_f32 v26, v26, |v21|, |v20|
	v_max3_f32 v26, v26, |v18|, |v19|
	s_delay_alu instid0(VALU_DEP_1) | instskip(NEXT) | instid1(VALU_DEP_1)
	v_mov_b32_dpp v27, v26 quad_perm:[1,0,3,2] row_mask:0xf bank_mask:0xf
	v_cmp_gt_f32_e64 s2, v26, v27
	s_delay_alu instid0(VALU_DEP_1) | instskip(NEXT) | instid1(VALU_DEP_1)
	v_cndmask_b32_e64 v26, v27, v26, s2
	v_mov_b32_dpp v27, v26 quad_perm:[2,3,0,1] row_mask:0xf bank_mask:0xf
	s_delay_alu instid0(VALU_DEP_1) | instskip(NEXT) | instid1(VALU_DEP_1)
	v_cmp_gt_f32_e64 s2, v26, v27
	v_cndmask_b32_e64 v26, v27, v26, s2
	s_delay_alu instid0(VALU_DEP_1) | instskip(NEXT) | instid1(VALU_DEP_1)
	v_mov_b32_dpp v27, v26 row_xmask:7 row_mask:0xf bank_mask:0xf
	v_cmp_gt_f32_e64 s2, v26, v27
	s_delay_alu instid0(VALU_DEP_1) | instskip(NEXT) | instid1(VALU_DEP_1)
	v_cndmask_b32_e64 v26, v27, v26, s2
	v_mov_b32_dpp v27, v26 row_xmask:15 row_mask:0xf bank_mask:0xf
	s_delay_alu instid0(VALU_DEP_1)
	v_cmp_gt_f32_e64 s2, v26, v27
	s_and_saveexec_b32 s24, vcc_lo
	s_cbranch_execz .LBB69_31
; %bb.30:                               ;   in Loop: Header=BB69_24 Depth=1
	s_delay_alu instid0(VALU_DEP_1) | instskip(NEXT) | instid1(VALU_DEP_1)
	v_cndmask_b32_e64 v26, v27, v26, s2
	v_permlanex16_b32 v27, v26, s42, 0xfedcba98 op_sel:[1,1]
	s_delay_alu instid0(VALU_DEP_1) | instskip(NEXT) | instid1(VALU_DEP_1)
	v_cmp_gt_f32_e64 s2, v26, v27
	v_cndmask_b32_e64 v26, v27, v26, s2
	ds_store_b32 v10, v26
.LBB69_31:                              ;   in Loop: Header=BB69_24 Depth=1
	s_or_b32 exec_lo, exec_lo, s24
	s_waitcnt lgkmcnt(0)
	s_waitcnt_vscnt null, 0x0
	s_barrier
	buffer_gl0_inv
	ds_load_b32 v26, v11
	s_mul_i32 s23, s23, s9
	s_waitcnt lgkmcnt(0)
	v_mov_b32_dpp v27, v26 quad_perm:[1,0,3,2] row_mask:0xf bank_mask:0xf
	s_delay_alu instid0(VALU_DEP_1) | instskip(NEXT) | instid1(VALU_DEP_1)
	v_cmp_gt_f32_e64 s2, v26, v27
	v_cndmask_b32_e64 v26, v27, v26, s2
	s_delay_alu instid0(VALU_DEP_1) | instskip(NEXT) | instid1(VALU_DEP_1)
	v_mov_b32_dpp v27, v26 quad_perm:[2,3,0,1] row_mask:0xf bank_mask:0xf
	v_cmp_gt_f32_e64 s2, v26, v27
	s_delay_alu instid0(VALU_DEP_1) | instskip(NEXT) | instid1(VALU_DEP_1)
	v_cndmask_b32_e64 v26, v27, v26, s2
	v_mov_b32_dpp v27, v26 row_xmask:7 row_mask:0xf bank_mask:0xf
	s_delay_alu instid0(VALU_DEP_1) | instskip(NEXT) | instid1(VALU_DEP_1)
	v_cmp_gt_f32_e64 s2, v26, v27
	v_cndmask_b32_e64 v26, v27, v26, s2
	s_mul_i32 s2, s36, s10
	s_delay_alu instid0(SALU_CYCLE_1) | instskip(NEXT) | instid1(VALU_DEP_1)
	s_add_i32 s24, s2, s23
	v_mul_f32_e32 v26, 0x3b124925, v26
	s_and_saveexec_b32 s2, s0
	s_cbranch_execz .LBB69_33
; %bb.32:                               ;   in Loop: Header=BB69_24 Depth=1
	s_ashr_i32 s25, s24, 31
	s_delay_alu instid0(SALU_CYCLE_1) | instskip(NEXT) | instid1(SALU_CYCLE_1)
	s_lshl_b64 s[28:29], s[24:25], 2
	s_add_u32 s28, s14, s28
	s_addc_u32 s29, s15, s29
	global_store_b32 v15, v26, s[28:29]
.LBB69_33:                              ;   in Loop: Header=BB69_24 Depth=1
	s_or_b32 exec_lo, exec_lo, s2
	s_and_saveexec_b32 s2, s1
	s_cbranch_execz .LBB69_22
; %bb.34:                               ;   in Loop: Header=BB69_24 Depth=1
	v_rcp_f32_e32 v26, v26
	s_mul_i32 s23, s24, s41
	s_mul_hi_i32 s24, s24, s41
	s_add_u32 s36, s12, s23
	s_addc_u32 s23, s13, s24
	s_mov_b32 s39, s31
	s_and_b32 s37, s23, 0xffff
	s_waitcnt_depctr 0xfff
	v_mul_f32_e32 v24, v24, v26
	v_mul_f32_e32 v25, v25, v26
	;; [unrolled: 1-line block ×4, first 2 shown]
	;;#ASMSTART
	v_med3_f32 v24, v24, v16, v17
v_med3_f32 v25, v25, v16, v17
v_cvt_pk_fp8_f32 v27, v24, v25
	;;#ASMEND
	;;#ASMSTART
	v_med3_f32 v22, v22, v16, v17
v_med3_f32 v23, v23, v16, v17
v_cvt_pk_fp8_f32 v24, v22, v23
	;;#ASMEND
	v_perm_b32 v22, v24, v27, 0x5040100
	v_and_b32_e32 v24, 0xffffff00, v24
	v_mul_f32_e32 v20, v20, v26
	v_mul_f32_e32 v18, v18, v26
	;; [unrolled: 1-line block ×3, first 2 shown]
	v_lshrrev_b32_e32 v23, 16, v22
	s_delay_alu instid0(VALU_DEP_1) | instskip(NEXT) | instid1(VALU_DEP_1)
	v_and_b32_e32 v23, 0xff, v23
	v_or_b32_e32 v23, v23, v24
	v_mul_f32_e32 v21, v21, v26
	;;#ASMSTART
	v_med3_f32 v21, v21, v16, v17
v_med3_f32 v20, v20, v16, v17
v_cvt_pk_fp8_f32 v24, v21, v20
	;;#ASMEND
	;;#ASMSTART
	v_med3_f32 v18, v18, v16, v17
v_med3_f32 v19, v19, v16, v17
v_cvt_pk_fp8_f32 v20, v18, v19
	;;#ASMEND
	v_lshlrev_b32_e32 v18, 16, v20
	v_lshlrev_b32_e32 v20, 16, v23
	s_delay_alu instid0(VALU_DEP_2) | instskip(NEXT) | instid1(VALU_DEP_2)
	v_and_or_b32 v19, 0xffff, v24, v18
	v_and_or_b32 v18, 0xffff, v22, v20
	buffer_store_b64 v[18:19], v13, s[36:39], 0 offen
	;;#ASMSTART
	s_nop 0
	;;#ASMEND
	s_branch .LBB69_22
.LBB69_35:
	s_nop 0
	s_sendmsg sendmsg(MSG_DEALLOC_VGPRS)
	s_endpgm
	.section	.rodata,"a",@progbits
	.p2align	6, 0x0
	.amdhsa_kernel _ZN5aiter36smooth_per_token_scaled_quant_kernelItDB8_Li256ELi8ELb0ELb1ELb1ELi1024EEEvPT0_PfPT_S4_PiS7_iiPKiiiiiiiii
		.amdhsa_group_segment_fixed_size 4128
		.amdhsa_private_segment_fixed_size 0
		.amdhsa_kernarg_size 96
		.amdhsa_user_sgpr_count 15
		.amdhsa_user_sgpr_dispatch_ptr 0
		.amdhsa_user_sgpr_queue_ptr 0
		.amdhsa_user_sgpr_kernarg_segment_ptr 1
		.amdhsa_user_sgpr_dispatch_id 0
		.amdhsa_user_sgpr_private_segment_size 0
		.amdhsa_wavefront_size32 1
		.amdhsa_uses_dynamic_stack 0
		.amdhsa_enable_private_segment 0
		.amdhsa_system_sgpr_workgroup_id_x 1
		.amdhsa_system_sgpr_workgroup_id_y 0
		.amdhsa_system_sgpr_workgroup_id_z 0
		.amdhsa_system_sgpr_workgroup_info 0
		.amdhsa_system_vgpr_workitem_id 0
		.amdhsa_next_free_vgpr 30
		.amdhsa_next_free_sgpr 43
		.amdhsa_reserve_vcc 1
		.amdhsa_float_round_mode_32 0
		.amdhsa_float_round_mode_16_64 0
		.amdhsa_float_denorm_mode_32 3
		.amdhsa_float_denorm_mode_16_64 3
		.amdhsa_dx10_clamp 1
		.amdhsa_ieee_mode 1
		.amdhsa_fp16_overflow 0
		.amdhsa_workgroup_processor_mode 1
		.amdhsa_memory_ordered 1
		.amdhsa_forward_progress 0
		.amdhsa_shared_vgpr_count 0
		.amdhsa_exception_fp_ieee_invalid_op 0
		.amdhsa_exception_fp_denorm_src 0
		.amdhsa_exception_fp_ieee_div_zero 0
		.amdhsa_exception_fp_ieee_overflow 0
		.amdhsa_exception_fp_ieee_underflow 0
		.amdhsa_exception_fp_ieee_inexact 0
		.amdhsa_exception_int_div_zero 0
	.end_amdhsa_kernel
	.section	.text._ZN5aiter36smooth_per_token_scaled_quant_kernelItDB8_Li256ELi8ELb0ELb1ELb1ELi1024EEEvPT0_PfPT_S4_PiS7_iiPKiiiiiiiii,"axG",@progbits,_ZN5aiter36smooth_per_token_scaled_quant_kernelItDB8_Li256ELi8ELb0ELb1ELb1ELi1024EEEvPT0_PfPT_S4_PiS7_iiPKiiiiiiiii,comdat
.Lfunc_end69:
	.size	_ZN5aiter36smooth_per_token_scaled_quant_kernelItDB8_Li256ELi8ELb0ELb1ELb1ELi1024EEEvPT0_PfPT_S4_PiS7_iiPKiiiiiiiii, .Lfunc_end69-_ZN5aiter36smooth_per_token_scaled_quant_kernelItDB8_Li256ELi8ELb0ELb1ELb1ELi1024EEEvPT0_PfPT_S4_PiS7_iiPKiiiiiiiii
                                        ; -- End function
	.section	.AMDGPU.csdata,"",@progbits
; Kernel info:
; codeLenInByte = 3228
; NumSgprs: 45
; NumVgprs: 30
; ScratchSize: 0
; MemoryBound: 0
; FloatMode: 240
; IeeeMode: 1
; LDSByteSize: 4128 bytes/workgroup (compile time only)
; SGPRBlocks: 5
; VGPRBlocks: 3
; NumSGPRsForWavesPerEU: 45
; NumVGPRsForWavesPerEU: 30
; Occupancy: 16
; WaveLimiterHint : 0
; COMPUTE_PGM_RSRC2:SCRATCH_EN: 0
; COMPUTE_PGM_RSRC2:USER_SGPR: 15
; COMPUTE_PGM_RSRC2:TRAP_HANDLER: 0
; COMPUTE_PGM_RSRC2:TGID_X_EN: 1
; COMPUTE_PGM_RSRC2:TGID_Y_EN: 0
; COMPUTE_PGM_RSRC2:TGID_Z_EN: 0
; COMPUTE_PGM_RSRC2:TIDIG_COMP_CNT: 0
	.section	.text._ZN5aiter36smooth_per_token_scaled_quant_kernelIDF16_DB8_Li256ELi8ELb0ELb1ELb0ELi1024EEEvPT0_PfPT_S4_PiS7_iiPKiiiiiiiii,"axG",@progbits,_ZN5aiter36smooth_per_token_scaled_quant_kernelIDF16_DB8_Li256ELi8ELb0ELb1ELb0ELi1024EEEvPT0_PfPT_S4_PiS7_iiPKiiiiiiiii,comdat
	.protected	_ZN5aiter36smooth_per_token_scaled_quant_kernelIDF16_DB8_Li256ELi8ELb0ELb1ELb0ELi1024EEEvPT0_PfPT_S4_PiS7_iiPKiiiiiiiii ; -- Begin function _ZN5aiter36smooth_per_token_scaled_quant_kernelIDF16_DB8_Li256ELi8ELb0ELb1ELb0ELi1024EEEvPT0_PfPT_S4_PiS7_iiPKiiiiiiiii
	.globl	_ZN5aiter36smooth_per_token_scaled_quant_kernelIDF16_DB8_Li256ELi8ELb0ELb1ELb0ELi1024EEEvPT0_PfPT_S4_PiS7_iiPKiiiiiiiii
	.p2align	8
	.type	_ZN5aiter36smooth_per_token_scaled_quant_kernelIDF16_DB8_Li256ELi8ELb0ELb1ELb0ELi1024EEEvPT0_PfPT_S4_PiS7_iiPKiiiiiiiii,@function
_ZN5aiter36smooth_per_token_scaled_quant_kernelIDF16_DB8_Li256ELi8ELb0ELb1ELb0ELi1024EEEvPT0_PfPT_S4_PiS7_iiPKiiiiiiiii: ; @_ZN5aiter36smooth_per_token_scaled_quant_kernelIDF16_DB8_Li256ELi8ELb0ELb1ELb0ELi1024EEEvPT0_PfPT_S4_PiS7_iiPKiiiiiiiii
; %bb.0:
	s_clause 0x1
	s_load_b64 s[2:3], s[0:1], 0x38
	s_load_b256 s[4:11], s[0:1], 0x40
	s_waitcnt lgkmcnt(0)
	s_cmp_lg_u64 s[2:3], 0
	s_cbranch_scc0 .LBB70_11
; %bb.1:
	s_load_b32 s2, s[2:3], 0x0
	s_waitcnt lgkmcnt(0)
	s_mul_i32 s4, s2, s4
	s_cbranch_execnz .LBB70_3
.LBB70_2:
	s_mul_i32 s4, s6, s5
.LBB70_3:
	s_load_b64 s[2:3], s[0:1], 0x30
	s_abs_i32 s13, s4
	s_waitcnt lgkmcnt(0)
	s_abs_i32 s5, s2
	s_delay_alu instid0(SALU_CYCLE_1) | instskip(SKIP_1) | instid1(VALU_DEP_1)
	v_cvt_f32_u32_e32 v1, s5
	s_sub_i32 s12, 0, s5
	v_rcp_iflag_f32_e32 v1, v1
	s_waitcnt_depctr 0xfff
	v_mul_f32_e32 v1, 0x4f7ffffe, v1
	s_delay_alu instid0(VALU_DEP_1) | instskip(NEXT) | instid1(VALU_DEP_1)
	v_cvt_u32_f32_e32 v1, v1
	v_readfirstlane_b32 s11, v1
	s_delay_alu instid0(VALU_DEP_1) | instskip(NEXT) | instid1(SALU_CYCLE_1)
	s_mul_i32 s12, s12, s11
	s_mul_hi_u32 s12, s11, s12
	s_delay_alu instid0(SALU_CYCLE_1) | instskip(SKIP_4) | instid1(SALU_CYCLE_1)
	s_add_i32 s11, s11, s12
	s_xor_b32 s12, s4, s2
	s_mul_hi_u32 s11, s13, s11
	s_ashr_i32 s12, s12, 31
	s_mul_i32 s14, s11, s5
	s_sub_i32 s13, s13, s14
	s_add_i32 s14, s11, 1
	s_sub_i32 s16, s13, s5
	s_cmp_ge_u32 s13, s5
	s_cselect_b32 s11, s14, s11
	s_cselect_b32 s13, s16, s13
	s_add_i32 s14, s11, 1
	s_cmp_ge_u32 s13, s5
	s_cselect_b32 s5, s14, s11
	s_delay_alu instid0(SALU_CYCLE_1) | instskip(NEXT) | instid1(SALU_CYCLE_1)
	s_xor_b32 s5, s5, s12
	s_sub_i32 s11, s5, s12
	s_mov_b32 s12, 0
	s_mul_i32 s2, s11, s2
	s_delay_alu instid0(SALU_CYCLE_1) | instskip(NEXT) | instid1(SALU_CYCLE_1)
	s_sub_i32 s4, s4, s2
	s_cmp_lt_u32 s15, s4
	s_cselect_b32 s2, -1, 0
	s_add_i32 s5, s11, 1
	s_cmp_ge_u32 s15, s4
	s_cbranch_scc0 .LBB70_5
; %bb.4:
	s_sub_i32 s13, s15, s4
	s_mul_i32 s4, s4, s5
	s_mul_i32 s13, s13, s11
	s_delay_alu instid0(SALU_CYCLE_1)
	s_add_i32 s4, s13, s4
	s_and_not1_b32 vcc_lo, exec_lo, s12
	s_cbranch_vccz .LBB70_6
	s_branch .LBB70_7
.LBB70_5:
                                        ; implicit-def: $sgpr4
.LBB70_6:
	s_mul_i32 s4, s5, s15
.LBB70_7:
	v_cndmask_b32_e64 v1, 0, 1, s2
	s_delay_alu instid0(VALU_DEP_1) | instskip(NEXT) | instid1(VALU_DEP_1)
	v_readfirstlane_b32 s2, v1
	s_add_i32 s11, s11, s2
	s_delay_alu instid0(SALU_CYCLE_1)
	s_cmp_lt_i32 s11, 1
	s_cbranch_scc1 .LBB70_35
; %bb.8:
	s_load_b64 s[12:13], s[0:1], 0x20
	s_ashr_i32 s5, s4, 31
	v_and_b32_e32 v1, 31, v0
	s_lshl_b64 s[14:15], s[4:5], 2
	s_mov_b32 s35, -1
	v_lshrrev_b32_e32 v3, 3, v0
	s_mov_b32 s23, s35
	v_cmp_eq_u32_e32 vcc_lo, 31, v1
	v_and_b32_e32 v4, 7, v0
	v_lshlrev_b32_e32 v9, 4, v0
	v_lshlrev_b32_e32 v10, 5, v0
	v_and_b32_e32 v11, 0x7c, v3
	v_lshlrev_b32_e32 v13, 3, v0
	v_lshlrev_b32_e32 v12, 2, v4
	s_mov_b32 s34, s3
	s_waitcnt lgkmcnt(0)
	s_add_u32 s20, s12, s14
	s_addc_u32 s2, s13, s15
	s_abs_i32 s33, s6
	s_lshl_b32 s22, s11, 2
	v_cvt_f32_u32_e32 v2, s33
	s_and_b32 s21, s2, 0xffff
	s_load_b256 s[12:19], s[0:1], 0x0
	s_add_i32 s1, s3, 7
	v_cmp_eq_u32_e64 s0, 0, v0
	v_rcp_iflag_f32_e32 v2, v2
	v_lshlrev_b32_e32 v14, 2, v1
	s_ashr_i32 s2, s1, 31
	s_lshl_b32 s26, s3, 1
	s_lshr_b32 s2, s2, 29
	s_lshl_b32 s30, s3, 2
	s_add_i32 s1, s1, s2
	s_ashr_i32 s40, s6, 31
	s_ashr_i32 s1, s1, 3
	s_waitcnt_depctr 0xfff
	v_mul_f32_e32 v1, 0x4f7ffffe, v2
	buffer_load_b32 v8, v14, s[20:23], 0 offen
	s_add_i32 s23, s3, 3
	v_cmp_gt_u32_e64 s1, s1, v0
	s_ashr_i32 s2, s23, 31
	v_cvt_u32_f32_e32 v1, v1
	s_lshr_b32 s2, s2, 30
	s_waitcnt vmcnt(3) expcnt(0) lgkmcnt(55)
	s_add_i32 s23, s23, s2
	s_sub_i32 s2, 0, s33
	v_readfirstlane_b32 s41, v1
	s_and_b32 s38, s23, -4
	s_waitcnt vmcnt(0) lgkmcnt(0)
	s_barrier
	buffer_gl0_inv
	s_mul_i32 s23, s2, s41
	s_delay_alu instid0(SALU_CYCLE_1) | instskip(NEXT) | instid1(SALU_CYCLE_1)
	s_mul_hi_u32 s23, s41, s23
	s_add_i32 s41, s41, s23
	v_readlane_b32 s2, v8, 0
	s_delay_alu instid0(VALU_DEP_1)
	s_cmp_lt_i32 s2, 0
	s_cbranch_scc1 .LBB70_12
; %bb.9:
	s_abs_i32 s23, s4
	s_xor_b32 s5, s5, s40
	s_mul_hi_u32 s24, s23, s41
	s_mov_b32 s31, -1
	s_mul_i32 s25, s24, s33
	s_delay_alu instid0(SALU_CYCLE_1)
	s_sub_i32 s23, s23, s25
	s_add_i32 s25, s24, 1
	s_sub_i32 s27, s23, s33
	s_cmp_ge_u32 s23, s33
	s_cselect_b32 s24, s25, s24
	s_cselect_b32 s23, s27, s23
	s_add_i32 s25, s24, 1
	s_cmp_ge_u32 s23, s33
	s_cselect_b32 s23, s25, s24
	s_delay_alu instid0(SALU_CYCLE_1) | instskip(NEXT) | instid1(SALU_CYCLE_1)
	s_xor_b32 s23, s23, s5
	s_sub_i32 s5, s23, s5
	s_delay_alu instid0(SALU_CYCLE_1) | instskip(SKIP_2) | instid1(SALU_CYCLE_1)
	s_mul_i32 s23, s5, s6
	s_mul_i32 s25, s5, s7
	s_sub_i32 s23, s4, s23
	s_mul_i32 s24, s23, s8
	s_delay_alu instid0(SALU_CYCLE_1) | instskip(NEXT) | instid1(SALU_CYCLE_1)
	s_add_i32 s35, s24, s25
	s_cmp_eq_u32 s35, -1
	s_cbranch_scc1 .LBB70_13
; %bb.10:
	s_mul_hi_i32 s25, s35, s34
	s_mul_i32 s24, s35, s34
	s_mov_b32 s27, s31
	s_lshl_b64 s[24:25], s[24:25], 1
	s_delay_alu instid0(SALU_CYCLE_1) | instskip(SKIP_1) | instid1(SALU_CYCLE_1)
	s_add_u32 s24, s16, s24
	s_addc_u32 s25, s17, s25
	s_and_b32 s25, s25, 0xffff
	buffer_load_b128 v[3:6], v9, s[24:27], 0 offen
	s_waitcnt vmcnt(0)
	v_cvt_f32_f16_e32 v0, v3
	v_lshrrev_b32_e32 v1, 16, v3
	v_cvt_f32_f16_e32 v2, v4
	v_lshrrev_b32_e32 v3, 16, v4
	;; [unrolled: 2-line block ×3, first 2 shown]
	v_lshrrev_b32_e32 v7, 16, v6
	v_cvt_f32_f16_e32 v6, v6
	v_cvt_f32_f16_e32 v1, v1
	;; [unrolled: 1-line block ×5, first 2 shown]
	s_branch .LBB70_14
.LBB70_11:
                                        ; implicit-def: $sgpr4
	s_branch .LBB70_2
.LBB70_12:
                                        ; implicit-def: $vgpr0_vgpr1_vgpr2_vgpr3_vgpr4_vgpr5_vgpr6_vgpr7
	s_cmp_eq_u32 s11, 1
	s_mov_b32 s5, 1
	s_cbranch_scc0 .LBB70_21
	s_branch .LBB70_35
.LBB70_13:
                                        ; implicit-def: $vgpr0_vgpr1_vgpr2_vgpr3_vgpr4_vgpr5_vgpr6_vgpr7
.LBB70_14:
	s_mul_i32 s24, s2, s3
	s_delay_alu instid0(SALU_CYCLE_1) | instskip(NEXT) | instid1(SALU_CYCLE_1)
	s_ashr_i32 s25, s24, 31
	s_lshl_b64 s[24:25], s[24:25], 2
	s_delay_alu instid0(SALU_CYCLE_1) | instskip(SKIP_1) | instid1(SALU_CYCLE_1)
	s_add_u32 s28, s18, s24
	s_addc_u32 s2, s19, s25
	s_and_b32 s29, s2, 0xffff
	s_clause 0x1
	buffer_load_b128 v[15:18], v10, s[28:31], 0 offen
	buffer_load_b128 v[23:26], v10, s[28:31], 16 offen
	s_waitcnt vmcnt(1)
	v_dual_mul_f32 v21, v0, v15 :: v_dual_mul_f32 v22, v1, v16
	v_dual_mul_f32 v19, v2, v17 :: v_dual_mul_f32 v20, v3, v18
	s_waitcnt vmcnt(0)
	v_dual_mul_f32 v18, v4, v23 :: v_dual_mul_f32 v17, v5, v24
	s_delay_alu instid0(VALU_DEP_3) | instskip(SKIP_1) | instid1(VALU_DEP_2)
	v_max3_f32 v15, |v21|, 0x2edbe6ff, |v22|
	v_mul_f32_e32 v16, v7, v26
	v_max3_f32 v23, v15, |v19|, |v20|
	v_mul_f32_e32 v15, v6, v25
	s_delay_alu instid0(VALU_DEP_2) | instskip(NEXT) | instid1(VALU_DEP_1)
	v_max3_f32 v23, v23, |v18|, |v17|
	v_max3_f32 v23, v23, |v15|, |v16|
	s_delay_alu instid0(VALU_DEP_1) | instskip(NEXT) | instid1(VALU_DEP_1)
	v_mov_b32_dpp v24, v23 quad_perm:[1,0,3,2] row_mask:0xf bank_mask:0xf
	v_cmp_gt_f32_e64 s2, v23, v24
	s_delay_alu instid0(VALU_DEP_1) | instskip(NEXT) | instid1(VALU_DEP_1)
	v_cndmask_b32_e64 v23, v24, v23, s2
	v_mov_b32_dpp v24, v23 quad_perm:[2,3,0,1] row_mask:0xf bank_mask:0xf
	s_delay_alu instid0(VALU_DEP_1) | instskip(NEXT) | instid1(VALU_DEP_1)
	v_cmp_gt_f32_e64 s2, v23, v24
	v_cndmask_b32_e64 v23, v24, v23, s2
	s_delay_alu instid0(VALU_DEP_1) | instskip(NEXT) | instid1(VALU_DEP_1)
	v_mov_b32_dpp v24, v23 row_xmask:7 row_mask:0xf bank_mask:0xf
	v_cmp_gt_f32_e64 s2, v23, v24
	s_delay_alu instid0(VALU_DEP_1) | instskip(NEXT) | instid1(VALU_DEP_1)
	v_cndmask_b32_e64 v23, v24, v23, s2
	v_mov_b32_dpp v24, v23 row_xmask:15 row_mask:0xf bank_mask:0xf
	s_delay_alu instid0(VALU_DEP_1)
	v_cmp_gt_f32_e64 s2, v23, v24
	s_and_saveexec_b32 s24, vcc_lo
	s_cbranch_execz .LBB70_16
; %bb.15:
	s_delay_alu instid0(VALU_DEP_1)
	v_cndmask_b32_e64 v23, v24, v23, s2
	s_mov_b32 s2, 0x76543210
	s_delay_alu instid0(VALU_DEP_1) | instid1(SALU_CYCLE_1)
	v_permlanex16_b32 v24, v23, s2, 0xfedcba98 op_sel:[1,1]
	s_delay_alu instid0(VALU_DEP_1) | instskip(NEXT) | instid1(VALU_DEP_1)
	v_cmp_gt_f32_e64 s2, v23, v24
	v_cndmask_b32_e64 v23, v24, v23, s2
	ds_store_b32 v11, v23
.LBB70_16:
	s_or_b32 exec_lo, exec_lo, s24
	s_waitcnt lgkmcnt(0)
	s_barrier
	buffer_gl0_inv
	ds_load_b32 v23, v12
	s_mul_i32 s5, s5, s9
	s_waitcnt lgkmcnt(0)
	v_mov_b32_dpp v24, v23 quad_perm:[1,0,3,2] row_mask:0xf bank_mask:0xf
	s_delay_alu instid0(VALU_DEP_1) | instskip(NEXT) | instid1(VALU_DEP_1)
	v_cmp_gt_f32_e64 s2, v23, v24
	v_cndmask_b32_e64 v23, v24, v23, s2
	s_delay_alu instid0(VALU_DEP_1) | instskip(NEXT) | instid1(VALU_DEP_1)
	v_mov_b32_dpp v24, v23 quad_perm:[2,3,0,1] row_mask:0xf bank_mask:0xf
	v_cmp_gt_f32_e64 s2, v23, v24
	s_delay_alu instid0(VALU_DEP_1) | instskip(NEXT) | instid1(VALU_DEP_1)
	v_cndmask_b32_e64 v23, v24, v23, s2
	v_mov_b32_dpp v24, v23 row_xmask:7 row_mask:0xf bank_mask:0xf
	s_delay_alu instid0(VALU_DEP_1) | instskip(NEXT) | instid1(VALU_DEP_1)
	v_cmp_gt_f32_e64 s2, v23, v24
	v_cndmask_b32_e64 v23, v24, v23, s2
	s_mul_i32 s2, s23, s10
	s_delay_alu instid0(SALU_CYCLE_1) | instskip(NEXT) | instid1(VALU_DEP_1)
	s_add_i32 s24, s2, s5
	v_mul_f32_e32 v23, 0x3b124925, v23
	s_and_saveexec_b32 s2, s0
	s_cbranch_execz .LBB70_18
; %bb.17:
	s_ashr_i32 s25, s24, 31
	v_mov_b32_e32 v24, 0
	s_lshl_b64 s[28:29], s[24:25], 2
	s_delay_alu instid0(SALU_CYCLE_1)
	s_add_u32 s28, s14, s28
	s_addc_u32 s29, s15, s29
	global_store_b32 v24, v23, s[28:29]
.LBB70_18:
	s_or_b32 exec_lo, exec_lo, s2
	s_and_saveexec_b32 s2, s1
	s_cbranch_execz .LBB70_20
; %bb.19:
	v_rcp_f32_e32 v23, v23
	v_mov_b32_e32 v24, 0xc3e00000
	v_mov_b32_e32 v25, 0x43e00000
	s_mul_i32 s5, s24, s34
	s_mul_hi_i32 s23, s24, s34
	s_add_u32 s36, s12, s5
	s_addc_u32 s5, s13, s23
	s_mov_b32 s39, -1
	s_and_b32 s37, s5, 0xffff
	s_waitcnt_depctr 0xfff
	v_mul_f32_e32 v22, v22, v23
	v_mul_f32_e32 v21, v21, v23
	;; [unrolled: 1-line block ×4, first 2 shown]
	;;#ASMSTART
	v_med3_f32 v21, v21, v24, v25
v_med3_f32 v22, v22, v24, v25
v_cvt_pk_fp8_f32 v26, v21, v22
	;;#ASMEND
	;;#ASMSTART
	v_med3_f32 v19, v19, v24, v25
v_med3_f32 v20, v20, v24, v25
v_cvt_pk_fp8_f32 v21, v19, v20
	;;#ASMEND
	v_perm_b32 v19, v21, v26, 0x5040100
	v_dual_mul_f32 v18, v18, v23 :: v_dual_and_b32 v21, 0xffffff00, v21
	v_mul_f32_e32 v17, v17, v23
	v_mul_f32_e32 v15, v15, v23
	s_delay_alu instid0(VALU_DEP_4) | instskip(NEXT) | instid1(VALU_DEP_1)
	v_lshrrev_b32_e32 v20, 16, v19
	v_and_b32_e32 v20, 0xff, v20
	s_delay_alu instid0(VALU_DEP_1)
	v_or_b32_e32 v20, v20, v21
	v_mul_f32_e32 v16, v16, v23
	;;#ASMSTART
	v_med3_f32 v18, v18, v24, v25
v_med3_f32 v17, v17, v24, v25
v_cvt_pk_fp8_f32 v21, v18, v17
	;;#ASMEND
	;;#ASMSTART
	v_med3_f32 v15, v15, v24, v25
v_med3_f32 v16, v16, v24, v25
v_cvt_pk_fp8_f32 v17, v15, v16
	;;#ASMEND
	v_lshlrev_b32_e32 v15, 16, v17
	v_lshlrev_b32_e32 v17, 16, v20
	s_delay_alu instid0(VALU_DEP_2) | instskip(NEXT) | instid1(VALU_DEP_2)
	v_and_or_b32 v16, 0xffff, v21, v15
	v_and_or_b32 v15, 0xffff, v19, v17
	buffer_store_b64 v[15:16], v13, s[36:39], 0 offen
	;;#ASMSTART
	s_nop 0
	;;#ASMEND
.LBB70_20:
	s_or_b32 exec_lo, exec_lo, s2
	s_cmp_eq_u32 s11, 1
	s_mov_b32 s5, 1
	s_cbranch_scc1 .LBB70_35
.LBB70_21:
	v_dual_mov_b32 v15, 0 :: v_dual_add_nc_u32 v14, 4, v14
	v_mov_b32_e32 v16, 0xc3e00000
	v_mov_b32_e32 v17, 0x43e00000
	s_mov_b32 s31, -1
	s_mov_b32 s42, 0x76543210
	s_branch .LBB70_24
.LBB70_22:                              ;   in Loop: Header=BB70_24 Depth=1
	s_or_b32 exec_lo, exec_lo, s2
.LBB70_23:                              ;   in Loop: Header=BB70_24 Depth=1
	v_add_nc_u32_e32 v14, 4, v14
	s_add_i32 s5, s5, 1
	s_delay_alu instid0(SALU_CYCLE_1)
	s_cmp_eq_u32 s11, s5
	s_cbranch_scc1 .LBB70_35
.LBB70_24:                              ; =>This Inner Loop Header: Depth=1
	s_and_b32 s2, s5, 31
	s_delay_alu instid0(SALU_CYCLE_1)
	s_cmp_lg_u32 s2, 0
	s_cbranch_scc1 .LBB70_26
; %bb.25:                               ;   in Loop: Header=BB70_24 Depth=1
	s_mov_b32 s23, s31
	buffer_load_b32 v8, v14, s[20:23], 0 offen
	s_waitcnt vmcnt(3) expcnt(0) lgkmcnt(55)
.LBB70_26:                              ;   in Loop: Header=BB70_24 Depth=1
	s_waitcnt vmcnt(0)
	v_readlane_b32 s2, v8, s2
	s_delay_alu instid0(VALU_DEP_1)
	s_cmp_lt_i32 s2, 0
	s_cbranch_scc1 .LBB70_23
; %bb.27:                               ;   in Loop: Header=BB70_24 Depth=1
	s_add_i32 s24, s4, s5
	s_delay_alu instid0(SALU_CYCLE_1) | instskip(SKIP_4) | instid1(SALU_CYCLE_1)
	s_abs_i32 s23, s24
	s_ashr_i32 s27, s24, 31
	s_mul_hi_u32 s25, s23, s41
	s_xor_b32 s27, s27, s40
	s_mul_i32 s28, s25, s33
	s_sub_i32 s23, s23, s28
	s_add_i32 s28, s25, 1
	s_sub_i32 s29, s23, s33
	s_cmp_ge_u32 s23, s33
	s_cselect_b32 s25, s28, s25
	s_cselect_b32 s23, s29, s23
	s_add_i32 s28, s25, 1
	s_cmp_ge_u32 s23, s33
	s_cselect_b32 s23, s28, s25
	s_delay_alu instid0(SALU_CYCLE_1) | instskip(NEXT) | instid1(SALU_CYCLE_1)
	s_xor_b32 s23, s23, s27
	s_sub_i32 s23, s23, s27
	s_delay_alu instid0(SALU_CYCLE_1) | instskip(NEXT) | instid1(SALU_CYCLE_1)
	s_mul_i32 s25, s23, s6
	s_sub_i32 s36, s24, s25
	s_mul_i32 s24, s23, s7
	s_mul_i32 s28, s36, s8
	s_delay_alu instid0(SALU_CYCLE_1) | instskip(NEXT) | instid1(SALU_CYCLE_1)
	s_add_i32 s28, s28, s24
	s_cmp_eq_u32 s28, s35
	s_cbranch_scc1 .LBB70_29
; %bb.28:                               ;   in Loop: Header=BB70_24 Depth=1
	s_mul_hi_i32 s25, s28, s34
	s_mul_i32 s24, s28, s34
	s_mov_b32 s27, s31
	s_lshl_b64 s[24:25], s[24:25], 1
	s_mov_b32 s35, s28
	s_add_u32 s24, s16, s24
	s_addc_u32 s25, s17, s25
	s_delay_alu instid0(SALU_CYCLE_1)
	s_and_b32 s25, s25, 0xffff
	buffer_load_b128 v[3:6], v9, s[24:27], 0 offen
	s_waitcnt vmcnt(0)
	v_cvt_f32_f16_e32 v0, v3
	v_lshrrev_b32_e32 v1, 16, v3
	v_cvt_f32_f16_e32 v2, v4
	v_lshrrev_b32_e32 v3, 16, v4
	;; [unrolled: 2-line block ×3, first 2 shown]
	v_lshrrev_b32_e32 v7, 16, v6
	v_cvt_f32_f16_e32 v6, v6
	v_cvt_f32_f16_e32 v1, v1
	;; [unrolled: 1-line block ×5, first 2 shown]
.LBB70_29:                              ;   in Loop: Header=BB70_24 Depth=1
	s_mul_i32 s24, s2, s3
	s_delay_alu instid0(SALU_CYCLE_1) | instskip(NEXT) | instid1(SALU_CYCLE_1)
	s_ashr_i32 s25, s24, 31
	s_lshl_b64 s[24:25], s[24:25], 2
	s_delay_alu instid0(SALU_CYCLE_1) | instskip(SKIP_1) | instid1(SALU_CYCLE_1)
	s_add_u32 s28, s18, s24
	s_addc_u32 s2, s19, s25
	s_and_b32 s29, s2, 0xffff
	s_clause 0x1
	buffer_load_b128 v[18:21], v10, s[28:31], 0 offen
	buffer_load_b128 v[26:29], v10, s[28:31], 16 offen
	s_waitcnt vmcnt(1)
	v_dual_mul_f32 v24, v0, v18 :: v_dual_mul_f32 v25, v1, v19
	v_dual_mul_f32 v22, v2, v20 :: v_dual_mul_f32 v23, v3, v21
	s_waitcnt vmcnt(0)
	v_dual_mul_f32 v21, v4, v26 :: v_dual_mul_f32 v20, v5, v27
	s_delay_alu instid0(VALU_DEP_3) | instskip(SKIP_1) | instid1(VALU_DEP_2)
	v_max3_f32 v18, |v24|, 0x2edbe6ff, |v25|
	v_mul_f32_e32 v19, v7, v29
	v_max3_f32 v26, v18, |v22|, |v23|
	v_mul_f32_e32 v18, v6, v28
	s_delay_alu instid0(VALU_DEP_2) | instskip(NEXT) | instid1(VALU_DEP_1)
	v_max3_f32 v26, v26, |v21|, |v20|
	v_max3_f32 v26, v26, |v18|, |v19|
	s_delay_alu instid0(VALU_DEP_1) | instskip(NEXT) | instid1(VALU_DEP_1)
	v_mov_b32_dpp v27, v26 quad_perm:[1,0,3,2] row_mask:0xf bank_mask:0xf
	v_cmp_gt_f32_e64 s2, v26, v27
	s_delay_alu instid0(VALU_DEP_1) | instskip(NEXT) | instid1(VALU_DEP_1)
	v_cndmask_b32_e64 v26, v27, v26, s2
	v_mov_b32_dpp v27, v26 quad_perm:[2,3,0,1] row_mask:0xf bank_mask:0xf
	s_delay_alu instid0(VALU_DEP_1) | instskip(NEXT) | instid1(VALU_DEP_1)
	v_cmp_gt_f32_e64 s2, v26, v27
	v_cndmask_b32_e64 v26, v27, v26, s2
	s_delay_alu instid0(VALU_DEP_1) | instskip(NEXT) | instid1(VALU_DEP_1)
	v_mov_b32_dpp v27, v26 row_xmask:7 row_mask:0xf bank_mask:0xf
	v_cmp_gt_f32_e64 s2, v26, v27
	s_delay_alu instid0(VALU_DEP_1) | instskip(NEXT) | instid1(VALU_DEP_1)
	v_cndmask_b32_e64 v26, v27, v26, s2
	v_mov_b32_dpp v27, v26 row_xmask:15 row_mask:0xf bank_mask:0xf
	s_delay_alu instid0(VALU_DEP_1)
	v_cmp_gt_f32_e64 s2, v26, v27
	s_and_saveexec_b32 s24, vcc_lo
	s_cbranch_execz .LBB70_31
; %bb.30:                               ;   in Loop: Header=BB70_24 Depth=1
	s_delay_alu instid0(VALU_DEP_1) | instskip(NEXT) | instid1(VALU_DEP_1)
	v_cndmask_b32_e64 v26, v27, v26, s2
	v_permlanex16_b32 v27, v26, s42, 0xfedcba98 op_sel:[1,1]
	s_delay_alu instid0(VALU_DEP_1) | instskip(NEXT) | instid1(VALU_DEP_1)
	v_cmp_gt_f32_e64 s2, v26, v27
	v_cndmask_b32_e64 v26, v27, v26, s2
	ds_store_b32 v11, v26
.LBB70_31:                              ;   in Loop: Header=BB70_24 Depth=1
	s_or_b32 exec_lo, exec_lo, s24
	s_waitcnt lgkmcnt(0)
	s_waitcnt_vscnt null, 0x0
	s_barrier
	buffer_gl0_inv
	ds_load_b32 v26, v12
	s_mul_i32 s23, s23, s9
	s_waitcnt lgkmcnt(0)
	v_mov_b32_dpp v27, v26 quad_perm:[1,0,3,2] row_mask:0xf bank_mask:0xf
	s_delay_alu instid0(VALU_DEP_1) | instskip(NEXT) | instid1(VALU_DEP_1)
	v_cmp_gt_f32_e64 s2, v26, v27
	v_cndmask_b32_e64 v26, v27, v26, s2
	s_delay_alu instid0(VALU_DEP_1) | instskip(NEXT) | instid1(VALU_DEP_1)
	v_mov_b32_dpp v27, v26 quad_perm:[2,3,0,1] row_mask:0xf bank_mask:0xf
	v_cmp_gt_f32_e64 s2, v26, v27
	s_delay_alu instid0(VALU_DEP_1) | instskip(NEXT) | instid1(VALU_DEP_1)
	v_cndmask_b32_e64 v26, v27, v26, s2
	v_mov_b32_dpp v27, v26 row_xmask:7 row_mask:0xf bank_mask:0xf
	s_delay_alu instid0(VALU_DEP_1) | instskip(NEXT) | instid1(VALU_DEP_1)
	v_cmp_gt_f32_e64 s2, v26, v27
	v_cndmask_b32_e64 v26, v27, v26, s2
	s_mul_i32 s2, s36, s10
	s_delay_alu instid0(SALU_CYCLE_1) | instskip(NEXT) | instid1(VALU_DEP_1)
	s_add_i32 s24, s2, s23
	v_mul_f32_e32 v26, 0x3b124925, v26
	s_and_saveexec_b32 s2, s0
	s_cbranch_execz .LBB70_33
; %bb.32:                               ;   in Loop: Header=BB70_24 Depth=1
	s_ashr_i32 s25, s24, 31
	s_delay_alu instid0(SALU_CYCLE_1) | instskip(NEXT) | instid1(SALU_CYCLE_1)
	s_lshl_b64 s[28:29], s[24:25], 2
	s_add_u32 s28, s14, s28
	s_addc_u32 s29, s15, s29
	global_store_b32 v15, v26, s[28:29]
.LBB70_33:                              ;   in Loop: Header=BB70_24 Depth=1
	s_or_b32 exec_lo, exec_lo, s2
	s_and_saveexec_b32 s2, s1
	s_cbranch_execz .LBB70_22
; %bb.34:                               ;   in Loop: Header=BB70_24 Depth=1
	v_rcp_f32_e32 v26, v26
	s_mul_i32 s23, s24, s34
	s_mul_hi_i32 s24, s24, s34
	s_add_u32 s36, s12, s23
	s_addc_u32 s23, s13, s24
	s_mov_b32 s39, s31
	s_and_b32 s37, s23, 0xffff
	s_waitcnt_depctr 0xfff
	v_mul_f32_e32 v24, v24, v26
	v_mul_f32_e32 v25, v25, v26
	;; [unrolled: 1-line block ×4, first 2 shown]
	;;#ASMSTART
	v_med3_f32 v24, v24, v16, v17
v_med3_f32 v25, v25, v16, v17
v_cvt_pk_fp8_f32 v27, v24, v25
	;;#ASMEND
	;;#ASMSTART
	v_med3_f32 v22, v22, v16, v17
v_med3_f32 v23, v23, v16, v17
v_cvt_pk_fp8_f32 v24, v22, v23
	;;#ASMEND
	v_perm_b32 v22, v24, v27, 0x5040100
	v_and_b32_e32 v24, 0xffffff00, v24
	v_mul_f32_e32 v20, v20, v26
	v_mul_f32_e32 v18, v18, v26
	;; [unrolled: 1-line block ×3, first 2 shown]
	v_lshrrev_b32_e32 v23, 16, v22
	s_delay_alu instid0(VALU_DEP_1) | instskip(NEXT) | instid1(VALU_DEP_1)
	v_and_b32_e32 v23, 0xff, v23
	v_or_b32_e32 v23, v23, v24
	v_mul_f32_e32 v21, v21, v26
	;;#ASMSTART
	v_med3_f32 v21, v21, v16, v17
v_med3_f32 v20, v20, v16, v17
v_cvt_pk_fp8_f32 v24, v21, v20
	;;#ASMEND
	;;#ASMSTART
	v_med3_f32 v18, v18, v16, v17
v_med3_f32 v19, v19, v16, v17
v_cvt_pk_fp8_f32 v20, v18, v19
	;;#ASMEND
	v_lshlrev_b32_e32 v18, 16, v20
	v_lshlrev_b32_e32 v20, 16, v23
	s_delay_alu instid0(VALU_DEP_2) | instskip(NEXT) | instid1(VALU_DEP_2)
	v_and_or_b32 v19, 0xffff, v24, v18
	v_and_or_b32 v18, 0xffff, v22, v20
	buffer_store_b64 v[18:19], v13, s[36:39], 0 offen
	;;#ASMSTART
	s_nop 0
	;;#ASMEND
	s_branch .LBB70_22
.LBB70_35:
	s_nop 0
	s_sendmsg sendmsg(MSG_DEALLOC_VGPRS)
	s_endpgm
	.section	.rodata,"a",@progbits
	.p2align	6, 0x0
	.amdhsa_kernel _ZN5aiter36smooth_per_token_scaled_quant_kernelIDF16_DB8_Li256ELi8ELb0ELb1ELb0ELi1024EEEvPT0_PfPT_S4_PiS7_iiPKiiiiiiiii
		.amdhsa_group_segment_fixed_size 32
		.amdhsa_private_segment_fixed_size 0
		.amdhsa_kernarg_size 96
		.amdhsa_user_sgpr_count 15
		.amdhsa_user_sgpr_dispatch_ptr 0
		.amdhsa_user_sgpr_queue_ptr 0
		.amdhsa_user_sgpr_kernarg_segment_ptr 1
		.amdhsa_user_sgpr_dispatch_id 0
		.amdhsa_user_sgpr_private_segment_size 0
		.amdhsa_wavefront_size32 1
		.amdhsa_uses_dynamic_stack 0
		.amdhsa_enable_private_segment 0
		.amdhsa_system_sgpr_workgroup_id_x 1
		.amdhsa_system_sgpr_workgroup_id_y 0
		.amdhsa_system_sgpr_workgroup_id_z 0
		.amdhsa_system_sgpr_workgroup_info 0
		.amdhsa_system_vgpr_workitem_id 0
		.amdhsa_next_free_vgpr 30
		.amdhsa_next_free_sgpr 43
		.amdhsa_reserve_vcc 1
		.amdhsa_float_round_mode_32 0
		.amdhsa_float_round_mode_16_64 0
		.amdhsa_float_denorm_mode_32 3
		.amdhsa_float_denorm_mode_16_64 3
		.amdhsa_dx10_clamp 1
		.amdhsa_ieee_mode 1
		.amdhsa_fp16_overflow 0
		.amdhsa_workgroup_processor_mode 1
		.amdhsa_memory_ordered 1
		.amdhsa_forward_progress 0
		.amdhsa_shared_vgpr_count 0
		.amdhsa_exception_fp_ieee_invalid_op 0
		.amdhsa_exception_fp_denorm_src 0
		.amdhsa_exception_fp_ieee_div_zero 0
		.amdhsa_exception_fp_ieee_overflow 0
		.amdhsa_exception_fp_ieee_underflow 0
		.amdhsa_exception_fp_ieee_inexact 0
		.amdhsa_exception_int_div_zero 0
	.end_amdhsa_kernel
	.section	.text._ZN5aiter36smooth_per_token_scaled_quant_kernelIDF16_DB8_Li256ELi8ELb0ELb1ELb0ELi1024EEEvPT0_PfPT_S4_PiS7_iiPKiiiiiiiii,"axG",@progbits,_ZN5aiter36smooth_per_token_scaled_quant_kernelIDF16_DB8_Li256ELi8ELb0ELb1ELb0ELi1024EEEvPT0_PfPT_S4_PiS7_iiPKiiiiiiiii,comdat
.Lfunc_end70:
	.size	_ZN5aiter36smooth_per_token_scaled_quant_kernelIDF16_DB8_Li256ELi8ELb0ELb1ELb0ELi1024EEEvPT0_PfPT_S4_PiS7_iiPKiiiiiiiii, .Lfunc_end70-_ZN5aiter36smooth_per_token_scaled_quant_kernelIDF16_DB8_Li256ELi8ELb0ELb1ELb0ELi1024EEEvPT0_PfPT_S4_PiS7_iiPKiiiiiiiii
                                        ; -- End function
	.section	.AMDGPU.csdata,"",@progbits
; Kernel info:
; codeLenInByte = 3040
; NumSgprs: 45
; NumVgprs: 30
; ScratchSize: 0
; MemoryBound: 0
; FloatMode: 240
; IeeeMode: 1
; LDSByteSize: 32 bytes/workgroup (compile time only)
; SGPRBlocks: 5
; VGPRBlocks: 3
; NumSGPRsForWavesPerEU: 45
; NumVGPRsForWavesPerEU: 30
; Occupancy: 16
; WaveLimiterHint : 0
; COMPUTE_PGM_RSRC2:SCRATCH_EN: 0
; COMPUTE_PGM_RSRC2:USER_SGPR: 15
; COMPUTE_PGM_RSRC2:TRAP_HANDLER: 0
; COMPUTE_PGM_RSRC2:TGID_X_EN: 1
; COMPUTE_PGM_RSRC2:TGID_Y_EN: 0
; COMPUTE_PGM_RSRC2:TGID_Z_EN: 0
; COMPUTE_PGM_RSRC2:TIDIG_COMP_CNT: 0
	.section	.text._ZN5aiter36smooth_per_token_scaled_quant_kernelItDB8_Li256ELi8ELb0ELb1ELb0ELi1024EEEvPT0_PfPT_S4_PiS7_iiPKiiiiiiiii,"axG",@progbits,_ZN5aiter36smooth_per_token_scaled_quant_kernelItDB8_Li256ELi8ELb0ELb1ELb0ELi1024EEEvPT0_PfPT_S4_PiS7_iiPKiiiiiiiii,comdat
	.protected	_ZN5aiter36smooth_per_token_scaled_quant_kernelItDB8_Li256ELi8ELb0ELb1ELb0ELi1024EEEvPT0_PfPT_S4_PiS7_iiPKiiiiiiiii ; -- Begin function _ZN5aiter36smooth_per_token_scaled_quant_kernelItDB8_Li256ELi8ELb0ELb1ELb0ELi1024EEEvPT0_PfPT_S4_PiS7_iiPKiiiiiiiii
	.globl	_ZN5aiter36smooth_per_token_scaled_quant_kernelItDB8_Li256ELi8ELb0ELb1ELb0ELi1024EEEvPT0_PfPT_S4_PiS7_iiPKiiiiiiiii
	.p2align	8
	.type	_ZN5aiter36smooth_per_token_scaled_quant_kernelItDB8_Li256ELi8ELb0ELb1ELb0ELi1024EEEvPT0_PfPT_S4_PiS7_iiPKiiiiiiiii,@function
_ZN5aiter36smooth_per_token_scaled_quant_kernelItDB8_Li256ELi8ELb0ELb1ELb0ELi1024EEEvPT0_PfPT_S4_PiS7_iiPKiiiiiiiii: ; @_ZN5aiter36smooth_per_token_scaled_quant_kernelItDB8_Li256ELi8ELb0ELb1ELb0ELi1024EEEvPT0_PfPT_S4_PiS7_iiPKiiiiiiiii
; %bb.0:
	s_clause 0x1
	s_load_b64 s[2:3], s[0:1], 0x38
	s_load_b256 s[4:11], s[0:1], 0x40
	s_waitcnt lgkmcnt(0)
	s_cmp_lg_u64 s[2:3], 0
	s_cbranch_scc0 .LBB71_11
; %bb.1:
	s_load_b32 s2, s[2:3], 0x0
	s_waitcnt lgkmcnt(0)
	s_mul_i32 s4, s2, s4
	s_cbranch_execnz .LBB71_3
.LBB71_2:
	s_mul_i32 s4, s6, s5
.LBB71_3:
	s_load_b64 s[2:3], s[0:1], 0x30
	s_abs_i32 s13, s4
	s_waitcnt lgkmcnt(0)
	s_abs_i32 s5, s2
	s_delay_alu instid0(SALU_CYCLE_1) | instskip(SKIP_1) | instid1(VALU_DEP_1)
	v_cvt_f32_u32_e32 v1, s5
	s_sub_i32 s12, 0, s5
	v_rcp_iflag_f32_e32 v1, v1
	s_waitcnt_depctr 0xfff
	v_mul_f32_e32 v1, 0x4f7ffffe, v1
	s_delay_alu instid0(VALU_DEP_1) | instskip(NEXT) | instid1(VALU_DEP_1)
	v_cvt_u32_f32_e32 v1, v1
	v_readfirstlane_b32 s11, v1
	s_delay_alu instid0(VALU_DEP_1) | instskip(NEXT) | instid1(SALU_CYCLE_1)
	s_mul_i32 s12, s12, s11
	s_mul_hi_u32 s12, s11, s12
	s_delay_alu instid0(SALU_CYCLE_1) | instskip(SKIP_4) | instid1(SALU_CYCLE_1)
	s_add_i32 s11, s11, s12
	s_xor_b32 s12, s4, s2
	s_mul_hi_u32 s11, s13, s11
	s_ashr_i32 s12, s12, 31
	s_mul_i32 s14, s11, s5
	s_sub_i32 s13, s13, s14
	s_add_i32 s14, s11, 1
	s_sub_i32 s16, s13, s5
	s_cmp_ge_u32 s13, s5
	s_cselect_b32 s11, s14, s11
	s_cselect_b32 s13, s16, s13
	s_add_i32 s14, s11, 1
	s_cmp_ge_u32 s13, s5
	s_cselect_b32 s5, s14, s11
	s_delay_alu instid0(SALU_CYCLE_1) | instskip(NEXT) | instid1(SALU_CYCLE_1)
	s_xor_b32 s5, s5, s12
	s_sub_i32 s11, s5, s12
	s_mov_b32 s12, 0
	s_mul_i32 s2, s11, s2
	s_delay_alu instid0(SALU_CYCLE_1) | instskip(NEXT) | instid1(SALU_CYCLE_1)
	s_sub_i32 s4, s4, s2
	s_cmp_lt_u32 s15, s4
	s_cselect_b32 s2, -1, 0
	s_add_i32 s5, s11, 1
	s_cmp_ge_u32 s15, s4
	s_cbranch_scc0 .LBB71_5
; %bb.4:
	s_sub_i32 s13, s15, s4
	s_mul_i32 s4, s4, s5
	s_mul_i32 s13, s13, s11
	s_delay_alu instid0(SALU_CYCLE_1)
	s_add_i32 s4, s13, s4
	s_and_not1_b32 vcc_lo, exec_lo, s12
	s_cbranch_vccz .LBB71_6
	s_branch .LBB71_7
.LBB71_5:
                                        ; implicit-def: $sgpr4
.LBB71_6:
	s_mul_i32 s4, s5, s15
.LBB71_7:
	v_cndmask_b32_e64 v1, 0, 1, s2
	s_delay_alu instid0(VALU_DEP_1) | instskip(NEXT) | instid1(VALU_DEP_1)
	v_readfirstlane_b32 s2, v1
	s_add_i32 s11, s11, s2
	s_delay_alu instid0(SALU_CYCLE_1)
	s_cmp_lt_i32 s11, 1
	s_cbranch_scc1 .LBB71_35
; %bb.8:
	s_load_b64 s[12:13], s[0:1], 0x20
	s_ashr_i32 s5, s4, 31
	v_and_b32_e32 v1, 31, v0
	s_lshl_b64 s[14:15], s[4:5], 2
	s_mov_b32 s35, -1
	v_lshrrev_b32_e32 v3, 3, v0
	s_mov_b32 s23, s35
	v_cmp_eq_u32_e32 vcc_lo, 31, v1
	v_and_b32_e32 v4, 7, v0
	v_lshlrev_b32_e32 v9, 4, v0
	v_lshlrev_b32_e32 v10, 5, v0
	v_and_b32_e32 v11, 0x7c, v3
	v_lshlrev_b32_e32 v13, 3, v0
	v_lshlrev_b32_e32 v12, 2, v4
	s_mov_b32 s34, s3
	s_waitcnt lgkmcnt(0)
	s_add_u32 s20, s12, s14
	s_addc_u32 s2, s13, s15
	s_abs_i32 s33, s6
	s_lshl_b32 s22, s11, 2
	v_cvt_f32_u32_e32 v2, s33
	s_and_b32 s21, s2, 0xffff
	s_load_b256 s[12:19], s[0:1], 0x0
	s_add_i32 s1, s3, 7
	v_cmp_eq_u32_e64 s0, 0, v0
	v_rcp_iflag_f32_e32 v2, v2
	v_lshlrev_b32_e32 v14, 2, v1
	s_ashr_i32 s2, s1, 31
	s_lshl_b32 s26, s3, 1
	s_lshr_b32 s2, s2, 29
	s_lshl_b32 s30, s3, 2
	s_add_i32 s1, s1, s2
	s_ashr_i32 s40, s6, 31
	s_ashr_i32 s1, s1, 3
	s_waitcnt_depctr 0xfff
	v_mul_f32_e32 v1, 0x4f7ffffe, v2
	buffer_load_b32 v8, v14, s[20:23], 0 offen
	s_add_i32 s23, s3, 3
	v_cmp_gt_u32_e64 s1, s1, v0
	s_ashr_i32 s2, s23, 31
	v_cvt_u32_f32_e32 v1, v1
	s_lshr_b32 s2, s2, 30
	s_waitcnt vmcnt(3) expcnt(0) lgkmcnt(55)
	s_add_i32 s23, s23, s2
	s_sub_i32 s2, 0, s33
	v_readfirstlane_b32 s41, v1
	s_and_b32 s38, s23, -4
	s_waitcnt vmcnt(0) lgkmcnt(0)
	s_barrier
	buffer_gl0_inv
	s_mul_i32 s23, s2, s41
	s_delay_alu instid0(SALU_CYCLE_1) | instskip(NEXT) | instid1(SALU_CYCLE_1)
	s_mul_hi_u32 s23, s41, s23
	s_add_i32 s41, s41, s23
	v_readlane_b32 s2, v8, 0
	s_delay_alu instid0(VALU_DEP_1)
	s_cmp_lt_i32 s2, 0
	s_cbranch_scc1 .LBB71_12
; %bb.9:
	s_abs_i32 s23, s4
	s_xor_b32 s5, s5, s40
	s_mul_hi_u32 s24, s23, s41
	s_mov_b32 s31, -1
	s_mul_i32 s25, s24, s33
	s_delay_alu instid0(SALU_CYCLE_1)
	s_sub_i32 s23, s23, s25
	s_add_i32 s25, s24, 1
	s_sub_i32 s27, s23, s33
	s_cmp_ge_u32 s23, s33
	s_cselect_b32 s24, s25, s24
	s_cselect_b32 s23, s27, s23
	s_add_i32 s25, s24, 1
	s_cmp_ge_u32 s23, s33
	s_cselect_b32 s23, s25, s24
	s_delay_alu instid0(SALU_CYCLE_1) | instskip(NEXT) | instid1(SALU_CYCLE_1)
	s_xor_b32 s23, s23, s5
	s_sub_i32 s5, s23, s5
	s_delay_alu instid0(SALU_CYCLE_1) | instskip(SKIP_2) | instid1(SALU_CYCLE_1)
	s_mul_i32 s23, s5, s6
	s_mul_i32 s25, s5, s7
	s_sub_i32 s23, s4, s23
	s_mul_i32 s24, s23, s8
	s_delay_alu instid0(SALU_CYCLE_1) | instskip(NEXT) | instid1(SALU_CYCLE_1)
	s_add_i32 s35, s24, s25
	s_cmp_eq_u32 s35, -1
	s_cbranch_scc1 .LBB71_13
; %bb.10:
	s_mul_hi_i32 s25, s35, s34
	s_mul_i32 s24, s35, s34
	s_mov_b32 s27, s31
	s_lshl_b64 s[24:25], s[24:25], 1
	s_delay_alu instid0(SALU_CYCLE_1) | instskip(SKIP_1) | instid1(SALU_CYCLE_1)
	s_add_u32 s24, s16, s24
	s_addc_u32 s25, s17, s25
	s_and_b32 s25, s25, 0xffff
	buffer_load_b128 v[0:3], v9, s[24:27], 0 offen
	s_waitcnt vmcnt(0)
	v_lshrrev_b32_e32 v4, 16, v0
	v_and_b32_e32 v0, 0xffff, v0
	v_lshrrev_b32_e32 v5, 16, v1
	v_and_b32_e32 v6, 0xffff, v1
	;; [unrolled: 2-line block ×4, first 2 shown]
	v_cvt_f32_u32_e32 v1, v4
	v_cvt_f32_u32_e32 v0, v0
	;; [unrolled: 1-line block ×8, first 2 shown]
	s_branch .LBB71_14
.LBB71_11:
                                        ; implicit-def: $sgpr4
	s_branch .LBB71_2
.LBB71_12:
                                        ; implicit-def: $vgpr0_vgpr1_vgpr2_vgpr3_vgpr4_vgpr5_vgpr6_vgpr7
	s_cmp_eq_u32 s11, 1
	s_mov_b32 s5, 1
	s_cbranch_scc0 .LBB71_21
	s_branch .LBB71_35
.LBB71_13:
                                        ; implicit-def: $vgpr0_vgpr1_vgpr2_vgpr3_vgpr4_vgpr5_vgpr6_vgpr7
.LBB71_14:
	s_mul_i32 s24, s2, s3
	s_delay_alu instid0(SALU_CYCLE_1) | instskip(NEXT) | instid1(SALU_CYCLE_1)
	s_ashr_i32 s25, s24, 31
	s_lshl_b64 s[24:25], s[24:25], 2
	s_delay_alu instid0(SALU_CYCLE_1) | instskip(SKIP_1) | instid1(SALU_CYCLE_1)
	s_add_u32 s28, s18, s24
	s_addc_u32 s2, s19, s25
	s_and_b32 s29, s2, 0xffff
	s_clause 0x1
	buffer_load_b128 v[15:18], v10, s[28:31], 0 offen
	buffer_load_b128 v[23:26], v10, s[28:31], 16 offen
	s_waitcnt vmcnt(1)
	v_dual_mul_f32 v21, v0, v15 :: v_dual_mul_f32 v22, v1, v16
	v_dual_mul_f32 v19, v2, v17 :: v_dual_mul_f32 v20, v3, v18
	s_waitcnt vmcnt(0)
	v_dual_mul_f32 v18, v4, v23 :: v_dual_mul_f32 v17, v5, v24
	s_delay_alu instid0(VALU_DEP_3) | instskip(SKIP_1) | instid1(VALU_DEP_2)
	v_max3_f32 v15, |v21|, 0x2edbe6ff, |v22|
	v_mul_f32_e32 v16, v7, v26
	v_max3_f32 v23, v15, |v19|, |v20|
	v_mul_f32_e32 v15, v6, v25
	s_delay_alu instid0(VALU_DEP_2) | instskip(NEXT) | instid1(VALU_DEP_1)
	v_max3_f32 v23, v23, |v18|, |v17|
	v_max3_f32 v23, v23, |v15|, |v16|
	s_delay_alu instid0(VALU_DEP_1) | instskip(NEXT) | instid1(VALU_DEP_1)
	v_mov_b32_dpp v24, v23 quad_perm:[1,0,3,2] row_mask:0xf bank_mask:0xf
	v_cmp_gt_f32_e64 s2, v23, v24
	s_delay_alu instid0(VALU_DEP_1) | instskip(NEXT) | instid1(VALU_DEP_1)
	v_cndmask_b32_e64 v23, v24, v23, s2
	v_mov_b32_dpp v24, v23 quad_perm:[2,3,0,1] row_mask:0xf bank_mask:0xf
	s_delay_alu instid0(VALU_DEP_1) | instskip(NEXT) | instid1(VALU_DEP_1)
	v_cmp_gt_f32_e64 s2, v23, v24
	v_cndmask_b32_e64 v23, v24, v23, s2
	s_delay_alu instid0(VALU_DEP_1) | instskip(NEXT) | instid1(VALU_DEP_1)
	v_mov_b32_dpp v24, v23 row_xmask:7 row_mask:0xf bank_mask:0xf
	v_cmp_gt_f32_e64 s2, v23, v24
	s_delay_alu instid0(VALU_DEP_1) | instskip(NEXT) | instid1(VALU_DEP_1)
	v_cndmask_b32_e64 v23, v24, v23, s2
	v_mov_b32_dpp v24, v23 row_xmask:15 row_mask:0xf bank_mask:0xf
	s_delay_alu instid0(VALU_DEP_1)
	v_cmp_gt_f32_e64 s2, v23, v24
	s_and_saveexec_b32 s24, vcc_lo
	s_cbranch_execz .LBB71_16
; %bb.15:
	s_delay_alu instid0(VALU_DEP_1)
	v_cndmask_b32_e64 v23, v24, v23, s2
	s_mov_b32 s2, 0x76543210
	s_delay_alu instid0(VALU_DEP_1) | instid1(SALU_CYCLE_1)
	v_permlanex16_b32 v24, v23, s2, 0xfedcba98 op_sel:[1,1]
	s_delay_alu instid0(VALU_DEP_1) | instskip(NEXT) | instid1(VALU_DEP_1)
	v_cmp_gt_f32_e64 s2, v23, v24
	v_cndmask_b32_e64 v23, v24, v23, s2
	ds_store_b32 v11, v23
.LBB71_16:
	s_or_b32 exec_lo, exec_lo, s24
	s_waitcnt lgkmcnt(0)
	s_barrier
	buffer_gl0_inv
	ds_load_b32 v23, v12
	s_mul_i32 s5, s5, s9
	s_waitcnt lgkmcnt(0)
	v_mov_b32_dpp v24, v23 quad_perm:[1,0,3,2] row_mask:0xf bank_mask:0xf
	s_delay_alu instid0(VALU_DEP_1) | instskip(NEXT) | instid1(VALU_DEP_1)
	v_cmp_gt_f32_e64 s2, v23, v24
	v_cndmask_b32_e64 v23, v24, v23, s2
	s_delay_alu instid0(VALU_DEP_1) | instskip(NEXT) | instid1(VALU_DEP_1)
	v_mov_b32_dpp v24, v23 quad_perm:[2,3,0,1] row_mask:0xf bank_mask:0xf
	v_cmp_gt_f32_e64 s2, v23, v24
	s_delay_alu instid0(VALU_DEP_1) | instskip(NEXT) | instid1(VALU_DEP_1)
	v_cndmask_b32_e64 v23, v24, v23, s2
	v_mov_b32_dpp v24, v23 row_xmask:7 row_mask:0xf bank_mask:0xf
	s_delay_alu instid0(VALU_DEP_1) | instskip(NEXT) | instid1(VALU_DEP_1)
	v_cmp_gt_f32_e64 s2, v23, v24
	v_cndmask_b32_e64 v23, v24, v23, s2
	s_mul_i32 s2, s23, s10
	s_delay_alu instid0(SALU_CYCLE_1) | instskip(NEXT) | instid1(VALU_DEP_1)
	s_add_i32 s24, s2, s5
	v_mul_f32_e32 v23, 0x3b124925, v23
	s_and_saveexec_b32 s2, s0
	s_cbranch_execz .LBB71_18
; %bb.17:
	s_ashr_i32 s25, s24, 31
	v_mov_b32_e32 v24, 0
	s_lshl_b64 s[28:29], s[24:25], 2
	s_delay_alu instid0(SALU_CYCLE_1)
	s_add_u32 s28, s14, s28
	s_addc_u32 s29, s15, s29
	global_store_b32 v24, v23, s[28:29]
.LBB71_18:
	s_or_b32 exec_lo, exec_lo, s2
	s_and_saveexec_b32 s2, s1
	s_cbranch_execz .LBB71_20
; %bb.19:
	v_rcp_f32_e32 v23, v23
	v_mov_b32_e32 v24, 0xc3e00000
	v_mov_b32_e32 v25, 0x43e00000
	s_mul_i32 s5, s24, s34
	s_mul_hi_i32 s23, s24, s34
	s_add_u32 s36, s12, s5
	s_addc_u32 s5, s13, s23
	s_mov_b32 s39, -1
	s_and_b32 s37, s5, 0xffff
	s_waitcnt_depctr 0xfff
	v_mul_f32_e32 v22, v22, v23
	v_mul_f32_e32 v21, v21, v23
	v_mul_f32_e32 v19, v19, v23
	v_mul_f32_e32 v20, v20, v23
	;;#ASMSTART
	v_med3_f32 v21, v21, v24, v25
v_med3_f32 v22, v22, v24, v25
v_cvt_pk_fp8_f32 v26, v21, v22
	;;#ASMEND
	;;#ASMSTART
	v_med3_f32 v19, v19, v24, v25
v_med3_f32 v20, v20, v24, v25
v_cvt_pk_fp8_f32 v21, v19, v20
	;;#ASMEND
	v_perm_b32 v19, v21, v26, 0x5040100
	v_dual_mul_f32 v18, v18, v23 :: v_dual_and_b32 v21, 0xffffff00, v21
	v_mul_f32_e32 v17, v17, v23
	v_mul_f32_e32 v15, v15, v23
	s_delay_alu instid0(VALU_DEP_4) | instskip(NEXT) | instid1(VALU_DEP_1)
	v_lshrrev_b32_e32 v20, 16, v19
	v_and_b32_e32 v20, 0xff, v20
	s_delay_alu instid0(VALU_DEP_1)
	v_or_b32_e32 v20, v20, v21
	v_mul_f32_e32 v16, v16, v23
	;;#ASMSTART
	v_med3_f32 v18, v18, v24, v25
v_med3_f32 v17, v17, v24, v25
v_cvt_pk_fp8_f32 v21, v18, v17
	;;#ASMEND
	;;#ASMSTART
	v_med3_f32 v15, v15, v24, v25
v_med3_f32 v16, v16, v24, v25
v_cvt_pk_fp8_f32 v17, v15, v16
	;;#ASMEND
	v_lshlrev_b32_e32 v15, 16, v17
	v_lshlrev_b32_e32 v17, 16, v20
	s_delay_alu instid0(VALU_DEP_2) | instskip(NEXT) | instid1(VALU_DEP_2)
	v_and_or_b32 v16, 0xffff, v21, v15
	v_and_or_b32 v15, 0xffff, v19, v17
	buffer_store_b64 v[15:16], v13, s[36:39], 0 offen
	;;#ASMSTART
	s_nop 0
	;;#ASMEND
.LBB71_20:
	s_or_b32 exec_lo, exec_lo, s2
	s_cmp_eq_u32 s11, 1
	s_mov_b32 s5, 1
	s_cbranch_scc1 .LBB71_35
.LBB71_21:
	v_dual_mov_b32 v15, 0 :: v_dual_add_nc_u32 v14, 4, v14
	v_mov_b32_e32 v16, 0xc3e00000
	v_mov_b32_e32 v17, 0x43e00000
	s_mov_b32 s31, -1
	s_mov_b32 s42, 0x76543210
	s_branch .LBB71_24
.LBB71_22:                              ;   in Loop: Header=BB71_24 Depth=1
	s_or_b32 exec_lo, exec_lo, s2
.LBB71_23:                              ;   in Loop: Header=BB71_24 Depth=1
	v_add_nc_u32_e32 v14, 4, v14
	s_add_i32 s5, s5, 1
	s_delay_alu instid0(SALU_CYCLE_1)
	s_cmp_eq_u32 s11, s5
	s_cbranch_scc1 .LBB71_35
.LBB71_24:                              ; =>This Inner Loop Header: Depth=1
	s_and_b32 s2, s5, 31
	s_delay_alu instid0(SALU_CYCLE_1)
	s_cmp_lg_u32 s2, 0
	s_cbranch_scc1 .LBB71_26
; %bb.25:                               ;   in Loop: Header=BB71_24 Depth=1
	s_mov_b32 s23, s31
	buffer_load_b32 v8, v14, s[20:23], 0 offen
	s_waitcnt vmcnt(3) expcnt(0) lgkmcnt(55)
.LBB71_26:                              ;   in Loop: Header=BB71_24 Depth=1
	s_waitcnt vmcnt(0)
	v_readlane_b32 s2, v8, s2
	s_delay_alu instid0(VALU_DEP_1)
	s_cmp_lt_i32 s2, 0
	s_cbranch_scc1 .LBB71_23
; %bb.27:                               ;   in Loop: Header=BB71_24 Depth=1
	s_add_i32 s24, s4, s5
	s_delay_alu instid0(SALU_CYCLE_1) | instskip(SKIP_4) | instid1(SALU_CYCLE_1)
	s_abs_i32 s23, s24
	s_ashr_i32 s27, s24, 31
	s_mul_hi_u32 s25, s23, s41
	s_xor_b32 s27, s27, s40
	s_mul_i32 s28, s25, s33
	s_sub_i32 s23, s23, s28
	s_add_i32 s28, s25, 1
	s_sub_i32 s29, s23, s33
	s_cmp_ge_u32 s23, s33
	s_cselect_b32 s25, s28, s25
	s_cselect_b32 s23, s29, s23
	s_add_i32 s28, s25, 1
	s_cmp_ge_u32 s23, s33
	s_cselect_b32 s23, s28, s25
	s_delay_alu instid0(SALU_CYCLE_1) | instskip(NEXT) | instid1(SALU_CYCLE_1)
	s_xor_b32 s23, s23, s27
	s_sub_i32 s23, s23, s27
	s_delay_alu instid0(SALU_CYCLE_1) | instskip(NEXT) | instid1(SALU_CYCLE_1)
	s_mul_i32 s25, s23, s6
	s_sub_i32 s36, s24, s25
	s_mul_i32 s24, s23, s7
	s_mul_i32 s28, s36, s8
	s_delay_alu instid0(SALU_CYCLE_1) | instskip(NEXT) | instid1(SALU_CYCLE_1)
	s_add_i32 s28, s28, s24
	s_cmp_eq_u32 s28, s35
	s_cbranch_scc1 .LBB71_29
; %bb.28:                               ;   in Loop: Header=BB71_24 Depth=1
	s_mul_hi_i32 s25, s28, s34
	s_mul_i32 s24, s28, s34
	s_mov_b32 s27, s31
	s_lshl_b64 s[24:25], s[24:25], 1
	s_mov_b32 s35, s28
	s_add_u32 s24, s16, s24
	s_addc_u32 s25, s17, s25
	s_delay_alu instid0(SALU_CYCLE_1)
	s_and_b32 s25, s25, 0xffff
	buffer_load_b128 v[0:3], v9, s[24:27], 0 offen
	s_waitcnt vmcnt(0)
	v_lshrrev_b32_e32 v4, 16, v0
	v_and_b32_e32 v0, 0xffff, v0
	v_lshrrev_b32_e32 v5, 16, v1
	v_and_b32_e32 v6, 0xffff, v1
	;; [unrolled: 2-line block ×4, first 2 shown]
	v_cvt_f32_u32_e32 v1, v4
	v_cvt_f32_u32_e32 v0, v0
	;; [unrolled: 1-line block ×8, first 2 shown]
.LBB71_29:                              ;   in Loop: Header=BB71_24 Depth=1
	s_mul_i32 s24, s2, s3
	s_delay_alu instid0(SALU_CYCLE_1) | instskip(NEXT) | instid1(SALU_CYCLE_1)
	s_ashr_i32 s25, s24, 31
	s_lshl_b64 s[24:25], s[24:25], 2
	s_delay_alu instid0(SALU_CYCLE_1) | instskip(SKIP_1) | instid1(SALU_CYCLE_1)
	s_add_u32 s28, s18, s24
	s_addc_u32 s2, s19, s25
	s_and_b32 s29, s2, 0xffff
	s_clause 0x1
	buffer_load_b128 v[18:21], v10, s[28:31], 0 offen
	buffer_load_b128 v[26:29], v10, s[28:31], 16 offen
	s_waitcnt vmcnt(1)
	v_dual_mul_f32 v24, v0, v18 :: v_dual_mul_f32 v25, v1, v19
	v_dual_mul_f32 v22, v2, v20 :: v_dual_mul_f32 v23, v3, v21
	s_waitcnt vmcnt(0)
	v_dual_mul_f32 v21, v4, v26 :: v_dual_mul_f32 v20, v5, v27
	s_delay_alu instid0(VALU_DEP_3) | instskip(SKIP_1) | instid1(VALU_DEP_2)
	v_max3_f32 v18, |v24|, 0x2edbe6ff, |v25|
	v_mul_f32_e32 v19, v7, v29
	v_max3_f32 v26, v18, |v22|, |v23|
	v_mul_f32_e32 v18, v6, v28
	s_delay_alu instid0(VALU_DEP_2) | instskip(NEXT) | instid1(VALU_DEP_1)
	v_max3_f32 v26, v26, |v21|, |v20|
	v_max3_f32 v26, v26, |v18|, |v19|
	s_delay_alu instid0(VALU_DEP_1) | instskip(NEXT) | instid1(VALU_DEP_1)
	v_mov_b32_dpp v27, v26 quad_perm:[1,0,3,2] row_mask:0xf bank_mask:0xf
	v_cmp_gt_f32_e64 s2, v26, v27
	s_delay_alu instid0(VALU_DEP_1) | instskip(NEXT) | instid1(VALU_DEP_1)
	v_cndmask_b32_e64 v26, v27, v26, s2
	v_mov_b32_dpp v27, v26 quad_perm:[2,3,0,1] row_mask:0xf bank_mask:0xf
	s_delay_alu instid0(VALU_DEP_1) | instskip(NEXT) | instid1(VALU_DEP_1)
	v_cmp_gt_f32_e64 s2, v26, v27
	v_cndmask_b32_e64 v26, v27, v26, s2
	s_delay_alu instid0(VALU_DEP_1) | instskip(NEXT) | instid1(VALU_DEP_1)
	v_mov_b32_dpp v27, v26 row_xmask:7 row_mask:0xf bank_mask:0xf
	v_cmp_gt_f32_e64 s2, v26, v27
	s_delay_alu instid0(VALU_DEP_1) | instskip(NEXT) | instid1(VALU_DEP_1)
	v_cndmask_b32_e64 v26, v27, v26, s2
	v_mov_b32_dpp v27, v26 row_xmask:15 row_mask:0xf bank_mask:0xf
	s_delay_alu instid0(VALU_DEP_1)
	v_cmp_gt_f32_e64 s2, v26, v27
	s_and_saveexec_b32 s24, vcc_lo
	s_cbranch_execz .LBB71_31
; %bb.30:                               ;   in Loop: Header=BB71_24 Depth=1
	s_delay_alu instid0(VALU_DEP_1) | instskip(NEXT) | instid1(VALU_DEP_1)
	v_cndmask_b32_e64 v26, v27, v26, s2
	v_permlanex16_b32 v27, v26, s42, 0xfedcba98 op_sel:[1,1]
	s_delay_alu instid0(VALU_DEP_1) | instskip(NEXT) | instid1(VALU_DEP_1)
	v_cmp_gt_f32_e64 s2, v26, v27
	v_cndmask_b32_e64 v26, v27, v26, s2
	ds_store_b32 v11, v26
.LBB71_31:                              ;   in Loop: Header=BB71_24 Depth=1
	s_or_b32 exec_lo, exec_lo, s24
	s_waitcnt lgkmcnt(0)
	s_waitcnt_vscnt null, 0x0
	s_barrier
	buffer_gl0_inv
	ds_load_b32 v26, v12
	s_mul_i32 s23, s23, s9
	s_waitcnt lgkmcnt(0)
	v_mov_b32_dpp v27, v26 quad_perm:[1,0,3,2] row_mask:0xf bank_mask:0xf
	s_delay_alu instid0(VALU_DEP_1) | instskip(NEXT) | instid1(VALU_DEP_1)
	v_cmp_gt_f32_e64 s2, v26, v27
	v_cndmask_b32_e64 v26, v27, v26, s2
	s_delay_alu instid0(VALU_DEP_1) | instskip(NEXT) | instid1(VALU_DEP_1)
	v_mov_b32_dpp v27, v26 quad_perm:[2,3,0,1] row_mask:0xf bank_mask:0xf
	v_cmp_gt_f32_e64 s2, v26, v27
	s_delay_alu instid0(VALU_DEP_1) | instskip(NEXT) | instid1(VALU_DEP_1)
	v_cndmask_b32_e64 v26, v27, v26, s2
	v_mov_b32_dpp v27, v26 row_xmask:7 row_mask:0xf bank_mask:0xf
	s_delay_alu instid0(VALU_DEP_1) | instskip(NEXT) | instid1(VALU_DEP_1)
	v_cmp_gt_f32_e64 s2, v26, v27
	v_cndmask_b32_e64 v26, v27, v26, s2
	s_mul_i32 s2, s36, s10
	s_delay_alu instid0(SALU_CYCLE_1) | instskip(NEXT) | instid1(VALU_DEP_1)
	s_add_i32 s24, s2, s23
	v_mul_f32_e32 v26, 0x3b124925, v26
	s_and_saveexec_b32 s2, s0
	s_cbranch_execz .LBB71_33
; %bb.32:                               ;   in Loop: Header=BB71_24 Depth=1
	s_ashr_i32 s25, s24, 31
	s_delay_alu instid0(SALU_CYCLE_1) | instskip(NEXT) | instid1(SALU_CYCLE_1)
	s_lshl_b64 s[28:29], s[24:25], 2
	s_add_u32 s28, s14, s28
	s_addc_u32 s29, s15, s29
	global_store_b32 v15, v26, s[28:29]
.LBB71_33:                              ;   in Loop: Header=BB71_24 Depth=1
	s_or_b32 exec_lo, exec_lo, s2
	s_and_saveexec_b32 s2, s1
	s_cbranch_execz .LBB71_22
; %bb.34:                               ;   in Loop: Header=BB71_24 Depth=1
	v_rcp_f32_e32 v26, v26
	s_mul_i32 s23, s24, s34
	s_mul_hi_i32 s24, s24, s34
	s_add_u32 s36, s12, s23
	s_addc_u32 s23, s13, s24
	s_mov_b32 s39, s31
	s_and_b32 s37, s23, 0xffff
	s_waitcnt_depctr 0xfff
	v_mul_f32_e32 v24, v24, v26
	v_mul_f32_e32 v25, v25, v26
	;; [unrolled: 1-line block ×4, first 2 shown]
	;;#ASMSTART
	v_med3_f32 v24, v24, v16, v17
v_med3_f32 v25, v25, v16, v17
v_cvt_pk_fp8_f32 v27, v24, v25
	;;#ASMEND
	;;#ASMSTART
	v_med3_f32 v22, v22, v16, v17
v_med3_f32 v23, v23, v16, v17
v_cvt_pk_fp8_f32 v24, v22, v23
	;;#ASMEND
	v_perm_b32 v22, v24, v27, 0x5040100
	v_and_b32_e32 v24, 0xffffff00, v24
	v_mul_f32_e32 v20, v20, v26
	v_mul_f32_e32 v18, v18, v26
	;; [unrolled: 1-line block ×3, first 2 shown]
	v_lshrrev_b32_e32 v23, 16, v22
	s_delay_alu instid0(VALU_DEP_1) | instskip(NEXT) | instid1(VALU_DEP_1)
	v_and_b32_e32 v23, 0xff, v23
	v_or_b32_e32 v23, v23, v24
	v_mul_f32_e32 v21, v21, v26
	;;#ASMSTART
	v_med3_f32 v21, v21, v16, v17
v_med3_f32 v20, v20, v16, v17
v_cvt_pk_fp8_f32 v24, v21, v20
	;;#ASMEND
	;;#ASMSTART
	v_med3_f32 v18, v18, v16, v17
v_med3_f32 v19, v19, v16, v17
v_cvt_pk_fp8_f32 v20, v18, v19
	;;#ASMEND
	v_lshlrev_b32_e32 v18, 16, v20
	v_lshlrev_b32_e32 v20, 16, v23
	s_delay_alu instid0(VALU_DEP_2) | instskip(NEXT) | instid1(VALU_DEP_2)
	v_and_or_b32 v19, 0xffff, v24, v18
	v_and_or_b32 v18, 0xffff, v22, v20
	buffer_store_b64 v[18:19], v13, s[36:39], 0 offen
	;;#ASMSTART
	s_nop 0
	;;#ASMEND
	s_branch .LBB71_22
.LBB71_35:
	s_nop 0
	s_sendmsg sendmsg(MSG_DEALLOC_VGPRS)
	s_endpgm
	.section	.rodata,"a",@progbits
	.p2align	6, 0x0
	.amdhsa_kernel _ZN5aiter36smooth_per_token_scaled_quant_kernelItDB8_Li256ELi8ELb0ELb1ELb0ELi1024EEEvPT0_PfPT_S4_PiS7_iiPKiiiiiiiii
		.amdhsa_group_segment_fixed_size 32
		.amdhsa_private_segment_fixed_size 0
		.amdhsa_kernarg_size 96
		.amdhsa_user_sgpr_count 15
		.amdhsa_user_sgpr_dispatch_ptr 0
		.amdhsa_user_sgpr_queue_ptr 0
		.amdhsa_user_sgpr_kernarg_segment_ptr 1
		.amdhsa_user_sgpr_dispatch_id 0
		.amdhsa_user_sgpr_private_segment_size 0
		.amdhsa_wavefront_size32 1
		.amdhsa_uses_dynamic_stack 0
		.amdhsa_enable_private_segment 0
		.amdhsa_system_sgpr_workgroup_id_x 1
		.amdhsa_system_sgpr_workgroup_id_y 0
		.amdhsa_system_sgpr_workgroup_id_z 0
		.amdhsa_system_sgpr_workgroup_info 0
		.amdhsa_system_vgpr_workitem_id 0
		.amdhsa_next_free_vgpr 30
		.amdhsa_next_free_sgpr 43
		.amdhsa_reserve_vcc 1
		.amdhsa_float_round_mode_32 0
		.amdhsa_float_round_mode_16_64 0
		.amdhsa_float_denorm_mode_32 3
		.amdhsa_float_denorm_mode_16_64 3
		.amdhsa_dx10_clamp 1
		.amdhsa_ieee_mode 1
		.amdhsa_fp16_overflow 0
		.amdhsa_workgroup_processor_mode 1
		.amdhsa_memory_ordered 1
		.amdhsa_forward_progress 0
		.amdhsa_shared_vgpr_count 0
		.amdhsa_exception_fp_ieee_invalid_op 0
		.amdhsa_exception_fp_denorm_src 0
		.amdhsa_exception_fp_ieee_div_zero 0
		.amdhsa_exception_fp_ieee_overflow 0
		.amdhsa_exception_fp_ieee_underflow 0
		.amdhsa_exception_fp_ieee_inexact 0
		.amdhsa_exception_int_div_zero 0
	.end_amdhsa_kernel
	.section	.text._ZN5aiter36smooth_per_token_scaled_quant_kernelItDB8_Li256ELi8ELb0ELb1ELb0ELi1024EEEvPT0_PfPT_S4_PiS7_iiPKiiiiiiiii,"axG",@progbits,_ZN5aiter36smooth_per_token_scaled_quant_kernelItDB8_Li256ELi8ELb0ELb1ELb0ELi1024EEEvPT0_PfPT_S4_PiS7_iiPKiiiiiiiii,comdat
.Lfunc_end71:
	.size	_ZN5aiter36smooth_per_token_scaled_quant_kernelItDB8_Li256ELi8ELb0ELb1ELb0ELi1024EEEvPT0_PfPT_S4_PiS7_iiPKiiiiiiiii, .Lfunc_end71-_ZN5aiter36smooth_per_token_scaled_quant_kernelItDB8_Li256ELi8ELb0ELb1ELb0ELi1024EEEvPT0_PfPT_S4_PiS7_iiPKiiiiiiiii
                                        ; -- End function
	.section	.AMDGPU.csdata,"",@progbits
; Kernel info:
; codeLenInByte = 3104
; NumSgprs: 45
; NumVgprs: 30
; ScratchSize: 0
; MemoryBound: 0
; FloatMode: 240
; IeeeMode: 1
; LDSByteSize: 32 bytes/workgroup (compile time only)
; SGPRBlocks: 5
; VGPRBlocks: 3
; NumSGPRsForWavesPerEU: 45
; NumVGPRsForWavesPerEU: 30
; Occupancy: 16
; WaveLimiterHint : 0
; COMPUTE_PGM_RSRC2:SCRATCH_EN: 0
; COMPUTE_PGM_RSRC2:USER_SGPR: 15
; COMPUTE_PGM_RSRC2:TRAP_HANDLER: 0
; COMPUTE_PGM_RSRC2:TGID_X_EN: 1
; COMPUTE_PGM_RSRC2:TGID_Y_EN: 0
; COMPUTE_PGM_RSRC2:TGID_Z_EN: 0
; COMPUTE_PGM_RSRC2:TIDIG_COMP_CNT: 0
	.section	.text._ZN5aiter36smooth_per_token_scaled_quant_kernelIDF16_DB8_Li256ELi8ELb0ELb0ELb0ELi1024EEEvPT0_PfPT_S4_PiS7_iiPKiiiiiiiii,"axG",@progbits,_ZN5aiter36smooth_per_token_scaled_quant_kernelIDF16_DB8_Li256ELi8ELb0ELb0ELb0ELi1024EEEvPT0_PfPT_S4_PiS7_iiPKiiiiiiiii,comdat
	.protected	_ZN5aiter36smooth_per_token_scaled_quant_kernelIDF16_DB8_Li256ELi8ELb0ELb0ELb0ELi1024EEEvPT0_PfPT_S4_PiS7_iiPKiiiiiiiii ; -- Begin function _ZN5aiter36smooth_per_token_scaled_quant_kernelIDF16_DB8_Li256ELi8ELb0ELb0ELb0ELi1024EEEvPT0_PfPT_S4_PiS7_iiPKiiiiiiiii
	.globl	_ZN5aiter36smooth_per_token_scaled_quant_kernelIDF16_DB8_Li256ELi8ELb0ELb0ELb0ELi1024EEEvPT0_PfPT_S4_PiS7_iiPKiiiiiiiii
	.p2align	8
	.type	_ZN5aiter36smooth_per_token_scaled_quant_kernelIDF16_DB8_Li256ELi8ELb0ELb0ELb0ELi1024EEEvPT0_PfPT_S4_PiS7_iiPKiiiiiiiii,@function
_ZN5aiter36smooth_per_token_scaled_quant_kernelIDF16_DB8_Li256ELi8ELb0ELb0ELb0ELi1024EEEvPT0_PfPT_S4_PiS7_iiPKiiiiiiiii: ; @_ZN5aiter36smooth_per_token_scaled_quant_kernelIDF16_DB8_Li256ELi8ELb0ELb0ELb0ELi1024EEEvPT0_PfPT_S4_PiS7_iiPKiiiiiiiii
; %bb.0:
	s_clause 0x1
	s_load_b64 s[2:3], s[0:1], 0x38
	s_load_b256 s[4:11], s[0:1], 0x40
	s_waitcnt lgkmcnt(0)
	s_cmp_lg_u64 s[2:3], 0
	s_cbranch_scc0 .LBB72_19
; %bb.1:
	s_load_b32 s2, s[2:3], 0x0
	s_waitcnt lgkmcnt(0)
	s_mul_i32 s4, s2, s4
	s_cbranch_execnz .LBB72_3
.LBB72_2:
	s_mul_i32 s4, s6, s5
.LBB72_3:
	s_load_b64 s[2:3], s[0:1], 0x30
	s_abs_i32 s13, s4
	s_waitcnt lgkmcnt(0)
	s_abs_i32 s5, s2
	s_delay_alu instid0(SALU_CYCLE_1) | instskip(SKIP_1) | instid1(VALU_DEP_1)
	v_cvt_f32_u32_e32 v1, s5
	s_sub_i32 s12, 0, s5
	v_rcp_iflag_f32_e32 v1, v1
	s_waitcnt_depctr 0xfff
	v_mul_f32_e32 v1, 0x4f7ffffe, v1
	s_delay_alu instid0(VALU_DEP_1) | instskip(NEXT) | instid1(VALU_DEP_1)
	v_cvt_u32_f32_e32 v1, v1
	v_readfirstlane_b32 s11, v1
	s_delay_alu instid0(VALU_DEP_1) | instskip(NEXT) | instid1(SALU_CYCLE_1)
	s_mul_i32 s12, s12, s11
	s_mul_hi_u32 s12, s11, s12
	s_delay_alu instid0(SALU_CYCLE_1) | instskip(SKIP_4) | instid1(SALU_CYCLE_1)
	s_add_i32 s11, s11, s12
	s_xor_b32 s12, s4, s2
	s_mul_hi_u32 s11, s13, s11
	s_ashr_i32 s12, s12, 31
	s_mul_i32 s14, s11, s5
	s_sub_i32 s13, s13, s14
	s_add_i32 s14, s11, 1
	s_sub_i32 s16, s13, s5
	s_cmp_ge_u32 s13, s5
	s_cselect_b32 s11, s14, s11
	s_cselect_b32 s13, s16, s13
	s_add_i32 s14, s11, 1
	s_cmp_ge_u32 s13, s5
	s_cselect_b32 s5, s14, s11
	s_delay_alu instid0(SALU_CYCLE_1) | instskip(NEXT) | instid1(SALU_CYCLE_1)
	s_xor_b32 s5, s5, s12
	s_sub_i32 s5, s5, s12
	s_mov_b32 s12, 0
	s_mul_i32 s2, s5, s2
	s_delay_alu instid0(SALU_CYCLE_1) | instskip(NEXT) | instid1(SALU_CYCLE_1)
	s_sub_i32 s4, s4, s2
	s_cmp_lt_u32 s15, s4
	s_cselect_b32 s2, -1, 0
	s_add_i32 s11, s5, 1
	s_cmp_ge_u32 s15, s4
	s_cbranch_scc0 .LBB72_5
; %bb.4:
	s_sub_i32 s13, s15, s4
	s_mul_i32 s4, s4, s11
	s_mul_i32 s13, s13, s5
	s_delay_alu instid0(SALU_CYCLE_1)
	s_add_i32 s4, s13, s4
	s_and_not1_b32 vcc_lo, exec_lo, s12
	s_cbranch_vccz .LBB72_6
	s_branch .LBB72_7
.LBB72_5:
                                        ; implicit-def: $sgpr4
.LBB72_6:
	s_mul_i32 s4, s11, s15
.LBB72_7:
	v_cndmask_b32_e64 v1, 0, 1, s2
	s_delay_alu instid0(VALU_DEP_1) | instskip(NEXT) | instid1(VALU_DEP_1)
	v_readfirstlane_b32 s2, v1
	s_add_i32 s5, s5, s2
	s_delay_alu instid0(SALU_CYCLE_1)
	s_cmp_lt_i32 s5, 1
	s_cbranch_scc1 .LBB72_18
; %bb.8:
	s_abs_i32 s33, s6
	s_load_b256 s[12:19], s[0:1], 0x0
	v_cvt_f32_u32_e32 v3, s33
	s_add_i32 s1, s3, 7
	s_mov_b32 s11, s3
	s_ashr_i32 s2, s1, 31
	s_lshl_b32 s22, s3, 1
	v_rcp_iflag_f32_e32 v5, v3
	v_lshlrev_b32_e32 v2, 5, v0
	s_lshl_b32 s26, s3, 2
	s_lshr_b32 s2, s2, 29
	s_add_i32 s3, s3, 3
	s_add_i32 s1, s1, s2
	s_ashr_i32 s2, s3, 31
	v_and_b32_e32 v3, 31, v0
	v_lshrrev_b32_e32 v4, 3, v0
	s_waitcnt_depctr 0xfff
	v_dual_mul_f32 v5, 0x4f7ffffe, v5 :: v_dual_and_b32 v6, 7, v0
	s_lshr_b32 s2, s2, 30
	s_ashr_i32 s1, s1, 3
	s_add_i32 s3, s3, s2
	s_sub_i32 s2, 0, s33
	v_cvt_u32_f32_e32 v5, v5
	v_lshlrev_b32_e32 v1, 4, v0
	v_cmp_eq_u32_e32 vcc_lo, 31, v3
	v_and_b32_e32 v3, 0x7c, v4
	v_cmp_eq_u32_e64 s0, 0, v0
	v_readfirstlane_b32 s20, v5
	v_cmp_gt_u32_e64 s1, s1, v0
	v_dual_mov_b32 v5, 0 :: v_dual_lshlrev_b32 v0, 3, v0
	v_dual_mov_b32 v7, 0x43e00000 :: v_dual_lshlrev_b32 v4, 2, v6
	s_delay_alu instid0(VALU_DEP_4)
	s_mul_i32 s2, s2, s20
	v_mov_b32_e32 v6, 0xc3e00000
	s_mov_b32 s23, -1
	s_waitcnt lgkmcnt(0)
	s_and_b32 s19, s19, 0xffff
	s_mul_hi_u32 s2, s20, s2
	s_mov_b32 s27, s23
	s_and_b32 s30, s3, -4
	s_ashr_i32 s34, s6, 31
	s_add_i32 s35, s20, s2
	s_mov_b32 s24, s18
	s_mov_b32 s25, s19
	;; [unrolled: 1-line block ×4, first 2 shown]
                                        ; implicit-def: $vgpr8
                                        ; implicit-def: $vgpr11
                                        ; implicit-def: $vgpr9
                                        ; implicit-def: $vgpr12
                                        ; implicit-def: $vgpr10
                                        ; implicit-def: $vgpr14
                                        ; implicit-def: $vgpr13
                                        ; implicit-def: $vgpr15
	s_branch .LBB72_10
.LBB72_9:                               ;   in Loop: Header=BB72_10 Depth=1
	s_or_b32 exec_lo, exec_lo, s3
	s_add_i32 s5, s5, -1
	s_add_i32 s4, s4, 1
	s_cmp_eq_u32 s5, 0
	s_cbranch_scc1 .LBB72_18
.LBB72_10:                              ; =>This Inner Loop Header: Depth=1
	s_abs_i32 s2, s4
	s_ashr_i32 s20, s4, 31
	s_mul_hi_u32 s3, s2, s35
	s_xor_b32 s20, s20, s34
	s_mul_i32 s21, s3, s33
	s_delay_alu instid0(SALU_CYCLE_1)
	s_sub_i32 s2, s2, s21
	s_add_i32 s21, s3, 1
	s_sub_i32 s28, s2, s33
	s_cmp_ge_u32 s2, s33
	s_cselect_b32 s3, s21, s3
	s_cselect_b32 s2, s28, s2
	s_add_i32 s21, s3, 1
	s_cmp_ge_u32 s2, s33
	s_cselect_b32 s2, s21, s3
	s_delay_alu instid0(SALU_CYCLE_1) | instskip(NEXT) | instid1(SALU_CYCLE_1)
	s_xor_b32 s2, s2, s20
	s_sub_i32 s3, s2, s20
	s_delay_alu instid0(SALU_CYCLE_1) | instskip(SKIP_2) | instid1(SALU_CYCLE_1)
	s_mul_i32 s2, s3, s6
	s_mul_i32 s20, s3, s7
	s_sub_i32 s28, s4, s2
	s_mul_i32 s2, s28, s8
	s_delay_alu instid0(SALU_CYCLE_1) | instskip(NEXT) | instid1(SALU_CYCLE_1)
	s_add_i32 s2, s2, s20
	s_cmp_eq_u32 s2, s19
	s_cbranch_scc1 .LBB72_12
; %bb.11:                               ;   in Loop: Header=BB72_10 Depth=1
	s_mul_hi_i32 s21, s2, s11
	s_mul_i32 s20, s2, s11
	s_delay_alu instid0(SALU_CYCLE_1) | instskip(NEXT) | instid1(SALU_CYCLE_1)
	s_lshl_b64 s[20:21], s[20:21], 1
	s_add_u32 s20, s16, s20
	s_addc_u32 s19, s17, s21
	s_delay_alu instid0(SALU_CYCLE_1)
	s_and_b32 s21, s19, 0xffff
	s_mov_b32 s19, s2
	buffer_load_b128 v[9:12], v1, s[20:23], 0 offen
	s_waitcnt vmcnt(0)
	v_lshrrev_b32_e32 v14, 16, v9
	v_lshrrev_b32_e32 v15, 16, v10
	;; [unrolled: 1-line block ×4, first 2 shown]
	v_cvt_f32_f16_e32 v8, v9
	v_cvt_f32_f16_e32 v9, v10
	;; [unrolled: 1-line block ×8, first 2 shown]
.LBB72_12:                              ;   in Loop: Header=BB72_10 Depth=1
	s_clause 0x1
	buffer_load_b128 v[16:19], v2, s[24:27], 0 offen
	buffer_load_b128 v[24:27], v2, s[24:27], 16 offen
	s_waitcnt vmcnt(1)
	v_dual_mul_f32 v22, v8, v16 :: v_dual_mul_f32 v23, v11, v17
	v_dual_mul_f32 v20, v9, v18 :: v_dual_mul_f32 v21, v12, v19
	s_waitcnt vmcnt(0)
	v_mul_f32_e32 v19, v10, v24
	v_dual_mul_f32 v17, v14, v25 :: v_dual_mul_f32 v18, v15, v27
	v_max3_f32 v16, |v22|, 0x2edbe6ff, |v23|
	s_delay_alu instid0(VALU_DEP_1) | instskip(SKIP_1) | instid1(VALU_DEP_2)
	v_max3_f32 v24, v16, |v20|, |v21|
	v_mul_f32_e32 v16, v13, v26
	v_max3_f32 v24, v24, |v19|, |v17|
	s_delay_alu instid0(VALU_DEP_1) | instskip(NEXT) | instid1(VALU_DEP_1)
	v_max3_f32 v24, v24, |v16|, |v18|
	v_mov_b32_dpp v25, v24 quad_perm:[1,0,3,2] row_mask:0xf bank_mask:0xf
	s_delay_alu instid0(VALU_DEP_1) | instskip(NEXT) | instid1(VALU_DEP_1)
	v_cmp_gt_f32_e64 s2, v24, v25
	v_cndmask_b32_e64 v24, v25, v24, s2
	s_delay_alu instid0(VALU_DEP_1) | instskip(NEXT) | instid1(VALU_DEP_1)
	v_mov_b32_dpp v25, v24 quad_perm:[2,3,0,1] row_mask:0xf bank_mask:0xf
	v_cmp_gt_f32_e64 s2, v24, v25
	s_delay_alu instid0(VALU_DEP_1) | instskip(NEXT) | instid1(VALU_DEP_1)
	v_cndmask_b32_e64 v24, v25, v24, s2
	v_mov_b32_dpp v25, v24 row_xmask:7 row_mask:0xf bank_mask:0xf
	s_delay_alu instid0(VALU_DEP_1) | instskip(NEXT) | instid1(VALU_DEP_1)
	v_cmp_gt_f32_e64 s2, v24, v25
	v_cndmask_b32_e64 v24, v25, v24, s2
	s_delay_alu instid0(VALU_DEP_1) | instskip(NEXT) | instid1(VALU_DEP_1)
	v_mov_b32_dpp v25, v24 row_xmask:15 row_mask:0xf bank_mask:0xf
	v_cmp_gt_f32_e64 s2, v24, v25
	s_and_saveexec_b32 s20, vcc_lo
	s_cbranch_execz .LBB72_14
; %bb.13:                               ;   in Loop: Header=BB72_10 Depth=1
	s_delay_alu instid0(VALU_DEP_1) | instskip(NEXT) | instid1(VALU_DEP_1)
	v_cndmask_b32_e64 v24, v25, v24, s2
	v_permlanex16_b32 v25, v24, s18, 0xfedcba98 op_sel:[1,1]
	s_delay_alu instid0(VALU_DEP_1) | instskip(NEXT) | instid1(VALU_DEP_1)
	v_cmp_gt_f32_e64 s2, v24, v25
	v_cndmask_b32_e64 v24, v25, v24, s2
	ds_store_b32 v3, v24
.LBB72_14:                              ;   in Loop: Header=BB72_10 Depth=1
	s_or_b32 exec_lo, exec_lo, s20
	s_waitcnt lgkmcnt(0)
	s_waitcnt_vscnt null, 0x0
	s_barrier
	buffer_gl0_inv
	ds_load_b32 v24, v4
	s_mul_i32 s3, s3, s9
	s_waitcnt lgkmcnt(0)
	v_mov_b32_dpp v25, v24 quad_perm:[1,0,3,2] row_mask:0xf bank_mask:0xf
	s_delay_alu instid0(VALU_DEP_1) | instskip(NEXT) | instid1(VALU_DEP_1)
	v_cmp_gt_f32_e64 s2, v24, v25
	v_cndmask_b32_e64 v24, v25, v24, s2
	s_delay_alu instid0(VALU_DEP_1) | instskip(NEXT) | instid1(VALU_DEP_1)
	v_mov_b32_dpp v25, v24 quad_perm:[2,3,0,1] row_mask:0xf bank_mask:0xf
	v_cmp_gt_f32_e64 s2, v24, v25
	s_delay_alu instid0(VALU_DEP_1) | instskip(NEXT) | instid1(VALU_DEP_1)
	v_cndmask_b32_e64 v24, v25, v24, s2
	v_mov_b32_dpp v25, v24 row_xmask:7 row_mask:0xf bank_mask:0xf
	s_delay_alu instid0(VALU_DEP_1) | instskip(NEXT) | instid1(VALU_DEP_1)
	v_cmp_gt_f32_e64 s2, v24, v25
	v_cndmask_b32_e64 v24, v25, v24, s2
	s_mul_i32 s2, s28, s10
	s_delay_alu instid0(SALU_CYCLE_1) | instskip(NEXT) | instid1(VALU_DEP_1)
	s_add_i32 s2, s2, s3
	v_mul_f32_e32 v24, 0x3b124925, v24
	s_and_saveexec_b32 s20, s0
	s_cbranch_execz .LBB72_16
; %bb.15:                               ;   in Loop: Header=BB72_10 Depth=1
	s_ashr_i32 s3, s2, 31
	s_delay_alu instid0(SALU_CYCLE_1) | instskip(NEXT) | instid1(SALU_CYCLE_1)
	s_lshl_b64 s[28:29], s[2:3], 2
	s_add_u32 s28, s14, s28
	s_addc_u32 s29, s15, s29
	global_store_b32 v5, v24, s[28:29]
.LBB72_16:                              ;   in Loop: Header=BB72_10 Depth=1
	s_or_b32 exec_lo, exec_lo, s20
	s_and_saveexec_b32 s3, s1
	s_cbranch_execz .LBB72_9
; %bb.17:                               ;   in Loop: Header=BB72_10 Depth=1
	v_rcp_f32_e32 v24, v24
	s_mul_i32 s20, s2, s11
	s_mul_hi_i32 s2, s2, s11
	s_add_u32 s28, s12, s20
	s_addc_u32 s2, s13, s2
	s_mov_b32 s31, s23
	s_and_b32 s29, s2, 0xffff
	s_waitcnt_depctr 0xfff
	v_mul_f32_e32 v22, v22, v24
	v_mul_f32_e32 v23, v23, v24
	;; [unrolled: 1-line block ×4, first 2 shown]
	;;#ASMSTART
	v_med3_f32 v22, v22, v6, v7
v_med3_f32 v23, v23, v6, v7
v_cvt_pk_fp8_f32 v25, v22, v23
	;;#ASMEND
	;;#ASMSTART
	v_med3_f32 v20, v20, v6, v7
v_med3_f32 v21, v21, v6, v7
v_cvt_pk_fp8_f32 v22, v20, v21
	;;#ASMEND
	v_perm_b32 v20, v22, v25, 0x5040100
	v_dual_mul_f32 v17, v17, v24 :: v_dual_and_b32 v22, 0xffffff00, v22
	v_mul_f32_e32 v16, v16, v24
	v_mul_f32_e32 v18, v18, v24
	s_delay_alu instid0(VALU_DEP_4) | instskip(NEXT) | instid1(VALU_DEP_1)
	v_lshrrev_b32_e32 v21, 16, v20
	v_and_b32_e32 v21, 0xff, v21
	s_delay_alu instid0(VALU_DEP_1)
	v_or_b32_e32 v21, v21, v22
	v_mul_f32_e32 v19, v19, v24
	;;#ASMSTART
	v_med3_f32 v19, v19, v6, v7
v_med3_f32 v17, v17, v6, v7
v_cvt_pk_fp8_f32 v22, v19, v17
	;;#ASMEND
	;;#ASMSTART
	v_med3_f32 v16, v16, v6, v7
v_med3_f32 v18, v18, v6, v7
v_cvt_pk_fp8_f32 v17, v16, v18
	;;#ASMEND
	v_lshlrev_b32_e32 v16, 16, v17
	v_lshlrev_b32_e32 v18, 16, v21
	s_delay_alu instid0(VALU_DEP_2) | instskip(NEXT) | instid1(VALU_DEP_2)
	v_and_or_b32 v17, 0xffff, v22, v16
	v_and_or_b32 v16, 0xffff, v20, v18
	buffer_store_b64 v[16:17], v0, s[28:31], 0 offen
	;;#ASMSTART
	s_nop 0
	;;#ASMEND
	s_branch .LBB72_9
.LBB72_18:
	s_nop 0
	s_sendmsg sendmsg(MSG_DEALLOC_VGPRS)
	s_endpgm
.LBB72_19:
                                        ; implicit-def: $sgpr4
	s_branch .LBB72_2
	.section	.rodata,"a",@progbits
	.p2align	6, 0x0
	.amdhsa_kernel _ZN5aiter36smooth_per_token_scaled_quant_kernelIDF16_DB8_Li256ELi8ELb0ELb0ELb0ELi1024EEEvPT0_PfPT_S4_PiS7_iiPKiiiiiiiii
		.amdhsa_group_segment_fixed_size 32
		.amdhsa_private_segment_fixed_size 0
		.amdhsa_kernarg_size 96
		.amdhsa_user_sgpr_count 15
		.amdhsa_user_sgpr_dispatch_ptr 0
		.amdhsa_user_sgpr_queue_ptr 0
		.amdhsa_user_sgpr_kernarg_segment_ptr 1
		.amdhsa_user_sgpr_dispatch_id 0
		.amdhsa_user_sgpr_private_segment_size 0
		.amdhsa_wavefront_size32 1
		.amdhsa_uses_dynamic_stack 0
		.amdhsa_enable_private_segment 0
		.amdhsa_system_sgpr_workgroup_id_x 1
		.amdhsa_system_sgpr_workgroup_id_y 0
		.amdhsa_system_sgpr_workgroup_id_z 0
		.amdhsa_system_sgpr_workgroup_info 0
		.amdhsa_system_vgpr_workitem_id 0
		.amdhsa_next_free_vgpr 28
		.amdhsa_next_free_sgpr 36
		.amdhsa_reserve_vcc 1
		.amdhsa_float_round_mode_32 0
		.amdhsa_float_round_mode_16_64 0
		.amdhsa_float_denorm_mode_32 3
		.amdhsa_float_denorm_mode_16_64 3
		.amdhsa_dx10_clamp 1
		.amdhsa_ieee_mode 1
		.amdhsa_fp16_overflow 0
		.amdhsa_workgroup_processor_mode 1
		.amdhsa_memory_ordered 1
		.amdhsa_forward_progress 0
		.amdhsa_shared_vgpr_count 0
		.amdhsa_exception_fp_ieee_invalid_op 0
		.amdhsa_exception_fp_denorm_src 0
		.amdhsa_exception_fp_ieee_div_zero 0
		.amdhsa_exception_fp_ieee_overflow 0
		.amdhsa_exception_fp_ieee_underflow 0
		.amdhsa_exception_fp_ieee_inexact 0
		.amdhsa_exception_int_div_zero 0
	.end_amdhsa_kernel
	.section	.text._ZN5aiter36smooth_per_token_scaled_quant_kernelIDF16_DB8_Li256ELi8ELb0ELb0ELb0ELi1024EEEvPT0_PfPT_S4_PiS7_iiPKiiiiiiiii,"axG",@progbits,_ZN5aiter36smooth_per_token_scaled_quant_kernelIDF16_DB8_Li256ELi8ELb0ELb0ELb0ELi1024EEEvPT0_PfPT_S4_PiS7_iiPKiiiiiiiii,comdat
.Lfunc_end72:
	.size	_ZN5aiter36smooth_per_token_scaled_quant_kernelIDF16_DB8_Li256ELi8ELb0ELb0ELb0ELi1024EEEvPT0_PfPT_S4_PiS7_iiPKiiiiiiiii, .Lfunc_end72-_ZN5aiter36smooth_per_token_scaled_quant_kernelIDF16_DB8_Li256ELi8ELb0ELb0ELb0ELi1024EEEvPT0_PfPT_S4_PiS7_iiPKiiiiiiiii
                                        ; -- End function
	.section	.AMDGPU.csdata,"",@progbits
; Kernel info:
; codeLenInByte = 1672
; NumSgprs: 38
; NumVgprs: 28
; ScratchSize: 0
; MemoryBound: 0
; FloatMode: 240
; IeeeMode: 1
; LDSByteSize: 32 bytes/workgroup (compile time only)
; SGPRBlocks: 4
; VGPRBlocks: 3
; NumSGPRsForWavesPerEU: 38
; NumVGPRsForWavesPerEU: 28
; Occupancy: 16
; WaveLimiterHint : 0
; COMPUTE_PGM_RSRC2:SCRATCH_EN: 0
; COMPUTE_PGM_RSRC2:USER_SGPR: 15
; COMPUTE_PGM_RSRC2:TRAP_HANDLER: 0
; COMPUTE_PGM_RSRC2:TGID_X_EN: 1
; COMPUTE_PGM_RSRC2:TGID_Y_EN: 0
; COMPUTE_PGM_RSRC2:TGID_Z_EN: 0
; COMPUTE_PGM_RSRC2:TIDIG_COMP_CNT: 0
	.section	.text._ZN5aiter36smooth_per_token_scaled_quant_kernelItDB8_Li256ELi8ELb0ELb0ELb0ELi1024EEEvPT0_PfPT_S4_PiS7_iiPKiiiiiiiii,"axG",@progbits,_ZN5aiter36smooth_per_token_scaled_quant_kernelItDB8_Li256ELi8ELb0ELb0ELb0ELi1024EEEvPT0_PfPT_S4_PiS7_iiPKiiiiiiiii,comdat
	.protected	_ZN5aiter36smooth_per_token_scaled_quant_kernelItDB8_Li256ELi8ELb0ELb0ELb0ELi1024EEEvPT0_PfPT_S4_PiS7_iiPKiiiiiiiii ; -- Begin function _ZN5aiter36smooth_per_token_scaled_quant_kernelItDB8_Li256ELi8ELb0ELb0ELb0ELi1024EEEvPT0_PfPT_S4_PiS7_iiPKiiiiiiiii
	.globl	_ZN5aiter36smooth_per_token_scaled_quant_kernelItDB8_Li256ELi8ELb0ELb0ELb0ELi1024EEEvPT0_PfPT_S4_PiS7_iiPKiiiiiiiii
	.p2align	8
	.type	_ZN5aiter36smooth_per_token_scaled_quant_kernelItDB8_Li256ELi8ELb0ELb0ELb0ELi1024EEEvPT0_PfPT_S4_PiS7_iiPKiiiiiiiii,@function
_ZN5aiter36smooth_per_token_scaled_quant_kernelItDB8_Li256ELi8ELb0ELb0ELb0ELi1024EEEvPT0_PfPT_S4_PiS7_iiPKiiiiiiiii: ; @_ZN5aiter36smooth_per_token_scaled_quant_kernelItDB8_Li256ELi8ELb0ELb0ELb0ELi1024EEEvPT0_PfPT_S4_PiS7_iiPKiiiiiiiii
; %bb.0:
	s_clause 0x1
	s_load_b64 s[2:3], s[0:1], 0x38
	s_load_b256 s[4:11], s[0:1], 0x40
	s_waitcnt lgkmcnt(0)
	s_cmp_lg_u64 s[2:3], 0
	s_cbranch_scc0 .LBB73_19
; %bb.1:
	s_load_b32 s2, s[2:3], 0x0
	s_waitcnt lgkmcnt(0)
	s_mul_i32 s4, s2, s4
	s_cbranch_execnz .LBB73_3
.LBB73_2:
	s_mul_i32 s4, s6, s5
.LBB73_3:
	s_load_b64 s[2:3], s[0:1], 0x30
	s_abs_i32 s13, s4
	s_waitcnt lgkmcnt(0)
	s_abs_i32 s5, s2
	s_delay_alu instid0(SALU_CYCLE_1) | instskip(SKIP_1) | instid1(VALU_DEP_1)
	v_cvt_f32_u32_e32 v1, s5
	s_sub_i32 s12, 0, s5
	v_rcp_iflag_f32_e32 v1, v1
	s_waitcnt_depctr 0xfff
	v_mul_f32_e32 v1, 0x4f7ffffe, v1
	s_delay_alu instid0(VALU_DEP_1) | instskip(NEXT) | instid1(VALU_DEP_1)
	v_cvt_u32_f32_e32 v1, v1
	v_readfirstlane_b32 s11, v1
	s_delay_alu instid0(VALU_DEP_1) | instskip(NEXT) | instid1(SALU_CYCLE_1)
	s_mul_i32 s12, s12, s11
	s_mul_hi_u32 s12, s11, s12
	s_delay_alu instid0(SALU_CYCLE_1) | instskip(SKIP_4) | instid1(SALU_CYCLE_1)
	s_add_i32 s11, s11, s12
	s_xor_b32 s12, s4, s2
	s_mul_hi_u32 s11, s13, s11
	s_ashr_i32 s12, s12, 31
	s_mul_i32 s14, s11, s5
	s_sub_i32 s13, s13, s14
	s_add_i32 s14, s11, 1
	s_sub_i32 s16, s13, s5
	s_cmp_ge_u32 s13, s5
	s_cselect_b32 s11, s14, s11
	s_cselect_b32 s13, s16, s13
	s_add_i32 s14, s11, 1
	s_cmp_ge_u32 s13, s5
	s_cselect_b32 s5, s14, s11
	s_delay_alu instid0(SALU_CYCLE_1) | instskip(NEXT) | instid1(SALU_CYCLE_1)
	s_xor_b32 s5, s5, s12
	s_sub_i32 s5, s5, s12
	s_mov_b32 s12, 0
	s_mul_i32 s2, s5, s2
	s_delay_alu instid0(SALU_CYCLE_1) | instskip(NEXT) | instid1(SALU_CYCLE_1)
	s_sub_i32 s4, s4, s2
	s_cmp_lt_u32 s15, s4
	s_cselect_b32 s2, -1, 0
	s_add_i32 s11, s5, 1
	s_cmp_ge_u32 s15, s4
	s_cbranch_scc0 .LBB73_5
; %bb.4:
	s_sub_i32 s13, s15, s4
	s_mul_i32 s4, s4, s11
	s_mul_i32 s13, s13, s5
	s_delay_alu instid0(SALU_CYCLE_1)
	s_add_i32 s4, s13, s4
	s_and_not1_b32 vcc_lo, exec_lo, s12
	s_cbranch_vccz .LBB73_6
	s_branch .LBB73_7
.LBB73_5:
                                        ; implicit-def: $sgpr4
.LBB73_6:
	s_mul_i32 s4, s11, s15
.LBB73_7:
	v_cndmask_b32_e64 v1, 0, 1, s2
	s_delay_alu instid0(VALU_DEP_1) | instskip(NEXT) | instid1(VALU_DEP_1)
	v_readfirstlane_b32 s2, v1
	s_add_i32 s5, s5, s2
	s_delay_alu instid0(SALU_CYCLE_1)
	s_cmp_lt_i32 s5, 1
	s_cbranch_scc1 .LBB73_18
; %bb.8:
	s_abs_i32 s33, s6
	s_load_b256 s[12:19], s[0:1], 0x0
	v_cvt_f32_u32_e32 v3, s33
	s_add_i32 s1, s3, 7
	s_mov_b32 s11, s3
	s_ashr_i32 s2, s1, 31
	s_lshl_b32 s22, s3, 1
	v_rcp_iflag_f32_e32 v5, v3
	v_lshlrev_b32_e32 v2, 5, v0
	s_lshl_b32 s26, s3, 2
	s_lshr_b32 s2, s2, 29
	s_add_i32 s3, s3, 3
	s_add_i32 s1, s1, s2
	s_ashr_i32 s2, s3, 31
	v_and_b32_e32 v3, 31, v0
	v_lshrrev_b32_e32 v4, 3, v0
	s_waitcnt_depctr 0xfff
	v_dual_mul_f32 v5, 0x4f7ffffe, v5 :: v_dual_and_b32 v6, 7, v0
	s_lshr_b32 s2, s2, 30
	s_ashr_i32 s1, s1, 3
	s_add_i32 s3, s3, s2
	s_sub_i32 s2, 0, s33
	v_cvt_u32_f32_e32 v5, v5
	v_lshlrev_b32_e32 v1, 4, v0
	v_cmp_eq_u32_e32 vcc_lo, 31, v3
	v_and_b32_e32 v3, 0x7c, v4
	v_cmp_eq_u32_e64 s0, 0, v0
	v_readfirstlane_b32 s20, v5
	v_cmp_gt_u32_e64 s1, s1, v0
	v_dual_mov_b32 v5, 0 :: v_dual_lshlrev_b32 v0, 3, v0
	v_dual_mov_b32 v7, 0x43e00000 :: v_dual_lshlrev_b32 v4, 2, v6
	s_delay_alu instid0(VALU_DEP_4)
	s_mul_i32 s2, s2, s20
	v_mov_b32_e32 v6, 0xc3e00000
	s_mov_b32 s23, -1
	s_waitcnt lgkmcnt(0)
	s_and_b32 s19, s19, 0xffff
	s_mul_hi_u32 s2, s20, s2
	s_mov_b32 s27, s23
	s_and_b32 s30, s3, -4
	s_ashr_i32 s34, s6, 31
	s_add_i32 s35, s20, s2
	s_mov_b32 s24, s18
	s_mov_b32 s25, s19
	;; [unrolled: 1-line block ×4, first 2 shown]
                                        ; implicit-def: $vgpr8
                                        ; implicit-def: $vgpr9
                                        ; implicit-def: $vgpr10
                                        ; implicit-def: $vgpr11
                                        ; implicit-def: $vgpr12
                                        ; implicit-def: $vgpr13
                                        ; implicit-def: $vgpr14
                                        ; implicit-def: $vgpr15
	s_branch .LBB73_10
.LBB73_9:                               ;   in Loop: Header=BB73_10 Depth=1
	s_or_b32 exec_lo, exec_lo, s3
	s_add_i32 s5, s5, -1
	s_add_i32 s4, s4, 1
	s_cmp_eq_u32 s5, 0
	s_cbranch_scc1 .LBB73_18
.LBB73_10:                              ; =>This Inner Loop Header: Depth=1
	s_abs_i32 s2, s4
	s_ashr_i32 s20, s4, 31
	s_mul_hi_u32 s3, s2, s35
	s_xor_b32 s20, s20, s34
	s_mul_i32 s21, s3, s33
	s_delay_alu instid0(SALU_CYCLE_1)
	s_sub_i32 s2, s2, s21
	s_add_i32 s21, s3, 1
	s_sub_i32 s28, s2, s33
	s_cmp_ge_u32 s2, s33
	s_cselect_b32 s3, s21, s3
	s_cselect_b32 s2, s28, s2
	s_add_i32 s21, s3, 1
	s_cmp_ge_u32 s2, s33
	s_cselect_b32 s2, s21, s3
	s_delay_alu instid0(SALU_CYCLE_1) | instskip(NEXT) | instid1(SALU_CYCLE_1)
	s_xor_b32 s2, s2, s20
	s_sub_i32 s3, s2, s20
	s_delay_alu instid0(SALU_CYCLE_1) | instskip(SKIP_2) | instid1(SALU_CYCLE_1)
	s_mul_i32 s2, s3, s6
	s_mul_i32 s20, s3, s7
	s_sub_i32 s28, s4, s2
	s_mul_i32 s2, s28, s8
	s_delay_alu instid0(SALU_CYCLE_1) | instskip(NEXT) | instid1(SALU_CYCLE_1)
	s_add_i32 s2, s2, s20
	s_cmp_eq_u32 s2, s19
	s_cbranch_scc1 .LBB73_12
; %bb.11:                               ;   in Loop: Header=BB73_10 Depth=1
	s_mul_hi_i32 s21, s2, s11
	s_mul_i32 s20, s2, s11
	s_delay_alu instid0(SALU_CYCLE_1) | instskip(NEXT) | instid1(SALU_CYCLE_1)
	s_lshl_b64 s[20:21], s[20:21], 1
	s_add_u32 s20, s16, s20
	s_addc_u32 s19, s17, s21
	s_delay_alu instid0(SALU_CYCLE_1)
	s_and_b32 s21, s19, 0xffff
	s_mov_b32 s19, s2
	buffer_load_b128 v[8:11], v1, s[20:23], 0 offen
	s_waitcnt vmcnt(0)
	v_and_b32_e32 v12, 0xffff, v8
	v_lshrrev_b32_e32 v13, 16, v8
	v_and_b32_e32 v14, 0xffff, v9
	v_lshrrev_b32_e32 v15, 16, v9
	;; [unrolled: 2-line block ×4, first 2 shown]
	v_cvt_f32_u32_e32 v8, v12
	v_cvt_f32_u32_e32 v9, v13
	;; [unrolled: 1-line block ×8, first 2 shown]
.LBB73_12:                              ;   in Loop: Header=BB73_10 Depth=1
	s_clause 0x1
	buffer_load_b128 v[16:19], v2, s[24:27], 0 offen
	buffer_load_b128 v[24:27], v2, s[24:27], 16 offen
	s_waitcnt vmcnt(1)
	v_dual_mul_f32 v22, v8, v16 :: v_dual_mul_f32 v23, v9, v17
	v_dual_mul_f32 v20, v10, v18 :: v_dual_mul_f32 v21, v11, v19
	s_waitcnt vmcnt(0)
	v_mul_f32_e32 v19, v12, v24
	v_dual_mul_f32 v17, v13, v25 :: v_dual_mul_f32 v18, v15, v27
	v_max3_f32 v16, |v22|, 0x2edbe6ff, |v23|
	s_delay_alu instid0(VALU_DEP_1) | instskip(SKIP_1) | instid1(VALU_DEP_2)
	v_max3_f32 v24, v16, |v20|, |v21|
	v_mul_f32_e32 v16, v14, v26
	v_max3_f32 v24, v24, |v19|, |v17|
	s_delay_alu instid0(VALU_DEP_1) | instskip(NEXT) | instid1(VALU_DEP_1)
	v_max3_f32 v24, v24, |v16|, |v18|
	v_mov_b32_dpp v25, v24 quad_perm:[1,0,3,2] row_mask:0xf bank_mask:0xf
	s_delay_alu instid0(VALU_DEP_1) | instskip(NEXT) | instid1(VALU_DEP_1)
	v_cmp_gt_f32_e64 s2, v24, v25
	v_cndmask_b32_e64 v24, v25, v24, s2
	s_delay_alu instid0(VALU_DEP_1) | instskip(NEXT) | instid1(VALU_DEP_1)
	v_mov_b32_dpp v25, v24 quad_perm:[2,3,0,1] row_mask:0xf bank_mask:0xf
	v_cmp_gt_f32_e64 s2, v24, v25
	s_delay_alu instid0(VALU_DEP_1) | instskip(NEXT) | instid1(VALU_DEP_1)
	v_cndmask_b32_e64 v24, v25, v24, s2
	v_mov_b32_dpp v25, v24 row_xmask:7 row_mask:0xf bank_mask:0xf
	s_delay_alu instid0(VALU_DEP_1) | instskip(NEXT) | instid1(VALU_DEP_1)
	v_cmp_gt_f32_e64 s2, v24, v25
	v_cndmask_b32_e64 v24, v25, v24, s2
	s_delay_alu instid0(VALU_DEP_1) | instskip(NEXT) | instid1(VALU_DEP_1)
	v_mov_b32_dpp v25, v24 row_xmask:15 row_mask:0xf bank_mask:0xf
	v_cmp_gt_f32_e64 s2, v24, v25
	s_and_saveexec_b32 s20, vcc_lo
	s_cbranch_execz .LBB73_14
; %bb.13:                               ;   in Loop: Header=BB73_10 Depth=1
	s_delay_alu instid0(VALU_DEP_1) | instskip(NEXT) | instid1(VALU_DEP_1)
	v_cndmask_b32_e64 v24, v25, v24, s2
	v_permlanex16_b32 v25, v24, s18, 0xfedcba98 op_sel:[1,1]
	s_delay_alu instid0(VALU_DEP_1) | instskip(NEXT) | instid1(VALU_DEP_1)
	v_cmp_gt_f32_e64 s2, v24, v25
	v_cndmask_b32_e64 v24, v25, v24, s2
	ds_store_b32 v3, v24
.LBB73_14:                              ;   in Loop: Header=BB73_10 Depth=1
	s_or_b32 exec_lo, exec_lo, s20
	s_waitcnt lgkmcnt(0)
	s_waitcnt_vscnt null, 0x0
	s_barrier
	buffer_gl0_inv
	ds_load_b32 v24, v4
	s_mul_i32 s3, s3, s9
	s_waitcnt lgkmcnt(0)
	v_mov_b32_dpp v25, v24 quad_perm:[1,0,3,2] row_mask:0xf bank_mask:0xf
	s_delay_alu instid0(VALU_DEP_1) | instskip(NEXT) | instid1(VALU_DEP_1)
	v_cmp_gt_f32_e64 s2, v24, v25
	v_cndmask_b32_e64 v24, v25, v24, s2
	s_delay_alu instid0(VALU_DEP_1) | instskip(NEXT) | instid1(VALU_DEP_1)
	v_mov_b32_dpp v25, v24 quad_perm:[2,3,0,1] row_mask:0xf bank_mask:0xf
	v_cmp_gt_f32_e64 s2, v24, v25
	s_delay_alu instid0(VALU_DEP_1) | instskip(NEXT) | instid1(VALU_DEP_1)
	v_cndmask_b32_e64 v24, v25, v24, s2
	v_mov_b32_dpp v25, v24 row_xmask:7 row_mask:0xf bank_mask:0xf
	s_delay_alu instid0(VALU_DEP_1) | instskip(NEXT) | instid1(VALU_DEP_1)
	v_cmp_gt_f32_e64 s2, v24, v25
	v_cndmask_b32_e64 v24, v25, v24, s2
	s_mul_i32 s2, s28, s10
	s_delay_alu instid0(SALU_CYCLE_1) | instskip(NEXT) | instid1(VALU_DEP_1)
	s_add_i32 s2, s2, s3
	v_mul_f32_e32 v24, 0x3b124925, v24
	s_and_saveexec_b32 s20, s0
	s_cbranch_execz .LBB73_16
; %bb.15:                               ;   in Loop: Header=BB73_10 Depth=1
	s_ashr_i32 s3, s2, 31
	s_delay_alu instid0(SALU_CYCLE_1) | instskip(NEXT) | instid1(SALU_CYCLE_1)
	s_lshl_b64 s[28:29], s[2:3], 2
	s_add_u32 s28, s14, s28
	s_addc_u32 s29, s15, s29
	global_store_b32 v5, v24, s[28:29]
.LBB73_16:                              ;   in Loop: Header=BB73_10 Depth=1
	s_or_b32 exec_lo, exec_lo, s20
	s_and_saveexec_b32 s3, s1
	s_cbranch_execz .LBB73_9
; %bb.17:                               ;   in Loop: Header=BB73_10 Depth=1
	v_rcp_f32_e32 v24, v24
	s_mul_i32 s20, s2, s11
	s_mul_hi_i32 s2, s2, s11
	s_add_u32 s28, s12, s20
	s_addc_u32 s2, s13, s2
	s_mov_b32 s31, s23
	s_and_b32 s29, s2, 0xffff
	s_waitcnt_depctr 0xfff
	v_mul_f32_e32 v22, v22, v24
	v_mul_f32_e32 v23, v23, v24
	;; [unrolled: 1-line block ×4, first 2 shown]
	;;#ASMSTART
	v_med3_f32 v22, v22, v6, v7
v_med3_f32 v23, v23, v6, v7
v_cvt_pk_fp8_f32 v25, v22, v23
	;;#ASMEND
	;;#ASMSTART
	v_med3_f32 v20, v20, v6, v7
v_med3_f32 v21, v21, v6, v7
v_cvt_pk_fp8_f32 v22, v20, v21
	;;#ASMEND
	v_perm_b32 v20, v22, v25, 0x5040100
	v_dual_mul_f32 v17, v17, v24 :: v_dual_and_b32 v22, 0xffffff00, v22
	v_mul_f32_e32 v16, v16, v24
	v_mul_f32_e32 v18, v18, v24
	s_delay_alu instid0(VALU_DEP_4) | instskip(NEXT) | instid1(VALU_DEP_1)
	v_lshrrev_b32_e32 v21, 16, v20
	v_and_b32_e32 v21, 0xff, v21
	s_delay_alu instid0(VALU_DEP_1)
	v_or_b32_e32 v21, v21, v22
	v_mul_f32_e32 v19, v19, v24
	;;#ASMSTART
	v_med3_f32 v19, v19, v6, v7
v_med3_f32 v17, v17, v6, v7
v_cvt_pk_fp8_f32 v22, v19, v17
	;;#ASMEND
	;;#ASMSTART
	v_med3_f32 v16, v16, v6, v7
v_med3_f32 v18, v18, v6, v7
v_cvt_pk_fp8_f32 v17, v16, v18
	;;#ASMEND
	v_lshlrev_b32_e32 v16, 16, v17
	v_lshlrev_b32_e32 v18, 16, v21
	s_delay_alu instid0(VALU_DEP_2) | instskip(NEXT) | instid1(VALU_DEP_2)
	v_and_or_b32 v17, 0xffff, v22, v16
	v_and_or_b32 v16, 0xffff, v20, v18
	buffer_store_b64 v[16:17], v0, s[28:31], 0 offen
	;;#ASMSTART
	s_nop 0
	;;#ASMEND
	s_branch .LBB73_9
.LBB73_18:
	s_nop 0
	s_sendmsg sendmsg(MSG_DEALLOC_VGPRS)
	s_endpgm
.LBB73_19:
                                        ; implicit-def: $sgpr4
	s_branch .LBB73_2
	.section	.rodata,"a",@progbits
	.p2align	6, 0x0
	.amdhsa_kernel _ZN5aiter36smooth_per_token_scaled_quant_kernelItDB8_Li256ELi8ELb0ELb0ELb0ELi1024EEEvPT0_PfPT_S4_PiS7_iiPKiiiiiiiii
		.amdhsa_group_segment_fixed_size 32
		.amdhsa_private_segment_fixed_size 0
		.amdhsa_kernarg_size 96
		.amdhsa_user_sgpr_count 15
		.amdhsa_user_sgpr_dispatch_ptr 0
		.amdhsa_user_sgpr_queue_ptr 0
		.amdhsa_user_sgpr_kernarg_segment_ptr 1
		.amdhsa_user_sgpr_dispatch_id 0
		.amdhsa_user_sgpr_private_segment_size 0
		.amdhsa_wavefront_size32 1
		.amdhsa_uses_dynamic_stack 0
		.amdhsa_enable_private_segment 0
		.amdhsa_system_sgpr_workgroup_id_x 1
		.amdhsa_system_sgpr_workgroup_id_y 0
		.amdhsa_system_sgpr_workgroup_id_z 0
		.amdhsa_system_sgpr_workgroup_info 0
		.amdhsa_system_vgpr_workitem_id 0
		.amdhsa_next_free_vgpr 28
		.amdhsa_next_free_sgpr 36
		.amdhsa_reserve_vcc 1
		.amdhsa_float_round_mode_32 0
		.amdhsa_float_round_mode_16_64 0
		.amdhsa_float_denorm_mode_32 3
		.amdhsa_float_denorm_mode_16_64 3
		.amdhsa_dx10_clamp 1
		.amdhsa_ieee_mode 1
		.amdhsa_fp16_overflow 0
		.amdhsa_workgroup_processor_mode 1
		.amdhsa_memory_ordered 1
		.amdhsa_forward_progress 0
		.amdhsa_shared_vgpr_count 0
		.amdhsa_exception_fp_ieee_invalid_op 0
		.amdhsa_exception_fp_denorm_src 0
		.amdhsa_exception_fp_ieee_div_zero 0
		.amdhsa_exception_fp_ieee_overflow 0
		.amdhsa_exception_fp_ieee_underflow 0
		.amdhsa_exception_fp_ieee_inexact 0
		.amdhsa_exception_int_div_zero 0
	.end_amdhsa_kernel
	.section	.text._ZN5aiter36smooth_per_token_scaled_quant_kernelItDB8_Li256ELi8ELb0ELb0ELb0ELi1024EEEvPT0_PfPT_S4_PiS7_iiPKiiiiiiiii,"axG",@progbits,_ZN5aiter36smooth_per_token_scaled_quant_kernelItDB8_Li256ELi8ELb0ELb0ELb0ELi1024EEEvPT0_PfPT_S4_PiS7_iiPKiiiiiiiii,comdat
.Lfunc_end73:
	.size	_ZN5aiter36smooth_per_token_scaled_quant_kernelItDB8_Li256ELi8ELb0ELb0ELb0ELi1024EEEvPT0_PfPT_S4_PiS7_iiPKiiiiiiiii, .Lfunc_end73-_ZN5aiter36smooth_per_token_scaled_quant_kernelItDB8_Li256ELi8ELb0ELb0ELb0ELi1024EEEvPT0_PfPT_S4_PiS7_iiPKiiiiiiiii
                                        ; -- End function
	.section	.AMDGPU.csdata,"",@progbits
; Kernel info:
; codeLenInByte = 1704
; NumSgprs: 38
; NumVgprs: 28
; ScratchSize: 0
; MemoryBound: 0
; FloatMode: 240
; IeeeMode: 1
; LDSByteSize: 32 bytes/workgroup (compile time only)
; SGPRBlocks: 4
; VGPRBlocks: 3
; NumSGPRsForWavesPerEU: 38
; NumVGPRsForWavesPerEU: 28
; Occupancy: 16
; WaveLimiterHint : 0
; COMPUTE_PGM_RSRC2:SCRATCH_EN: 0
; COMPUTE_PGM_RSRC2:USER_SGPR: 15
; COMPUTE_PGM_RSRC2:TRAP_HANDLER: 0
; COMPUTE_PGM_RSRC2:TGID_X_EN: 1
; COMPUTE_PGM_RSRC2:TGID_Y_EN: 0
; COMPUTE_PGM_RSRC2:TGID_Z_EN: 0
; COMPUTE_PGM_RSRC2:TIDIG_COMP_CNT: 0
	.section	.text._ZN5aiter36smooth_per_token_scaled_quant_kernelIDF16_DB8_Li256ELi16ELb1ELb1ELb1ELi1024EEEvPT0_PfPT_S4_PiS7_iiPKiiiiiiiii,"axG",@progbits,_ZN5aiter36smooth_per_token_scaled_quant_kernelIDF16_DB8_Li256ELi16ELb1ELb1ELb1ELi1024EEEvPT0_PfPT_S4_PiS7_iiPKiiiiiiiii,comdat
	.protected	_ZN5aiter36smooth_per_token_scaled_quant_kernelIDF16_DB8_Li256ELi16ELb1ELb1ELb1ELi1024EEEvPT0_PfPT_S4_PiS7_iiPKiiiiiiiii ; -- Begin function _ZN5aiter36smooth_per_token_scaled_quant_kernelIDF16_DB8_Li256ELi16ELb1ELb1ELb1ELi1024EEEvPT0_PfPT_S4_PiS7_iiPKiiiiiiiii
	.globl	_ZN5aiter36smooth_per_token_scaled_quant_kernelIDF16_DB8_Li256ELi16ELb1ELb1ELb1ELi1024EEEvPT0_PfPT_S4_PiS7_iiPKiiiiiiiii
	.p2align	8
	.type	_ZN5aiter36smooth_per_token_scaled_quant_kernelIDF16_DB8_Li256ELi16ELb1ELb1ELb1ELi1024EEEvPT0_PfPT_S4_PiS7_iiPKiiiiiiiii,@function
_ZN5aiter36smooth_per_token_scaled_quant_kernelIDF16_DB8_Li256ELi16ELb1ELb1ELb1ELi1024EEEvPT0_PfPT_S4_PiS7_iiPKiiiiiiiii: ; @_ZN5aiter36smooth_per_token_scaled_quant_kernelIDF16_DB8_Li256ELi16ELb1ELb1ELb1ELi1024EEEvPT0_PfPT_S4_PiS7_iiPKiiiiiiiii
; %bb.0:
	s_clause 0x2
	s_load_b64 s[2:3], s[0:1], 0x38
	s_load_b64 s[16:17], s[0:1], 0x28
	s_load_b256 s[4:11], s[0:1], 0x40
	s_waitcnt lgkmcnt(0)
	s_cmp_lg_u64 s[2:3], 0
	s_cbranch_scc0 .LBB74_11
; %bb.1:
	s_load_b32 s2, s[2:3], 0x0
	s_waitcnt lgkmcnt(0)
	s_mul_i32 s4, s2, s4
	s_cbranch_execnz .LBB74_3
.LBB74_2:
	s_mul_i32 s4, s6, s5
.LBB74_3:
	s_load_b64 s[2:3], s[0:1], 0x30
	s_lshl_b32 s18, s11, 2
	s_and_b32 s17, s17, 0xffff
	s_mov_b32 s19, -1
	s_abs_i32 s14, s4
                                        ; implicit-def: $sgpr34
	s_waitcnt lgkmcnt(0)
	s_abs_i32 s11, s2
	s_delay_alu instid0(SALU_CYCLE_1) | instskip(SKIP_1) | instid1(VALU_DEP_1)
	v_cvt_f32_u32_e32 v6, s11
	s_sub_i32 s13, 0, s11
	v_rcp_iflag_f32_e32 v6, v6
	s_waitcnt_depctr 0xfff
	v_dual_mul_f32 v6, 0x4f7ffffe, v6 :: v_dual_lshlrev_b32 v1, 2, v0
	s_clause 0x3
	buffer_load_b32 v2, v1, s[16:19], 0 offen
	buffer_load_b32 v3, v1, s[16:19], 0 offen offset:1024
	buffer_load_b32 v4, v1, s[16:19], 0 offen offset:2048
	buffer_load_b32 v5, v1, s[16:19], 0 offen offset:3072
	s_waitcnt vmcnt(2)
	ds_store_2addr_stride64_b32 v1, v2, v3 offset1:4
	s_waitcnt vmcnt(0)
	ds_store_2addr_stride64_b32 v1, v4, v5 offset0:8 offset1:12
	v_cvt_u32_f32_e32 v6, v6
	s_delay_alu instid0(VALU_DEP_1) | instskip(NEXT) | instid1(VALU_DEP_1)
	v_readfirstlane_b32 s12, v6
	s_mul_i32 s13, s13, s12
	s_delay_alu instid0(SALU_CYCLE_1) | instskip(NEXT) | instid1(SALU_CYCLE_1)
	s_mul_hi_u32 s13, s12, s13
	s_add_i32 s12, s12, s13
	s_xor_b32 s13, s4, s2
	s_mul_hi_u32 s12, s14, s12
	s_ashr_i32 s13, s13, 31
	s_mul_i32 s16, s12, s11
	s_delay_alu instid0(SALU_CYCLE_1)
	s_sub_i32 s14, s14, s16
	s_add_i32 s16, s12, 1
	s_sub_i32 s17, s14, s11
	s_cmp_ge_u32 s14, s11
	s_cselect_b32 s12, s16, s12
	s_cselect_b32 s14, s17, s14
	s_add_i32 s16, s12, 1
	s_cmp_ge_u32 s14, s11
	s_cselect_b32 s11, s16, s12
	s_delay_alu instid0(SALU_CYCLE_1) | instskip(NEXT) | instid1(SALU_CYCLE_1)
	s_xor_b32 s11, s11, s13
	s_sub_i32 s11, s11, s13
	s_delay_alu instid0(SALU_CYCLE_1) | instskip(NEXT) | instid1(SALU_CYCLE_1)
	s_mul_i32 s2, s11, s2
	s_sub_i32 s12, s4, s2
	s_delay_alu instid0(SALU_CYCLE_1)
	s_cmp_lt_u32 s15, s12
	s_cselect_b32 s2, -1, 0
	s_add_i32 s4, s11, 1
	s_cmp_ge_u32 s15, s12
	s_cbranch_scc0 .LBB74_5
; %bb.4:
	s_sub_i32 s13, s15, s12
	s_mul_i32 s12, s12, s4
	s_mul_i32 s13, s13, s11
	s_mov_b32 s19, 0
	s_add_i32 s34, s13, s12
.LBB74_5:
	s_and_not1_b32 vcc_lo, exec_lo, s19
	s_cbranch_vccnz .LBB74_7
; %bb.6:
	s_mul_i32 s34, s4, s15
.LBB74_7:
	v_cndmask_b32_e64 v1, 0, 1, s2
	s_delay_alu instid0(VALU_DEP_1) | instskip(NEXT) | instid1(VALU_DEP_1)
	v_readfirstlane_b32 s2, v1
	s_add_i32 s4, s11, s2
	s_delay_alu instid0(SALU_CYCLE_1)
	s_cmp_lt_i32 s4, 1
	s_cbranch_scc1 .LBB74_35
; %bb.8:
	s_load_b64 s[12:13], s[0:1], 0x20
	s_ashr_i32 s35, s34, 31
	v_and_b32_e32 v1, 31, v0
	s_lshl_b64 s[14:15], s[34:35], 2
	s_mov_b32 s33, -1
	v_and_b32_e32 v4, 7, v0
	s_mov_b32 s23, s33
	v_cmp_eq_u32_e32 vcc_lo, 31, v1
	v_lshlrev_b32_e32 v16, 5, v0
	v_lshlrev_b32_e32 v17, 6, v0
	v_lshl_or_b32 v19, v4, 2, 0x1000
	v_lshlrev_b32_e32 v21, 4, v0
	s_mov_b32 s42, s3
	s_waitcnt lgkmcnt(0)
	s_add_u32 s20, s12, s14
	s_addc_u32 s2, s13, s15
	s_abs_i32 s11, s6
	s_lshl_b32 s22, s4, 2
	v_cvt_f32_u32_e32 v3, s11
	s_and_b32 s21, s2, 0xffff
	s_load_b256 s[12:19], s[0:1], 0x0
	s_movk_i32 s0, 0x7c
	s_add_i32 s1, s3, 15
	v_rcp_iflag_f32_e32 v3, v3
	v_lshlrev_b32_e32 v22, 2, v1
	v_lshrrev_b32_e32 v1, 3, v0
	s_ashr_i32 s2, s1, 31
	s_lshl_b32 s26, s3, 1
	s_lshr_b32 s2, s2, 28
	s_lshl_b32 s30, s3, 2
	v_and_or_b32 v18, v1, s0, 0x1000
	s_add_i32 s1, s1, s2
	v_cmp_eq_u32_e64 s0, 0, v0
	s_waitcnt_depctr 0xfff
	v_mul_f32_e32 v1, 0x4f7ffffe, v3
	buffer_load_b32 v2, v22, s[20:23], 0 offen
	s_waitcnt vmcnt(0) expcnt(0) lgkmcnt(0)
	s_barrier
	buffer_gl0_inv
	v_cvt_u32_f32_e32 v1, v1
	s_add_i32 s23, s3, 3
	s_ashr_i32 s1, s1, 4
	s_ashr_i32 s2, s23, 31
	v_cmp_gt_u32_e64 s1, s1, v0
	v_readfirstlane_b32 s41, v1
	s_lshr_b32 s2, s2, 30
	s_ashr_i32 s40, s6, 31
	s_add_i32 s23, s23, s2
	s_sub_i32 s2, 0, s11
	s_and_b32 s38, s23, -4
	s_mul_i32 s23, s2, s41
	s_delay_alu instid0(SALU_CYCLE_1) | instskip(NEXT) | instid1(SALU_CYCLE_1)
	s_mul_hi_u32 s23, s41, s23
	s_add_i32 s41, s41, s23
	v_lshlrev_b32_e32 v2, 2, v2
	ds_load_b32 v20, v2
	s_waitcnt lgkmcnt(0)
	v_readlane_b32 s2, v20, 0
	s_delay_alu instid0(VALU_DEP_1)
	s_cmp_lt_i32 s2, 0
	s_cbranch_scc1 .LBB74_12
; %bb.9:
	s_abs_i32 s23, s34
	s_xor_b32 s27, s35, s40
	s_mul_hi_u32 s24, s23, s41
	s_mov_b32 s31, -1
	s_mul_i32 s25, s24, s11
	s_add_i32 s28, s24, 1
	s_sub_i32 s25, s23, s25
	s_delay_alu instid0(SALU_CYCLE_1)
	s_sub_i32 s29, s25, s11
	s_cmp_ge_u32 s25, s11
	s_cselect_b32 s24, s28, s24
	s_cselect_b32 s25, s29, s25
	s_add_i32 s28, s24, 1
	s_cmp_ge_u32 s25, s11
	s_cselect_b32 s24, s28, s24
	s_delay_alu instid0(SALU_CYCLE_1) | instskip(NEXT) | instid1(SALU_CYCLE_1)
	s_xor_b32 s24, s24, s27
	s_sub_i32 s24, s24, s27
	s_delay_alu instid0(SALU_CYCLE_1) | instskip(SKIP_2) | instid1(SALU_CYCLE_1)
	s_mul_i32 s25, s24, s6
	s_mul_i32 s24, s24, s7
	s_sub_i32 s25, s34, s25
	s_mul_i32 s25, s25, s8
	s_delay_alu instid0(SALU_CYCLE_1) | instskip(NEXT) | instid1(SALU_CYCLE_1)
	s_add_i32 s33, s25, s24
	s_cmp_eq_u32 s33, -1
	s_cbranch_scc1 .LBB74_13
; %bb.10:
	s_mul_hi_i32 s25, s33, s42
	s_mul_i32 s24, s33, s42
	s_mov_b32 s27, s31
	s_lshl_b64 s[24:25], s[24:25], 1
	s_delay_alu instid0(SALU_CYCLE_1) | instskip(SKIP_1) | instid1(SALU_CYCLE_1)
	s_add_u32 s24, s16, s24
	s_addc_u32 s25, s17, s25
	s_and_b32 s25, s25, 0xffff
	s_clause 0x1
	buffer_load_b128 v[4:7], v16, s[24:27], 0 offen
	buffer_load_b128 v[12:15], v16, s[24:27], 16 offen
	s_waitcnt vmcnt(1)
	v_cvt_f32_f16_e32 v0, v4
	v_lshrrev_b32_e32 v1, 16, v4
	v_cvt_f32_f16_e32 v2, v5
	v_lshrrev_b32_e32 v3, 16, v5
	;; [unrolled: 2-line block ×4, first 2 shown]
	s_waitcnt vmcnt(0)
	v_cvt_f32_f16_e32 v8, v12
	v_lshrrev_b32_e32 v9, 16, v12
	v_cvt_f32_f16_e32 v10, v13
	v_lshrrev_b32_e32 v11, 16, v13
	;; [unrolled: 2-line block ×4, first 2 shown]
	v_cvt_f32_f16_e32 v1, v1
	v_cvt_f32_f16_e32 v3, v3
	;; [unrolled: 1-line block ×8, first 2 shown]
	s_branch .LBB74_14
.LBB74_11:
                                        ; implicit-def: $sgpr4
	s_branch .LBB74_2
.LBB74_12:
                                        ; implicit-def: $vgpr0_vgpr1_vgpr2_vgpr3_vgpr4_vgpr5_vgpr6_vgpr7_vgpr8_vgpr9_vgpr10_vgpr11_vgpr12_vgpr13_vgpr14_vgpr15
	s_cmp_eq_u32 s4, 1
	s_mov_b32 s35, 1
	s_cbranch_scc0 .LBB74_21
	s_branch .LBB74_35
.LBB74_13:
                                        ; implicit-def: $vgpr0_vgpr1_vgpr2_vgpr3_vgpr4_vgpr5_vgpr6_vgpr7_vgpr8_vgpr9_vgpr10_vgpr11_vgpr12_vgpr13_vgpr14_vgpr15
.LBB74_14:
	s_mul_i32 s24, s2, s3
	s_delay_alu instid0(SALU_CYCLE_1) | instskip(NEXT) | instid1(SALU_CYCLE_1)
	s_ashr_i32 s25, s24, 31
	s_lshl_b64 s[24:25], s[24:25], 2
	s_delay_alu instid0(SALU_CYCLE_1) | instskip(SKIP_1) | instid1(SALU_CYCLE_1)
	s_add_u32 s28, s18, s24
	s_addc_u32 s2, s19, s25
	s_and_b32 s29, s2, 0xffff
	s_clause 0x3
	buffer_load_b128 v[23:26], v17, s[28:31], 0 offen
	buffer_load_b128 v[27:30], v17, s[28:31], 16 offen
	;; [unrolled: 1-line block ×4, first 2 shown]
	s_waitcnt vmcnt(3)
	v_dual_mul_f32 v37, v0, v23 :: v_dual_mul_f32 v38, v1, v24
	v_dual_mul_f32 v35, v2, v25 :: v_dual_mul_f32 v36, v3, v26
	s_waitcnt vmcnt(2)
	v_dual_mul_f32 v33, v4, v27 :: v_dual_mul_f32 v34, v5, v28
	s_delay_alu instid0(VALU_DEP_3) | instskip(SKIP_3) | instid1(VALU_DEP_3)
	v_max3_f32 v23, |v37|, 0x2edbe6ff, |v38|
	v_dual_mul_f32 v31, v6, v29 :: v_dual_mul_f32 v32, v7, v30
	s_waitcnt vmcnt(1)
	v_dual_mul_f32 v29, v8, v39 :: v_dual_mul_f32 v30, v9, v40
	v_max3_f32 v23, v23, |v35|, |v36|
	v_dual_mul_f32 v27, v10, v41 :: v_dual_mul_f32 v28, v11, v42
	s_waitcnt vmcnt(0)
	v_dual_mul_f32 v25, v12, v43 :: v_dual_mul_f32 v26, v13, v44
	s_delay_alu instid0(VALU_DEP_3) | instskip(SKIP_1) | instid1(VALU_DEP_2)
	v_max3_f32 v23, v23, |v33|, |v34|
	v_mul_f32_e32 v24, v15, v46
	v_max3_f32 v23, v23, |v31|, |v32|
	s_delay_alu instid0(VALU_DEP_1) | instskip(NEXT) | instid1(VALU_DEP_1)
	v_max3_f32 v23, v23, |v29|, |v30|
	v_max3_f32 v39, v23, |v27|, |v28|
	v_mul_f32_e32 v23, v14, v45
	s_delay_alu instid0(VALU_DEP_2) | instskip(NEXT) | instid1(VALU_DEP_1)
	v_max3_f32 v39, v39, |v25|, |v26|
	v_max3_f32 v39, v39, |v23|, |v24|
	s_delay_alu instid0(VALU_DEP_1) | instskip(NEXT) | instid1(VALU_DEP_1)
	v_mov_b32_dpp v40, v39 quad_perm:[1,0,3,2] row_mask:0xf bank_mask:0xf
	v_cmp_gt_f32_e64 s2, v39, v40
	s_delay_alu instid0(VALU_DEP_1) | instskip(NEXT) | instid1(VALU_DEP_1)
	v_cndmask_b32_e64 v39, v40, v39, s2
	v_mov_b32_dpp v40, v39 quad_perm:[2,3,0,1] row_mask:0xf bank_mask:0xf
	s_delay_alu instid0(VALU_DEP_1) | instskip(NEXT) | instid1(VALU_DEP_1)
	v_cmp_gt_f32_e64 s2, v39, v40
	v_cndmask_b32_e64 v39, v40, v39, s2
	s_delay_alu instid0(VALU_DEP_1) | instskip(NEXT) | instid1(VALU_DEP_1)
	v_mov_b32_dpp v40, v39 row_xmask:7 row_mask:0xf bank_mask:0xf
	v_cmp_gt_f32_e64 s2, v39, v40
	s_delay_alu instid0(VALU_DEP_1) | instskip(NEXT) | instid1(VALU_DEP_1)
	v_cndmask_b32_e64 v39, v40, v39, s2
	v_mov_b32_dpp v40, v39 row_xmask:15 row_mask:0xf bank_mask:0xf
	s_delay_alu instid0(VALU_DEP_1)
	v_cmp_gt_f32_e64 s2, v39, v40
	s_and_saveexec_b32 s24, vcc_lo
	s_cbranch_execz .LBB74_16
; %bb.15:
	s_delay_alu instid0(VALU_DEP_1)
	v_cndmask_b32_e64 v39, v40, v39, s2
	s_mov_b32 s2, 0x76543210
	s_delay_alu instid0(VALU_DEP_1) | instid1(SALU_CYCLE_1)
	v_permlanex16_b32 v40, v39, s2, 0xfedcba98 op_sel:[1,1]
	s_delay_alu instid0(VALU_DEP_1) | instskip(NEXT) | instid1(VALU_DEP_1)
	v_cmp_gt_f32_e64 s2, v39, v40
	v_cndmask_b32_e64 v39, v40, v39, s2
	ds_store_b32 v18, v39
.LBB74_16:
	s_or_b32 exec_lo, exec_lo, s24
	s_waitcnt lgkmcnt(0)
	s_barrier
	buffer_gl0_inv
	ds_load_b32 v40, v19
	s_abs_i32 s24, s5
	s_delay_alu instid0(SALU_CYCLE_1) | instskip(SKIP_1) | instid1(VALU_DEP_1)
	v_cvt_f32_u32_e32 v39, s24
	s_sub_i32 s27, 0, s24
	v_rcp_iflag_f32_e32 v39, v39
	s_waitcnt_depctr 0xfff
	v_mul_f32_e32 v39, 0x4f7ffffe, v39
	s_waitcnt lgkmcnt(0)
	v_mov_b32_dpp v41, v40 quad_perm:[1,0,3,2] row_mask:0xf bank_mask:0xf
	s_delay_alu instid0(VALU_DEP_2) | instskip(NEXT) | instid1(VALU_DEP_2)
	v_cvt_u32_f32_e32 v39, v39
	v_cmp_gt_f32_e64 s2, v40, v41
	s_delay_alu instid0(VALU_DEP_2) | instskip(NEXT) | instid1(VALU_DEP_2)
	v_readfirstlane_b32 s25, v39
	v_cndmask_b32_e64 v39, v41, v40, s2
	s_delay_alu instid0(VALU_DEP_2) | instskip(NEXT) | instid1(VALU_DEP_1)
	s_mul_i32 s27, s27, s25
	v_mov_b32_dpp v40, v39 quad_perm:[2,3,0,1] row_mask:0xf bank_mask:0xf
	s_mul_hi_u32 s2, s25, s27
	s_delay_alu instid0(SALU_CYCLE_1)
	s_add_i32 s25, s25, s2
	s_ashr_i32 s2, s5, 31
	s_mul_hi_u32 s25, s23, s25
	s_xor_b32 s27, s35, s2
	v_cmp_gt_f32_e64 s2, v39, v40
	s_mul_i32 s28, s25, s24
	s_delay_alu instid0(VALU_DEP_1)
	v_cndmask_b32_e64 v39, v40, v39, s2
	s_sub_i32 s2, s23, s28
	s_add_i32 s23, s25, 1
	s_sub_i32 s28, s2, s24
	s_cmp_ge_u32 s2, s24
	v_mov_b32_dpp v40, v39 row_xmask:7 row_mask:0xf bank_mask:0xf
	s_cselect_b32 s23, s23, s25
	s_cselect_b32 s2, s28, s2
	s_add_i32 s25, s23, 1
	s_cmp_ge_u32 s2, s24
	s_cselect_b32 s2, s25, s23
	s_delay_alu instid0(SALU_CYCLE_1) | instskip(SKIP_1) | instid1(VALU_DEP_1)
	s_xor_b32 s23, s2, s27
	v_cmp_gt_f32_e64 s2, v39, v40
	v_cndmask_b32_e64 v39, v40, v39, s2
	s_sub_i32 s2, s23, s27
	s_delay_alu instid0(SALU_CYCLE_1) | instskip(SKIP_4) | instid1(SALU_CYCLE_1)
	s_mul_i32 s23, s2, s5
	s_mul_i32 s2, s2, s9
	s_sub_i32 s23, s34, s23
	v_mul_f32_e32 v39, 0x3b124925, v39
	s_mul_i32 s23, s23, s10
	s_add_i32 s24, s23, s2
	s_and_saveexec_b32 s2, s0
	s_cbranch_execz .LBB74_18
; %bb.17:
	s_ashr_i32 s25, s24, 31
	v_mov_b32_e32 v40, 0
	s_lshl_b64 s[28:29], s[24:25], 2
	s_delay_alu instid0(SALU_CYCLE_1)
	s_add_u32 s28, s14, s28
	s_addc_u32 s29, s15, s29
	global_store_b32 v40, v39, s[28:29]
.LBB74_18:
	s_or_b32 exec_lo, exec_lo, s2
	s_and_saveexec_b32 s2, s1
	s_cbranch_execz .LBB74_20
; %bb.19:
	v_rcp_f32_e32 v39, v39
	v_mov_b32_e32 v40, 0xc3e00000
	v_mov_b32_e32 v41, 0x43e00000
	s_mul_hi_i32 s23, s24, s42
	s_mul_i32 s24, s24, s42
	s_mov_b32 s39, -1
	s_add_u32 s36, s12, s24
	s_addc_u32 s23, s13, s23
	s_delay_alu instid0(SALU_CYCLE_1)
	s_and_b32 s37, s23, 0xffff
	s_waitcnt_depctr 0xfff
	v_mul_f32_e32 v38, v38, v39
	v_mul_f32_e32 v37, v37, v39
	;; [unrolled: 1-line block ×4, first 2 shown]
	;;#ASMSTART
	v_med3_f32 v37, v37, v40, v41
v_med3_f32 v38, v38, v40, v41
v_cvt_pk_fp8_f32 v42, v37, v38
	;;#ASMEND
	v_mul_f32_e32 v33, v33, v39
	v_mul_f32_e32 v34, v34, v39
	;;#ASMSTART
	v_med3_f32 v35, v35, v40, v41
v_med3_f32 v36, v36, v40, v41
v_cvt_pk_fp8_f32 v37, v35, v36
	;;#ASMEND
	v_mul_f32_e32 v31, v31, v39
	v_mul_f32_e32 v32, v32, v39
	v_perm_b32 v35, v37, v42, 0x5040100
	;;#ASMSTART
	v_med3_f32 v33, v33, v40, v41
v_med3_f32 v34, v34, v40, v41
v_cvt_pk_fp8_f32 v36, v33, v34
	;;#ASMEND
	;;#ASMSTART
	v_med3_f32 v31, v31, v40, v41
v_med3_f32 v32, v32, v40, v41
v_cvt_pk_fp8_f32 v33, v31, v32
	;;#ASMEND
	v_mul_f32_e32 v29, v29, v39
	v_mul_f32_e32 v30, v30, v39
	v_perm_b32 v32, v36, v33, 0x1000504
	v_mul_f32_e32 v27, v27, v39
	v_mul_f32_e32 v28, v28, v39
	;;#ASMSTART
	v_med3_f32 v29, v29, v40, v41
v_med3_f32 v30, v30, v40, v41
v_cvt_pk_fp8_f32 v33, v29, v30
	;;#ASMEND
	v_mul_f32_e32 v25, v25, v39
	v_mul_f32_e32 v26, v26, v39
	;;#ASMSTART
	v_med3_f32 v27, v27, v40, v41
v_med3_f32 v28, v28, v40, v41
v_cvt_pk_fp8_f32 v29, v27, v28
	;;#ASMEND
	;; [unrolled: 7-line block ×3, first 2 shown]
	v_perm_b32 v31, v35, v37, 0x1060504
	v_perm_b32 v33, v33, v29, 0x1000504
	;;#ASMSTART
	v_med3_f32 v23, v23, v40, v41
v_med3_f32 v24, v24, v40, v41
v_cvt_pk_fp8_f32 v25, v23, v24
	;;#ASMEND
	v_perm_b32 v34, v27, v25, 0x1000504
	buffer_store_b128 v[31:34], v21, s[36:39], 0 offen
	;;#ASMSTART
	s_nop 0
	;;#ASMEND
.LBB74_20:
	s_or_b32 exec_lo, exec_lo, s2
	s_cmp_eq_u32 s4, 1
	s_mov_b32 s35, 1
	s_cbranch_scc1 .LBB74_35
.LBB74_21:
	s_abs_i32 s43, s5
	v_mov_b32_e32 v25, 0x43e00000
	v_cvt_f32_u32_e32 v23, s43
	s_sub_i32 s23, 0, s43
	s_ashr_i32 s44, s5, 31
	s_mov_b32 s31, -1
	s_mov_b32 s46, 0x76543210
	v_rcp_iflag_f32_e32 v23, v23
	v_add_nc_u32_e32 v22, 4, v22
	v_mov_b32_e32 v24, 0xc3e00000
	s_waitcnt_depctr 0xfff
	v_mul_f32_e32 v23, 0x4f7ffffe, v23
	s_delay_alu instid0(VALU_DEP_1) | instskip(NEXT) | instid1(VALU_DEP_1)
	v_cvt_u32_f32_e32 v23, v23
	v_readfirstlane_b32 s2, v23
	v_mov_b32_e32 v23, 0
	s_delay_alu instid0(VALU_DEP_2) | instskip(NEXT) | instid1(SALU_CYCLE_1)
	s_mul_i32 s23, s23, s2
	s_mul_hi_u32 s23, s2, s23
	s_delay_alu instid0(SALU_CYCLE_1)
	s_add_i32 s45, s2, s23
	s_branch .LBB74_24
.LBB74_22:                              ;   in Loop: Header=BB74_24 Depth=1
	s_or_b32 exec_lo, exec_lo, s2
.LBB74_23:                              ;   in Loop: Header=BB74_24 Depth=1
	v_add_nc_u32_e32 v22, 4, v22
	s_add_i32 s35, s35, 1
	s_delay_alu instid0(SALU_CYCLE_1)
	s_cmp_eq_u32 s4, s35
	s_cbranch_scc1 .LBB74_35
.LBB74_24:                              ; =>This Inner Loop Header: Depth=1
	s_and_b32 s2, s35, 31
	s_delay_alu instid0(SALU_CYCLE_1)
	s_cmp_lg_u32 s2, 0
	s_cbranch_scc1 .LBB74_26
; %bb.25:                               ;   in Loop: Header=BB74_24 Depth=1
	s_mov_b32 s23, s31
	buffer_load_b32 v20, v22, s[20:23], 0 offen
	s_waitcnt vmcnt(0) expcnt(0) lgkmcnt(55)
	v_lshlrev_b32_e32 v20, 2, v20
	ds_load_b32 v20, v20
.LBB74_26:                              ;   in Loop: Header=BB74_24 Depth=1
	s_waitcnt lgkmcnt(0)
	v_readlane_b32 s2, v20, s2
	s_delay_alu instid0(VALU_DEP_1)
	s_cmp_lt_i32 s2, 0
	s_cbranch_scc1 .LBB74_23
; %bb.27:                               ;   in Loop: Header=BB74_24 Depth=1
	s_add_i32 s23, s34, s35
	s_delay_alu instid0(SALU_CYCLE_1)
	s_abs_i32 s36, s23
	s_ashr_i32 s37, s23, 31
	s_mul_hi_u32 s24, s36, s41
	s_xor_b32 s27, s37, s40
	s_mul_i32 s25, s24, s11
	s_add_i32 s28, s24, 1
	s_sub_i32 s25, s36, s25
	s_delay_alu instid0(SALU_CYCLE_1)
	s_sub_i32 s29, s25, s11
	s_cmp_ge_u32 s25, s11
	s_cselect_b32 s24, s28, s24
	s_cselect_b32 s25, s29, s25
	s_add_i32 s28, s24, 1
	s_cmp_ge_u32 s25, s11
	s_cselect_b32 s24, s28, s24
	s_delay_alu instid0(SALU_CYCLE_1) | instskip(NEXT) | instid1(SALU_CYCLE_1)
	s_xor_b32 s24, s24, s27
	s_sub_i32 s24, s24, s27
	s_delay_alu instid0(SALU_CYCLE_1) | instskip(SKIP_2) | instid1(SALU_CYCLE_1)
	s_mul_i32 s25, s24, s6
	s_mul_i32 s24, s24, s7
	s_sub_i32 s25, s23, s25
	s_mul_i32 s28, s25, s8
	s_delay_alu instid0(SALU_CYCLE_1) | instskip(NEXT) | instid1(SALU_CYCLE_1)
	s_add_i32 s28, s28, s24
	s_cmp_eq_u32 s28, s33
	s_cbranch_scc1 .LBB74_29
; %bb.28:                               ;   in Loop: Header=BB74_24 Depth=1
	s_mul_hi_i32 s25, s28, s42
	s_mul_i32 s24, s28, s42
	s_mov_b32 s27, s31
	s_lshl_b64 s[24:25], s[24:25], 1
	s_mov_b32 s33, s28
	s_add_u32 s24, s16, s24
	s_addc_u32 s25, s17, s25
	s_delay_alu instid0(SALU_CYCLE_1)
	s_and_b32 s25, s25, 0xffff
	s_clause 0x1
	buffer_load_b128 v[4:7], v16, s[24:27], 0 offen
	buffer_load_b128 v[12:15], v16, s[24:27], 16 offen
	s_waitcnt vmcnt(1)
	v_cvt_f32_f16_e32 v0, v4
	v_lshrrev_b32_e32 v1, 16, v4
	v_cvt_f32_f16_e32 v2, v5
	v_lshrrev_b32_e32 v3, 16, v5
	;; [unrolled: 2-line block ×4, first 2 shown]
	s_waitcnt vmcnt(0)
	v_cvt_f32_f16_e32 v8, v12
	v_lshrrev_b32_e32 v9, 16, v12
	v_cvt_f32_f16_e32 v10, v13
	v_lshrrev_b32_e32 v11, 16, v13
	v_cvt_f32_f16_e32 v12, v14
	v_lshrrev_b32_e32 v13, 16, v14
	v_cvt_f32_f16_e32 v14, v15
	v_lshrrev_b32_e32 v15, 16, v15
	v_cvt_f32_f16_e32 v1, v1
	v_cvt_f32_f16_e32 v3, v3
	;; [unrolled: 1-line block ×8, first 2 shown]
.LBB74_29:                              ;   in Loop: Header=BB74_24 Depth=1
	s_mul_i32 s24, s2, s3
	s_delay_alu instid0(SALU_CYCLE_1) | instskip(NEXT) | instid1(SALU_CYCLE_1)
	s_ashr_i32 s25, s24, 31
	s_lshl_b64 s[24:25], s[24:25], 2
	s_delay_alu instid0(SALU_CYCLE_1) | instskip(SKIP_1) | instid1(SALU_CYCLE_1)
	s_add_u32 s28, s18, s24
	s_addc_u32 s2, s19, s25
	s_and_b32 s29, s2, 0xffff
	s_clause 0x3
	buffer_load_b128 v[26:29], v17, s[28:31], 0 offen
	buffer_load_b128 v[30:33], v17, s[28:31], 16 offen
	;; [unrolled: 1-line block ×4, first 2 shown]
	s_waitcnt vmcnt(3)
	v_dual_mul_f32 v40, v0, v26 :: v_dual_mul_f32 v41, v1, v27
	v_dual_mul_f32 v38, v2, v28 :: v_dual_mul_f32 v39, v3, v29
	s_waitcnt vmcnt(2)
	v_dual_mul_f32 v36, v4, v30 :: v_dual_mul_f32 v37, v5, v31
	s_delay_alu instid0(VALU_DEP_3) | instskip(SKIP_3) | instid1(VALU_DEP_3)
	v_max3_f32 v26, |v40|, 0x2edbe6ff, |v41|
	v_dual_mul_f32 v34, v6, v32 :: v_dual_mul_f32 v35, v7, v33
	s_waitcnt vmcnt(1)
	v_dual_mul_f32 v33, v8, v42 :: v_dual_mul_f32 v32, v9, v43
	v_max3_f32 v26, v26, |v38|, |v39|
	v_dual_mul_f32 v30, v10, v44 :: v_dual_mul_f32 v31, v11, v45
	s_waitcnt vmcnt(0)
	v_dual_mul_f32 v28, v12, v46 :: v_dual_mul_f32 v29, v13, v47
	s_delay_alu instid0(VALU_DEP_3) | instskip(SKIP_1) | instid1(VALU_DEP_2)
	v_max3_f32 v26, v26, |v36|, |v37|
	v_mul_f32_e32 v27, v15, v49
	v_max3_f32 v26, v26, |v34|, |v35|
	s_delay_alu instid0(VALU_DEP_1) | instskip(NEXT) | instid1(VALU_DEP_1)
	v_max3_f32 v26, v26, |v33|, |v32|
	v_max3_f32 v42, v26, |v30|, |v31|
	v_mul_f32_e32 v26, v14, v48
	s_delay_alu instid0(VALU_DEP_2) | instskip(NEXT) | instid1(VALU_DEP_1)
	v_max3_f32 v42, v42, |v28|, |v29|
	v_max3_f32 v42, v42, |v26|, |v27|
	s_delay_alu instid0(VALU_DEP_1) | instskip(NEXT) | instid1(VALU_DEP_1)
	v_mov_b32_dpp v43, v42 quad_perm:[1,0,3,2] row_mask:0xf bank_mask:0xf
	v_cmp_gt_f32_e64 s2, v42, v43
	s_delay_alu instid0(VALU_DEP_1) | instskip(NEXT) | instid1(VALU_DEP_1)
	v_cndmask_b32_e64 v42, v43, v42, s2
	v_mov_b32_dpp v43, v42 quad_perm:[2,3,0,1] row_mask:0xf bank_mask:0xf
	s_delay_alu instid0(VALU_DEP_1) | instskip(NEXT) | instid1(VALU_DEP_1)
	v_cmp_gt_f32_e64 s2, v42, v43
	v_cndmask_b32_e64 v42, v43, v42, s2
	s_delay_alu instid0(VALU_DEP_1) | instskip(NEXT) | instid1(VALU_DEP_1)
	v_mov_b32_dpp v43, v42 row_xmask:7 row_mask:0xf bank_mask:0xf
	v_cmp_gt_f32_e64 s2, v42, v43
	s_delay_alu instid0(VALU_DEP_1) | instskip(NEXT) | instid1(VALU_DEP_1)
	v_cndmask_b32_e64 v42, v43, v42, s2
	v_mov_b32_dpp v43, v42 row_xmask:15 row_mask:0xf bank_mask:0xf
	s_delay_alu instid0(VALU_DEP_1)
	v_cmp_gt_f32_e64 s2, v42, v43
	s_and_saveexec_b32 s24, vcc_lo
	s_cbranch_execz .LBB74_31
; %bb.30:                               ;   in Loop: Header=BB74_24 Depth=1
	s_delay_alu instid0(VALU_DEP_1) | instskip(NEXT) | instid1(VALU_DEP_1)
	v_cndmask_b32_e64 v42, v43, v42, s2
	v_permlanex16_b32 v43, v42, s46, 0xfedcba98 op_sel:[1,1]
	s_delay_alu instid0(VALU_DEP_1) | instskip(NEXT) | instid1(VALU_DEP_1)
	v_cmp_gt_f32_e64 s2, v42, v43
	v_cndmask_b32_e64 v42, v43, v42, s2
	ds_store_b32 v18, v42
.LBB74_31:                              ;   in Loop: Header=BB74_24 Depth=1
	s_or_b32 exec_lo, exec_lo, s24
	s_waitcnt lgkmcnt(0)
	s_waitcnt_vscnt null, 0x0
	s_barrier
	buffer_gl0_inv
	ds_load_b32 v42, v19
	s_mul_hi_u32 s24, s36, s45
	s_xor_b32 s27, s37, s44
	s_mul_i32 s25, s24, s43
	s_waitcnt lgkmcnt(0)
	v_mov_b32_dpp v43, v42 quad_perm:[1,0,3,2] row_mask:0xf bank_mask:0xf
	s_delay_alu instid0(VALU_DEP_1) | instskip(NEXT) | instid1(VALU_DEP_1)
	v_cmp_gt_f32_e64 s2, v42, v43
	v_cndmask_b32_e64 v42, v43, v42, s2
	s_sub_i32 s2, s36, s25
	s_add_i32 s25, s24, 1
	s_sub_i32 s28, s2, s43
	s_cmp_ge_u32 s2, s43
	v_mov_b32_dpp v43, v42 quad_perm:[2,3,0,1] row_mask:0xf bank_mask:0xf
	s_cselect_b32 s24, s25, s24
	s_cselect_b32 s25, s28, s2
	s_delay_alu instid0(VALU_DEP_1) | instskip(NEXT) | instid1(VALU_DEP_1)
	v_cmp_gt_f32_e64 s2, v42, v43
	v_cndmask_b32_e64 v42, v43, v42, s2
	s_add_i32 s2, s24, 1
	s_cmp_ge_u32 s25, s43
	s_cselect_b32 s2, s2, s24
	s_delay_alu instid0(VALU_DEP_1) | instskip(SKIP_1) | instid1(SALU_CYCLE_1)
	v_mov_b32_dpp v43, v42 row_xmask:7 row_mask:0xf bank_mask:0xf
	s_xor_b32 s2, s2, s27
	s_sub_i32 s24, s2, s27
	s_delay_alu instid0(VALU_DEP_1) | instskip(NEXT) | instid1(VALU_DEP_1)
	v_cmp_gt_f32_e64 s2, v42, v43
	v_cndmask_b32_e64 v42, v43, v42, s2
	s_mul_i32 s2, s24, s5
	s_mul_i32 s24, s24, s9
	s_sub_i32 s2, s23, s2
	s_delay_alu instid0(VALU_DEP_1) | instskip(SKIP_1) | instid1(SALU_CYCLE_1)
	v_mul_f32_e32 v42, 0x3b124925, v42
	s_mul_i32 s2, s2, s10
	s_add_i32 s24, s2, s24
	s_and_saveexec_b32 s2, s0
	s_cbranch_execz .LBB74_33
; %bb.32:                               ;   in Loop: Header=BB74_24 Depth=1
	s_ashr_i32 s25, s24, 31
	s_delay_alu instid0(SALU_CYCLE_1) | instskip(NEXT) | instid1(SALU_CYCLE_1)
	s_lshl_b64 s[28:29], s[24:25], 2
	s_add_u32 s28, s14, s28
	s_addc_u32 s29, s15, s29
	global_store_b32 v23, v42, s[28:29]
.LBB74_33:                              ;   in Loop: Header=BB74_24 Depth=1
	s_or_b32 exec_lo, exec_lo, s2
	s_and_saveexec_b32 s2, s1
	s_cbranch_execz .LBB74_22
; %bb.34:                               ;   in Loop: Header=BB74_24 Depth=1
	v_rcp_f32_e32 v42, v42
	s_mul_i32 s23, s24, s42
	s_mul_hi_i32 s24, s24, s42
	s_add_u32 s36, s12, s23
	s_addc_u32 s23, s13, s24
	s_mov_b32 s39, s31
	s_and_b32 s37, s23, 0xffff
	s_waitcnt_depctr 0xfff
	v_mul_f32_e32 v40, v40, v42
	v_mul_f32_e32 v41, v41, v42
	;; [unrolled: 1-line block ×5, first 2 shown]
	;;#ASMSTART
	v_med3_f32 v40, v40, v24, v25
v_med3_f32 v41, v41, v24, v25
v_cvt_pk_fp8_f32 v33, v40, v41
	;;#ASMEND
	;;#ASMSTART
	v_med3_f32 v38, v38, v24, v25
v_med3_f32 v39, v39, v24, v25
v_cvt_pk_fp8_f32 v40, v38, v39
	;;#ASMEND
	v_perm_b32 v38, v40, v33, 0x5040100
	v_mul_f32_e32 v36, v36, v42
	v_mul_f32_e32 v37, v37, v42
	;; [unrolled: 1-line block ×5, first 2 shown]
	;;#ASMSTART
	v_med3_f32 v36, v36, v24, v25
v_med3_f32 v37, v37, v24, v25
v_cvt_pk_fp8_f32 v32, v36, v37
	;;#ASMEND
	;;#ASMSTART
	v_med3_f32 v34, v34, v24, v25
v_med3_f32 v35, v35, v24, v25
v_cvt_pk_fp8_f32 v33, v34, v35
	;;#ASMEND
	v_mul_f32_e32 v30, v30, v42
	v_mul_f32_e32 v31, v31, v42
	;; [unrolled: 1-line block ×4, first 2 shown]
	;;#ASMSTART
	v_med3_f32 v43, v43, v24, v25
v_med3_f32 v39, v39, v24, v25
v_cvt_pk_fp8_f32 v34, v43, v39
	;;#ASMEND
	;;#ASMSTART
	v_med3_f32 v30, v30, v24, v25
v_med3_f32 v31, v31, v24, v25
v_cvt_pk_fp8_f32 v35, v30, v31
	;;#ASMEND
	v_mul_f32_e32 v26, v26, v42
	v_mul_f32_e32 v27, v27, v42
	;;#ASMSTART
	v_med3_f32 v28, v28, v24, v25
v_med3_f32 v29, v29, v24, v25
v_cvt_pk_fp8_f32 v30, v28, v29
	;;#ASMEND
	v_perm_b32 v33, v32, v33, 0x1000504
	v_perm_b32 v32, v38, v40, 0x1060504
	;; [unrolled: 1-line block ×3, first 2 shown]
	;;#ASMSTART
	v_med3_f32 v26, v26, v24, v25
v_med3_f32 v27, v27, v24, v25
v_cvt_pk_fp8_f32 v28, v26, v27
	;;#ASMEND
	v_perm_b32 v35, v30, v28, 0x1000504
	buffer_store_b128 v[32:35], v21, s[36:39], 0 offen
	;;#ASMSTART
	s_nop 0
	;;#ASMEND
	s_branch .LBB74_22
.LBB74_35:
	s_nop 0
	s_sendmsg sendmsg(MSG_DEALLOC_VGPRS)
	s_endpgm
	.section	.rodata,"a",@progbits
	.p2align	6, 0x0
	.amdhsa_kernel _ZN5aiter36smooth_per_token_scaled_quant_kernelIDF16_DB8_Li256ELi16ELb1ELb1ELb1ELi1024EEEvPT0_PfPT_S4_PiS7_iiPKiiiiiiiii
		.amdhsa_group_segment_fixed_size 4128
		.amdhsa_private_segment_fixed_size 0
		.amdhsa_kernarg_size 96
		.amdhsa_user_sgpr_count 15
		.amdhsa_user_sgpr_dispatch_ptr 0
		.amdhsa_user_sgpr_queue_ptr 0
		.amdhsa_user_sgpr_kernarg_segment_ptr 1
		.amdhsa_user_sgpr_dispatch_id 0
		.amdhsa_user_sgpr_private_segment_size 0
		.amdhsa_wavefront_size32 1
		.amdhsa_uses_dynamic_stack 0
		.amdhsa_enable_private_segment 0
		.amdhsa_system_sgpr_workgroup_id_x 1
		.amdhsa_system_sgpr_workgroup_id_y 0
		.amdhsa_system_sgpr_workgroup_id_z 0
		.amdhsa_system_sgpr_workgroup_info 0
		.amdhsa_system_vgpr_workitem_id 0
		.amdhsa_next_free_vgpr 50
		.amdhsa_next_free_sgpr 47
		.amdhsa_reserve_vcc 1
		.amdhsa_float_round_mode_32 0
		.amdhsa_float_round_mode_16_64 0
		.amdhsa_float_denorm_mode_32 3
		.amdhsa_float_denorm_mode_16_64 3
		.amdhsa_dx10_clamp 1
		.amdhsa_ieee_mode 1
		.amdhsa_fp16_overflow 0
		.amdhsa_workgroup_processor_mode 1
		.amdhsa_memory_ordered 1
		.amdhsa_forward_progress 0
		.amdhsa_shared_vgpr_count 0
		.amdhsa_exception_fp_ieee_invalid_op 0
		.amdhsa_exception_fp_denorm_src 0
		.amdhsa_exception_fp_ieee_div_zero 0
		.amdhsa_exception_fp_ieee_overflow 0
		.amdhsa_exception_fp_ieee_underflow 0
		.amdhsa_exception_fp_ieee_inexact 0
		.amdhsa_exception_int_div_zero 0
	.end_amdhsa_kernel
	.section	.text._ZN5aiter36smooth_per_token_scaled_quant_kernelIDF16_DB8_Li256ELi16ELb1ELb1ELb1ELi1024EEEvPT0_PfPT_S4_PiS7_iiPKiiiiiiiii,"axG",@progbits,_ZN5aiter36smooth_per_token_scaled_quant_kernelIDF16_DB8_Li256ELi16ELb1ELb1ELb1ELi1024EEEvPT0_PfPT_S4_PiS7_iiPKiiiiiiiii,comdat
.Lfunc_end74:
	.size	_ZN5aiter36smooth_per_token_scaled_quant_kernelIDF16_DB8_Li256ELi16ELb1ELb1ELb1ELi1024EEEvPT0_PfPT_S4_PiS7_iiPKiiiiiiiii, .Lfunc_end74-_ZN5aiter36smooth_per_token_scaled_quant_kernelIDF16_DB8_Li256ELi16ELb1ELb1ELb1ELi1024EEEvPT0_PfPT_S4_PiS7_iiPKiiiiiiiii
                                        ; -- End function
	.section	.AMDGPU.csdata,"",@progbits
; Kernel info:
; codeLenInByte = 4256
; NumSgprs: 49
; NumVgprs: 50
; ScratchSize: 0
; MemoryBound: 0
; FloatMode: 240
; IeeeMode: 1
; LDSByteSize: 4128 bytes/workgroup (compile time only)
; SGPRBlocks: 6
; VGPRBlocks: 6
; NumSGPRsForWavesPerEU: 49
; NumVGPRsForWavesPerEU: 50
; Occupancy: 16
; WaveLimiterHint : 0
; COMPUTE_PGM_RSRC2:SCRATCH_EN: 0
; COMPUTE_PGM_RSRC2:USER_SGPR: 15
; COMPUTE_PGM_RSRC2:TRAP_HANDLER: 0
; COMPUTE_PGM_RSRC2:TGID_X_EN: 1
; COMPUTE_PGM_RSRC2:TGID_Y_EN: 0
; COMPUTE_PGM_RSRC2:TGID_Z_EN: 0
; COMPUTE_PGM_RSRC2:TIDIG_COMP_CNT: 0
	.section	.text._ZN5aiter36smooth_per_token_scaled_quant_kernelItDB8_Li256ELi16ELb1ELb1ELb1ELi1024EEEvPT0_PfPT_S4_PiS7_iiPKiiiiiiiii,"axG",@progbits,_ZN5aiter36smooth_per_token_scaled_quant_kernelItDB8_Li256ELi16ELb1ELb1ELb1ELi1024EEEvPT0_PfPT_S4_PiS7_iiPKiiiiiiiii,comdat
	.protected	_ZN5aiter36smooth_per_token_scaled_quant_kernelItDB8_Li256ELi16ELb1ELb1ELb1ELi1024EEEvPT0_PfPT_S4_PiS7_iiPKiiiiiiiii ; -- Begin function _ZN5aiter36smooth_per_token_scaled_quant_kernelItDB8_Li256ELi16ELb1ELb1ELb1ELi1024EEEvPT0_PfPT_S4_PiS7_iiPKiiiiiiiii
	.globl	_ZN5aiter36smooth_per_token_scaled_quant_kernelItDB8_Li256ELi16ELb1ELb1ELb1ELi1024EEEvPT0_PfPT_S4_PiS7_iiPKiiiiiiiii
	.p2align	8
	.type	_ZN5aiter36smooth_per_token_scaled_quant_kernelItDB8_Li256ELi16ELb1ELb1ELb1ELi1024EEEvPT0_PfPT_S4_PiS7_iiPKiiiiiiiii,@function
_ZN5aiter36smooth_per_token_scaled_quant_kernelItDB8_Li256ELi16ELb1ELb1ELb1ELi1024EEEvPT0_PfPT_S4_PiS7_iiPKiiiiiiiii: ; @_ZN5aiter36smooth_per_token_scaled_quant_kernelItDB8_Li256ELi16ELb1ELb1ELb1ELi1024EEEvPT0_PfPT_S4_PiS7_iiPKiiiiiiiii
; %bb.0:
	s_clause 0x2
	s_load_b64 s[2:3], s[0:1], 0x38
	s_load_b64 s[16:17], s[0:1], 0x28
	s_load_b256 s[4:11], s[0:1], 0x40
	s_waitcnt lgkmcnt(0)
	s_cmp_lg_u64 s[2:3], 0
	s_cbranch_scc0 .LBB75_11
; %bb.1:
	s_load_b32 s2, s[2:3], 0x0
	s_waitcnt lgkmcnt(0)
	s_mul_i32 s4, s2, s4
	s_cbranch_execnz .LBB75_3
.LBB75_2:
	s_mul_i32 s4, s6, s5
.LBB75_3:
	s_load_b64 s[2:3], s[0:1], 0x30
	s_lshl_b32 s18, s11, 2
	s_and_b32 s17, s17, 0xffff
	s_mov_b32 s19, -1
	s_abs_i32 s14, s4
                                        ; implicit-def: $sgpr34
	s_waitcnt lgkmcnt(0)
	s_abs_i32 s11, s2
	s_delay_alu instid0(SALU_CYCLE_1) | instskip(SKIP_1) | instid1(VALU_DEP_1)
	v_cvt_f32_u32_e32 v6, s11
	s_sub_i32 s13, 0, s11
	v_rcp_iflag_f32_e32 v6, v6
	s_waitcnt_depctr 0xfff
	v_dual_mul_f32 v6, 0x4f7ffffe, v6 :: v_dual_lshlrev_b32 v1, 2, v0
	s_clause 0x3
	buffer_load_b32 v2, v1, s[16:19], 0 offen
	buffer_load_b32 v3, v1, s[16:19], 0 offen offset:1024
	buffer_load_b32 v4, v1, s[16:19], 0 offen offset:2048
	;; [unrolled: 1-line block ×3, first 2 shown]
	s_waitcnt vmcnt(2)
	ds_store_2addr_stride64_b32 v1, v2, v3 offset1:4
	s_waitcnt vmcnt(0)
	ds_store_2addr_stride64_b32 v1, v4, v5 offset0:8 offset1:12
	v_cvt_u32_f32_e32 v6, v6
	s_delay_alu instid0(VALU_DEP_1) | instskip(NEXT) | instid1(VALU_DEP_1)
	v_readfirstlane_b32 s12, v6
	s_mul_i32 s13, s13, s12
	s_delay_alu instid0(SALU_CYCLE_1) | instskip(NEXT) | instid1(SALU_CYCLE_1)
	s_mul_hi_u32 s13, s12, s13
	s_add_i32 s12, s12, s13
	s_xor_b32 s13, s4, s2
	s_mul_hi_u32 s12, s14, s12
	s_ashr_i32 s13, s13, 31
	s_mul_i32 s16, s12, s11
	s_delay_alu instid0(SALU_CYCLE_1)
	s_sub_i32 s14, s14, s16
	s_add_i32 s16, s12, 1
	s_sub_i32 s17, s14, s11
	s_cmp_ge_u32 s14, s11
	s_cselect_b32 s12, s16, s12
	s_cselect_b32 s14, s17, s14
	s_add_i32 s16, s12, 1
	s_cmp_ge_u32 s14, s11
	s_cselect_b32 s11, s16, s12
	s_delay_alu instid0(SALU_CYCLE_1) | instskip(NEXT) | instid1(SALU_CYCLE_1)
	s_xor_b32 s11, s11, s13
	s_sub_i32 s11, s11, s13
	s_delay_alu instid0(SALU_CYCLE_1) | instskip(NEXT) | instid1(SALU_CYCLE_1)
	s_mul_i32 s2, s11, s2
	s_sub_i32 s12, s4, s2
	s_delay_alu instid0(SALU_CYCLE_1)
	s_cmp_lt_u32 s15, s12
	s_cselect_b32 s2, -1, 0
	s_add_i32 s4, s11, 1
	s_cmp_ge_u32 s15, s12
	s_cbranch_scc0 .LBB75_5
; %bb.4:
	s_sub_i32 s13, s15, s12
	s_mul_i32 s12, s12, s4
	s_mul_i32 s13, s13, s11
	s_mov_b32 s19, 0
	s_add_i32 s34, s13, s12
.LBB75_5:
	s_and_not1_b32 vcc_lo, exec_lo, s19
	s_cbranch_vccnz .LBB75_7
; %bb.6:
	s_mul_i32 s34, s4, s15
.LBB75_7:
	v_cndmask_b32_e64 v1, 0, 1, s2
	s_delay_alu instid0(VALU_DEP_1) | instskip(NEXT) | instid1(VALU_DEP_1)
	v_readfirstlane_b32 s2, v1
	s_add_i32 s4, s11, s2
	s_delay_alu instid0(SALU_CYCLE_1)
	s_cmp_lt_i32 s4, 1
	s_cbranch_scc1 .LBB75_35
; %bb.8:
	s_load_b64 s[12:13], s[0:1], 0x20
	s_ashr_i32 s35, s34, 31
	v_and_b32_e32 v1, 31, v0
	s_lshl_b64 s[14:15], s[34:35], 2
	s_mov_b32 s42, -1
	v_and_b32_e32 v4, 7, v0
	s_mov_b32 s23, s42
	v_cmp_eq_u32_e32 vcc_lo, 31, v1
	v_lshlrev_b32_e32 v16, 5, v0
	v_lshlrev_b32_e32 v17, 6, v0
	v_lshl_or_b32 v19, v4, 2, 0x1000
	v_lshlrev_b32_e32 v21, 4, v0
	s_mov_b32 s41, s3
	s_waitcnt lgkmcnt(0)
	s_add_u32 s20, s12, s14
	s_addc_u32 s2, s13, s15
	s_abs_i32 s11, s6
	s_lshl_b32 s22, s4, 2
	v_cvt_f32_u32_e32 v3, s11
	s_and_b32 s21, s2, 0xffff
	s_load_b256 s[12:19], s[0:1], 0x0
	s_movk_i32 s0, 0x7c
	s_add_i32 s1, s3, 15
	v_rcp_iflag_f32_e32 v3, v3
	v_lshlrev_b32_e32 v22, 2, v1
	v_lshrrev_b32_e32 v1, 3, v0
	s_ashr_i32 s2, s1, 31
	s_lshl_b32 s26, s3, 1
	s_lshr_b32 s2, s2, 28
	s_lshl_b32 s30, s3, 2
	v_and_or_b32 v18, v1, s0, 0x1000
	s_add_i32 s1, s1, s2
	v_cmp_eq_u32_e64 s0, 0, v0
	s_waitcnt_depctr 0xfff
	v_mul_f32_e32 v1, 0x4f7ffffe, v3
	buffer_load_b32 v2, v22, s[20:23], 0 offen
	s_waitcnt vmcnt(0) expcnt(0) lgkmcnt(0)
	s_barrier
	buffer_gl0_inv
	v_cvt_u32_f32_e32 v1, v1
	s_add_i32 s23, s3, 3
	s_ashr_i32 s1, s1, 4
	s_ashr_i32 s2, s23, 31
	v_cmp_gt_u32_e64 s1, s1, v0
	v_readfirstlane_b32 s40, v1
	s_lshr_b32 s2, s2, 30
	s_ashr_i32 s33, s6, 31
	s_add_i32 s23, s23, s2
	s_sub_i32 s2, 0, s11
	s_and_b32 s38, s23, -4
	s_mul_i32 s23, s2, s40
	s_delay_alu instid0(SALU_CYCLE_1) | instskip(NEXT) | instid1(SALU_CYCLE_1)
	s_mul_hi_u32 s23, s40, s23
	s_add_i32 s40, s40, s23
	v_lshlrev_b32_e32 v2, 2, v2
	ds_load_b32 v20, v2
	s_waitcnt lgkmcnt(0)
	v_readlane_b32 s2, v20, 0
	s_delay_alu instid0(VALU_DEP_1)
	s_cmp_lt_i32 s2, 0
	s_cbranch_scc1 .LBB75_12
; %bb.9:
	s_abs_i32 s23, s34
	s_xor_b32 s27, s35, s33
	s_mul_hi_u32 s24, s23, s40
	s_mov_b32 s31, -1
	s_mul_i32 s25, s24, s11
	s_add_i32 s28, s24, 1
	s_sub_i32 s25, s23, s25
	s_delay_alu instid0(SALU_CYCLE_1)
	s_sub_i32 s29, s25, s11
	s_cmp_ge_u32 s25, s11
	s_cselect_b32 s24, s28, s24
	s_cselect_b32 s25, s29, s25
	s_add_i32 s28, s24, 1
	s_cmp_ge_u32 s25, s11
	s_cselect_b32 s24, s28, s24
	s_delay_alu instid0(SALU_CYCLE_1) | instskip(NEXT) | instid1(SALU_CYCLE_1)
	s_xor_b32 s24, s24, s27
	s_sub_i32 s24, s24, s27
	s_delay_alu instid0(SALU_CYCLE_1) | instskip(SKIP_2) | instid1(SALU_CYCLE_1)
	s_mul_i32 s25, s24, s6
	s_mul_i32 s24, s24, s7
	s_sub_i32 s25, s34, s25
	s_mul_i32 s25, s25, s8
	s_delay_alu instid0(SALU_CYCLE_1) | instskip(NEXT) | instid1(SALU_CYCLE_1)
	s_add_i32 s42, s25, s24
	s_cmp_eq_u32 s42, -1
	s_cbranch_scc1 .LBB75_13
; %bb.10:
	s_mul_hi_i32 s25, s42, s41
	s_mul_i32 s24, s42, s41
	s_mov_b32 s27, s31
	s_lshl_b64 s[24:25], s[24:25], 1
	s_delay_alu instid0(SALU_CYCLE_1) | instskip(SKIP_1) | instid1(SALU_CYCLE_1)
	s_add_u32 s24, s16, s24
	s_addc_u32 s25, s17, s25
	s_and_b32 s25, s25, 0xffff
	s_clause 0x1
	buffer_load_b128 v[0:3], v16, s[24:27], 0 offen
	buffer_load_b128 v[4:7], v16, s[24:27], 16 offen
	s_waitcnt vmcnt(1)
	v_lshrrev_b32_e32 v8, 16, v0
	v_and_b32_e32 v0, 0xffff, v0
	v_lshrrev_b32_e32 v9, 16, v1
	v_and_b32_e32 v10, 0xffff, v1
	;; [unrolled: 2-line block ×4, first 2 shown]
	s_waitcnt vmcnt(0)
	v_lshrrev_b32_e32 v15, 16, v4
	v_and_b32_e32 v23, 0xffff, v4
	v_lshrrev_b32_e32 v24, 16, v5
	v_and_b32_e32 v25, 0xffff, v5
	;; [unrolled: 2-line block ×4, first 2 shown]
	v_cvt_f32_u32_e32 v1, v8
	v_cvt_f32_u32_e32 v0, v0
	;; [unrolled: 1-line block ×16, first 2 shown]
	s_branch .LBB75_14
.LBB75_11:
                                        ; implicit-def: $sgpr4
	s_branch .LBB75_2
.LBB75_12:
                                        ; implicit-def: $vgpr0_vgpr1_vgpr2_vgpr3_vgpr4_vgpr5_vgpr6_vgpr7_vgpr8_vgpr9_vgpr10_vgpr11_vgpr12_vgpr13_vgpr14_vgpr15
	s_cmp_eq_u32 s4, 1
	s_mov_b32 s35, 1
	s_cbranch_scc0 .LBB75_21
	s_branch .LBB75_35
.LBB75_13:
                                        ; implicit-def: $vgpr0_vgpr1_vgpr2_vgpr3_vgpr4_vgpr5_vgpr6_vgpr7_vgpr8_vgpr9_vgpr10_vgpr11_vgpr12_vgpr13_vgpr14_vgpr15
.LBB75_14:
	s_mul_i32 s24, s2, s3
	s_delay_alu instid0(SALU_CYCLE_1) | instskip(NEXT) | instid1(SALU_CYCLE_1)
	s_ashr_i32 s25, s24, 31
	s_lshl_b64 s[24:25], s[24:25], 2
	s_delay_alu instid0(SALU_CYCLE_1) | instskip(SKIP_1) | instid1(SALU_CYCLE_1)
	s_add_u32 s28, s18, s24
	s_addc_u32 s2, s19, s25
	s_and_b32 s29, s2, 0xffff
	s_clause 0x3
	buffer_load_b128 v[23:26], v17, s[28:31], 0 offen
	buffer_load_b128 v[27:30], v17, s[28:31], 16 offen
	buffer_load_b128 v[39:42], v17, s[28:31], 32 offen
	buffer_load_b128 v[43:46], v17, s[28:31], 48 offen
	s_waitcnt vmcnt(3)
	v_dual_mul_f32 v37, v0, v23 :: v_dual_mul_f32 v38, v1, v24
	v_dual_mul_f32 v35, v2, v25 :: v_dual_mul_f32 v36, v3, v26
	s_waitcnt vmcnt(2)
	v_dual_mul_f32 v33, v4, v27 :: v_dual_mul_f32 v34, v5, v28
	s_delay_alu instid0(VALU_DEP_3) | instskip(SKIP_3) | instid1(VALU_DEP_3)
	v_max3_f32 v23, |v37|, 0x2edbe6ff, |v38|
	v_dual_mul_f32 v31, v6, v29 :: v_dual_mul_f32 v32, v7, v30
	s_waitcnt vmcnt(1)
	v_dual_mul_f32 v29, v8, v39 :: v_dual_mul_f32 v30, v9, v40
	v_max3_f32 v23, v23, |v35|, |v36|
	v_dual_mul_f32 v27, v10, v41 :: v_dual_mul_f32 v28, v11, v42
	s_waitcnt vmcnt(0)
	v_dual_mul_f32 v25, v12, v43 :: v_dual_mul_f32 v26, v13, v44
	s_delay_alu instid0(VALU_DEP_3) | instskip(SKIP_1) | instid1(VALU_DEP_2)
	v_max3_f32 v23, v23, |v33|, |v34|
	v_mul_f32_e32 v24, v15, v46
	v_max3_f32 v23, v23, |v31|, |v32|
	s_delay_alu instid0(VALU_DEP_1) | instskip(NEXT) | instid1(VALU_DEP_1)
	v_max3_f32 v23, v23, |v29|, |v30|
	v_max3_f32 v39, v23, |v27|, |v28|
	v_mul_f32_e32 v23, v14, v45
	s_delay_alu instid0(VALU_DEP_2) | instskip(NEXT) | instid1(VALU_DEP_1)
	v_max3_f32 v39, v39, |v25|, |v26|
	v_max3_f32 v39, v39, |v23|, |v24|
	s_delay_alu instid0(VALU_DEP_1) | instskip(NEXT) | instid1(VALU_DEP_1)
	v_mov_b32_dpp v40, v39 quad_perm:[1,0,3,2] row_mask:0xf bank_mask:0xf
	v_cmp_gt_f32_e64 s2, v39, v40
	s_delay_alu instid0(VALU_DEP_1) | instskip(NEXT) | instid1(VALU_DEP_1)
	v_cndmask_b32_e64 v39, v40, v39, s2
	v_mov_b32_dpp v40, v39 quad_perm:[2,3,0,1] row_mask:0xf bank_mask:0xf
	s_delay_alu instid0(VALU_DEP_1) | instskip(NEXT) | instid1(VALU_DEP_1)
	v_cmp_gt_f32_e64 s2, v39, v40
	v_cndmask_b32_e64 v39, v40, v39, s2
	s_delay_alu instid0(VALU_DEP_1) | instskip(NEXT) | instid1(VALU_DEP_1)
	v_mov_b32_dpp v40, v39 row_xmask:7 row_mask:0xf bank_mask:0xf
	v_cmp_gt_f32_e64 s2, v39, v40
	s_delay_alu instid0(VALU_DEP_1) | instskip(NEXT) | instid1(VALU_DEP_1)
	v_cndmask_b32_e64 v39, v40, v39, s2
	v_mov_b32_dpp v40, v39 row_xmask:15 row_mask:0xf bank_mask:0xf
	s_delay_alu instid0(VALU_DEP_1)
	v_cmp_gt_f32_e64 s2, v39, v40
	s_and_saveexec_b32 s24, vcc_lo
	s_cbranch_execz .LBB75_16
; %bb.15:
	s_delay_alu instid0(VALU_DEP_1)
	v_cndmask_b32_e64 v39, v40, v39, s2
	s_mov_b32 s2, 0x76543210
	s_delay_alu instid0(VALU_DEP_1) | instid1(SALU_CYCLE_1)
	v_permlanex16_b32 v40, v39, s2, 0xfedcba98 op_sel:[1,1]
	s_delay_alu instid0(VALU_DEP_1) | instskip(NEXT) | instid1(VALU_DEP_1)
	v_cmp_gt_f32_e64 s2, v39, v40
	v_cndmask_b32_e64 v39, v40, v39, s2
	ds_store_b32 v18, v39
.LBB75_16:
	s_or_b32 exec_lo, exec_lo, s24
	s_waitcnt lgkmcnt(0)
	s_barrier
	buffer_gl0_inv
	ds_load_b32 v40, v19
	s_abs_i32 s24, s5
	s_delay_alu instid0(SALU_CYCLE_1) | instskip(SKIP_1) | instid1(VALU_DEP_1)
	v_cvt_f32_u32_e32 v39, s24
	s_sub_i32 s27, 0, s24
	v_rcp_iflag_f32_e32 v39, v39
	s_waitcnt_depctr 0xfff
	v_mul_f32_e32 v39, 0x4f7ffffe, v39
	s_waitcnt lgkmcnt(0)
	v_mov_b32_dpp v41, v40 quad_perm:[1,0,3,2] row_mask:0xf bank_mask:0xf
	s_delay_alu instid0(VALU_DEP_2) | instskip(NEXT) | instid1(VALU_DEP_2)
	v_cvt_u32_f32_e32 v39, v39
	v_cmp_gt_f32_e64 s2, v40, v41
	s_delay_alu instid0(VALU_DEP_2) | instskip(NEXT) | instid1(VALU_DEP_2)
	v_readfirstlane_b32 s25, v39
	v_cndmask_b32_e64 v39, v41, v40, s2
	s_delay_alu instid0(VALU_DEP_2) | instskip(NEXT) | instid1(VALU_DEP_1)
	s_mul_i32 s27, s27, s25
	v_mov_b32_dpp v40, v39 quad_perm:[2,3,0,1] row_mask:0xf bank_mask:0xf
	s_mul_hi_u32 s2, s25, s27
	s_delay_alu instid0(SALU_CYCLE_1)
	s_add_i32 s25, s25, s2
	s_ashr_i32 s2, s5, 31
	s_mul_hi_u32 s25, s23, s25
	s_xor_b32 s27, s35, s2
	v_cmp_gt_f32_e64 s2, v39, v40
	s_mul_i32 s28, s25, s24
	s_delay_alu instid0(VALU_DEP_1)
	v_cndmask_b32_e64 v39, v40, v39, s2
	s_sub_i32 s2, s23, s28
	s_add_i32 s23, s25, 1
	s_sub_i32 s28, s2, s24
	s_cmp_ge_u32 s2, s24
	v_mov_b32_dpp v40, v39 row_xmask:7 row_mask:0xf bank_mask:0xf
	s_cselect_b32 s23, s23, s25
	s_cselect_b32 s2, s28, s2
	s_add_i32 s25, s23, 1
	s_cmp_ge_u32 s2, s24
	s_cselect_b32 s2, s25, s23
	s_delay_alu instid0(SALU_CYCLE_1) | instskip(SKIP_1) | instid1(VALU_DEP_1)
	s_xor_b32 s23, s2, s27
	v_cmp_gt_f32_e64 s2, v39, v40
	v_cndmask_b32_e64 v39, v40, v39, s2
	s_sub_i32 s2, s23, s27
	s_delay_alu instid0(SALU_CYCLE_1) | instskip(SKIP_4) | instid1(SALU_CYCLE_1)
	s_mul_i32 s23, s2, s5
	s_mul_i32 s2, s2, s9
	s_sub_i32 s23, s34, s23
	v_mul_f32_e32 v39, 0x3b124925, v39
	s_mul_i32 s23, s23, s10
	s_add_i32 s24, s23, s2
	s_and_saveexec_b32 s2, s0
	s_cbranch_execz .LBB75_18
; %bb.17:
	s_ashr_i32 s25, s24, 31
	v_mov_b32_e32 v40, 0
	s_lshl_b64 s[28:29], s[24:25], 2
	s_delay_alu instid0(SALU_CYCLE_1)
	s_add_u32 s28, s14, s28
	s_addc_u32 s29, s15, s29
	global_store_b32 v40, v39, s[28:29]
.LBB75_18:
	s_or_b32 exec_lo, exec_lo, s2
	s_and_saveexec_b32 s2, s1
	s_cbranch_execz .LBB75_20
; %bb.19:
	v_rcp_f32_e32 v39, v39
	v_mov_b32_e32 v40, 0xc3e00000
	v_mov_b32_e32 v41, 0x43e00000
	s_mul_hi_i32 s23, s24, s41
	s_mul_i32 s24, s24, s41
	s_mov_b32 s39, -1
	s_add_u32 s36, s12, s24
	s_addc_u32 s23, s13, s23
	s_delay_alu instid0(SALU_CYCLE_1)
	s_and_b32 s37, s23, 0xffff
	s_waitcnt_depctr 0xfff
	v_mul_f32_e32 v38, v38, v39
	v_mul_f32_e32 v37, v37, v39
	v_mul_f32_e32 v35, v35, v39
	v_mul_f32_e32 v36, v36, v39
	;;#ASMSTART
	v_med3_f32 v37, v37, v40, v41
v_med3_f32 v38, v38, v40, v41
v_cvt_pk_fp8_f32 v42, v37, v38
	;;#ASMEND
	v_mul_f32_e32 v33, v33, v39
	v_mul_f32_e32 v34, v34, v39
	;;#ASMSTART
	v_med3_f32 v35, v35, v40, v41
v_med3_f32 v36, v36, v40, v41
v_cvt_pk_fp8_f32 v37, v35, v36
	;;#ASMEND
	v_mul_f32_e32 v31, v31, v39
	v_mul_f32_e32 v32, v32, v39
	v_perm_b32 v35, v37, v42, 0x5040100
	;;#ASMSTART
	v_med3_f32 v33, v33, v40, v41
v_med3_f32 v34, v34, v40, v41
v_cvt_pk_fp8_f32 v36, v33, v34
	;;#ASMEND
	;;#ASMSTART
	v_med3_f32 v31, v31, v40, v41
v_med3_f32 v32, v32, v40, v41
v_cvt_pk_fp8_f32 v33, v31, v32
	;;#ASMEND
	v_mul_f32_e32 v29, v29, v39
	v_mul_f32_e32 v30, v30, v39
	v_perm_b32 v32, v36, v33, 0x1000504
	v_mul_f32_e32 v27, v27, v39
	v_mul_f32_e32 v28, v28, v39
	;;#ASMSTART
	v_med3_f32 v29, v29, v40, v41
v_med3_f32 v30, v30, v40, v41
v_cvt_pk_fp8_f32 v33, v29, v30
	;;#ASMEND
	v_mul_f32_e32 v25, v25, v39
	v_mul_f32_e32 v26, v26, v39
	;;#ASMSTART
	v_med3_f32 v27, v27, v40, v41
v_med3_f32 v28, v28, v40, v41
v_cvt_pk_fp8_f32 v29, v27, v28
	;;#ASMEND
	;; [unrolled: 7-line block ×3, first 2 shown]
	v_perm_b32 v31, v35, v37, 0x1060504
	v_perm_b32 v33, v33, v29, 0x1000504
	;;#ASMSTART
	v_med3_f32 v23, v23, v40, v41
v_med3_f32 v24, v24, v40, v41
v_cvt_pk_fp8_f32 v25, v23, v24
	;;#ASMEND
	v_perm_b32 v34, v27, v25, 0x1000504
	buffer_store_b128 v[31:34], v21, s[36:39], 0 offen
	;;#ASMSTART
	s_nop 0
	;;#ASMEND
.LBB75_20:
	s_or_b32 exec_lo, exec_lo, s2
	s_cmp_eq_u32 s4, 1
	s_mov_b32 s35, 1
	s_cbranch_scc1 .LBB75_35
.LBB75_21:
	s_abs_i32 s43, s5
	v_mov_b32_e32 v25, 0x43e00000
	v_cvt_f32_u32_e32 v23, s43
	s_sub_i32 s23, 0, s43
	s_ashr_i32 s44, s5, 31
	s_mov_b32 s31, -1
	s_mov_b32 s46, 0x76543210
	v_rcp_iflag_f32_e32 v23, v23
	v_add_nc_u32_e32 v22, 4, v22
	v_mov_b32_e32 v24, 0xc3e00000
	s_waitcnt_depctr 0xfff
	v_mul_f32_e32 v23, 0x4f7ffffe, v23
	s_delay_alu instid0(VALU_DEP_1) | instskip(NEXT) | instid1(VALU_DEP_1)
	v_cvt_u32_f32_e32 v23, v23
	v_readfirstlane_b32 s2, v23
	v_mov_b32_e32 v23, 0
	s_delay_alu instid0(VALU_DEP_2) | instskip(NEXT) | instid1(SALU_CYCLE_1)
	s_mul_i32 s23, s23, s2
	s_mul_hi_u32 s23, s2, s23
	s_delay_alu instid0(SALU_CYCLE_1)
	s_add_i32 s45, s2, s23
	s_branch .LBB75_24
.LBB75_22:                              ;   in Loop: Header=BB75_24 Depth=1
	s_or_b32 exec_lo, exec_lo, s2
.LBB75_23:                              ;   in Loop: Header=BB75_24 Depth=1
	v_add_nc_u32_e32 v22, 4, v22
	s_add_i32 s35, s35, 1
	s_delay_alu instid0(SALU_CYCLE_1)
	s_cmp_eq_u32 s4, s35
	s_cbranch_scc1 .LBB75_35
.LBB75_24:                              ; =>This Inner Loop Header: Depth=1
	s_and_b32 s2, s35, 31
	s_delay_alu instid0(SALU_CYCLE_1)
	s_cmp_lg_u32 s2, 0
	s_cbranch_scc1 .LBB75_26
; %bb.25:                               ;   in Loop: Header=BB75_24 Depth=1
	s_mov_b32 s23, s31
	buffer_load_b32 v20, v22, s[20:23], 0 offen
	s_waitcnt vmcnt(0) expcnt(0) lgkmcnt(55)
	v_lshlrev_b32_e32 v20, 2, v20
	ds_load_b32 v20, v20
.LBB75_26:                              ;   in Loop: Header=BB75_24 Depth=1
	s_waitcnt lgkmcnt(0)
	v_readlane_b32 s2, v20, s2
	s_delay_alu instid0(VALU_DEP_1)
	s_cmp_lt_i32 s2, 0
	s_cbranch_scc1 .LBB75_23
; %bb.27:                               ;   in Loop: Header=BB75_24 Depth=1
	s_add_i32 s23, s34, s35
	s_delay_alu instid0(SALU_CYCLE_1)
	s_abs_i32 s36, s23
	s_ashr_i32 s37, s23, 31
	s_mul_hi_u32 s24, s36, s40
	s_xor_b32 s27, s37, s33
	s_mul_i32 s25, s24, s11
	s_add_i32 s28, s24, 1
	s_sub_i32 s25, s36, s25
	s_delay_alu instid0(SALU_CYCLE_1)
	s_sub_i32 s29, s25, s11
	s_cmp_ge_u32 s25, s11
	s_cselect_b32 s24, s28, s24
	s_cselect_b32 s25, s29, s25
	s_add_i32 s28, s24, 1
	s_cmp_ge_u32 s25, s11
	s_cselect_b32 s24, s28, s24
	s_delay_alu instid0(SALU_CYCLE_1) | instskip(NEXT) | instid1(SALU_CYCLE_1)
	s_xor_b32 s24, s24, s27
	s_sub_i32 s24, s24, s27
	s_delay_alu instid0(SALU_CYCLE_1) | instskip(SKIP_2) | instid1(SALU_CYCLE_1)
	s_mul_i32 s25, s24, s6
	s_mul_i32 s24, s24, s7
	s_sub_i32 s25, s23, s25
	s_mul_i32 s28, s25, s8
	s_delay_alu instid0(SALU_CYCLE_1) | instskip(NEXT) | instid1(SALU_CYCLE_1)
	s_add_i32 s28, s28, s24
	s_cmp_eq_u32 s28, s42
	s_cbranch_scc1 .LBB75_29
; %bb.28:                               ;   in Loop: Header=BB75_24 Depth=1
	s_mul_hi_i32 s25, s28, s41
	s_mul_i32 s24, s28, s41
	s_mov_b32 s27, s31
	s_lshl_b64 s[24:25], s[24:25], 1
	s_mov_b32 s42, s28
	s_add_u32 s24, s16, s24
	s_addc_u32 s25, s17, s25
	s_delay_alu instid0(SALU_CYCLE_1)
	s_and_b32 s25, s25, 0xffff
	s_clause 0x1
	buffer_load_b128 v[0:3], v16, s[24:27], 0 offen
	buffer_load_b128 v[4:7], v16, s[24:27], 16 offen
	s_waitcnt vmcnt(1)
	v_lshrrev_b32_e32 v8, 16, v0
	v_and_b32_e32 v0, 0xffff, v0
	v_lshrrev_b32_e32 v9, 16, v1
	v_and_b32_e32 v10, 0xffff, v1
	;; [unrolled: 2-line block ×4, first 2 shown]
	s_waitcnt vmcnt(0)
	v_lshrrev_b32_e32 v15, 16, v4
	v_and_b32_e32 v26, 0xffff, v4
	v_lshrrev_b32_e32 v27, 16, v5
	v_and_b32_e32 v28, 0xffff, v5
	;; [unrolled: 2-line block ×4, first 2 shown]
	v_cvt_f32_u32_e32 v1, v8
	v_cvt_f32_u32_e32 v0, v0
	;; [unrolled: 1-line block ×16, first 2 shown]
.LBB75_29:                              ;   in Loop: Header=BB75_24 Depth=1
	s_mul_i32 s24, s2, s3
	s_delay_alu instid0(SALU_CYCLE_1) | instskip(NEXT) | instid1(SALU_CYCLE_1)
	s_ashr_i32 s25, s24, 31
	s_lshl_b64 s[24:25], s[24:25], 2
	s_delay_alu instid0(SALU_CYCLE_1) | instskip(SKIP_1) | instid1(SALU_CYCLE_1)
	s_add_u32 s28, s18, s24
	s_addc_u32 s2, s19, s25
	s_and_b32 s29, s2, 0xffff
	s_clause 0x3
	buffer_load_b128 v[26:29], v17, s[28:31], 0 offen
	buffer_load_b128 v[30:33], v17, s[28:31], 16 offen
	;; [unrolled: 1-line block ×4, first 2 shown]
	s_waitcnt vmcnt(3)
	v_dual_mul_f32 v40, v0, v26 :: v_dual_mul_f32 v41, v1, v27
	v_dual_mul_f32 v38, v2, v28 :: v_dual_mul_f32 v39, v3, v29
	s_waitcnt vmcnt(2)
	v_dual_mul_f32 v36, v4, v30 :: v_dual_mul_f32 v37, v5, v31
	s_delay_alu instid0(VALU_DEP_3) | instskip(SKIP_3) | instid1(VALU_DEP_3)
	v_max3_f32 v26, |v40|, 0x2edbe6ff, |v41|
	v_dual_mul_f32 v34, v6, v32 :: v_dual_mul_f32 v35, v7, v33
	s_waitcnt vmcnt(1)
	v_dual_mul_f32 v33, v8, v42 :: v_dual_mul_f32 v32, v9, v43
	v_max3_f32 v26, v26, |v38|, |v39|
	v_dual_mul_f32 v30, v10, v44 :: v_dual_mul_f32 v31, v11, v45
	s_waitcnt vmcnt(0)
	v_dual_mul_f32 v28, v12, v46 :: v_dual_mul_f32 v29, v13, v47
	s_delay_alu instid0(VALU_DEP_3) | instskip(SKIP_1) | instid1(VALU_DEP_2)
	v_max3_f32 v26, v26, |v36|, |v37|
	v_mul_f32_e32 v27, v15, v49
	v_max3_f32 v26, v26, |v34|, |v35|
	s_delay_alu instid0(VALU_DEP_1) | instskip(NEXT) | instid1(VALU_DEP_1)
	v_max3_f32 v26, v26, |v33|, |v32|
	v_max3_f32 v42, v26, |v30|, |v31|
	v_mul_f32_e32 v26, v14, v48
	s_delay_alu instid0(VALU_DEP_2) | instskip(NEXT) | instid1(VALU_DEP_1)
	v_max3_f32 v42, v42, |v28|, |v29|
	v_max3_f32 v42, v42, |v26|, |v27|
	s_delay_alu instid0(VALU_DEP_1) | instskip(NEXT) | instid1(VALU_DEP_1)
	v_mov_b32_dpp v43, v42 quad_perm:[1,0,3,2] row_mask:0xf bank_mask:0xf
	v_cmp_gt_f32_e64 s2, v42, v43
	s_delay_alu instid0(VALU_DEP_1) | instskip(NEXT) | instid1(VALU_DEP_1)
	v_cndmask_b32_e64 v42, v43, v42, s2
	v_mov_b32_dpp v43, v42 quad_perm:[2,3,0,1] row_mask:0xf bank_mask:0xf
	s_delay_alu instid0(VALU_DEP_1) | instskip(NEXT) | instid1(VALU_DEP_1)
	v_cmp_gt_f32_e64 s2, v42, v43
	v_cndmask_b32_e64 v42, v43, v42, s2
	s_delay_alu instid0(VALU_DEP_1) | instskip(NEXT) | instid1(VALU_DEP_1)
	v_mov_b32_dpp v43, v42 row_xmask:7 row_mask:0xf bank_mask:0xf
	v_cmp_gt_f32_e64 s2, v42, v43
	s_delay_alu instid0(VALU_DEP_1) | instskip(NEXT) | instid1(VALU_DEP_1)
	v_cndmask_b32_e64 v42, v43, v42, s2
	v_mov_b32_dpp v43, v42 row_xmask:15 row_mask:0xf bank_mask:0xf
	s_delay_alu instid0(VALU_DEP_1)
	v_cmp_gt_f32_e64 s2, v42, v43
	s_and_saveexec_b32 s24, vcc_lo
	s_cbranch_execz .LBB75_31
; %bb.30:                               ;   in Loop: Header=BB75_24 Depth=1
	s_delay_alu instid0(VALU_DEP_1) | instskip(NEXT) | instid1(VALU_DEP_1)
	v_cndmask_b32_e64 v42, v43, v42, s2
	v_permlanex16_b32 v43, v42, s46, 0xfedcba98 op_sel:[1,1]
	s_delay_alu instid0(VALU_DEP_1) | instskip(NEXT) | instid1(VALU_DEP_1)
	v_cmp_gt_f32_e64 s2, v42, v43
	v_cndmask_b32_e64 v42, v43, v42, s2
	ds_store_b32 v18, v42
.LBB75_31:                              ;   in Loop: Header=BB75_24 Depth=1
	s_or_b32 exec_lo, exec_lo, s24
	s_waitcnt lgkmcnt(0)
	s_waitcnt_vscnt null, 0x0
	s_barrier
	buffer_gl0_inv
	ds_load_b32 v42, v19
	s_mul_hi_u32 s24, s36, s45
	s_xor_b32 s27, s37, s44
	s_mul_i32 s25, s24, s43
	s_waitcnt lgkmcnt(0)
	v_mov_b32_dpp v43, v42 quad_perm:[1,0,3,2] row_mask:0xf bank_mask:0xf
	s_delay_alu instid0(VALU_DEP_1) | instskip(NEXT) | instid1(VALU_DEP_1)
	v_cmp_gt_f32_e64 s2, v42, v43
	v_cndmask_b32_e64 v42, v43, v42, s2
	s_sub_i32 s2, s36, s25
	s_add_i32 s25, s24, 1
	s_sub_i32 s28, s2, s43
	s_cmp_ge_u32 s2, s43
	v_mov_b32_dpp v43, v42 quad_perm:[2,3,0,1] row_mask:0xf bank_mask:0xf
	s_cselect_b32 s24, s25, s24
	s_cselect_b32 s25, s28, s2
	s_delay_alu instid0(VALU_DEP_1) | instskip(NEXT) | instid1(VALU_DEP_1)
	v_cmp_gt_f32_e64 s2, v42, v43
	v_cndmask_b32_e64 v42, v43, v42, s2
	s_add_i32 s2, s24, 1
	s_cmp_ge_u32 s25, s43
	s_cselect_b32 s2, s2, s24
	s_delay_alu instid0(VALU_DEP_1) | instskip(SKIP_1) | instid1(SALU_CYCLE_1)
	v_mov_b32_dpp v43, v42 row_xmask:7 row_mask:0xf bank_mask:0xf
	s_xor_b32 s2, s2, s27
	s_sub_i32 s24, s2, s27
	s_delay_alu instid0(VALU_DEP_1) | instskip(NEXT) | instid1(VALU_DEP_1)
	v_cmp_gt_f32_e64 s2, v42, v43
	v_cndmask_b32_e64 v42, v43, v42, s2
	s_mul_i32 s2, s24, s5
	s_mul_i32 s24, s24, s9
	s_sub_i32 s2, s23, s2
	s_delay_alu instid0(VALU_DEP_1) | instskip(SKIP_1) | instid1(SALU_CYCLE_1)
	v_mul_f32_e32 v42, 0x3b124925, v42
	s_mul_i32 s2, s2, s10
	s_add_i32 s24, s2, s24
	s_and_saveexec_b32 s2, s0
	s_cbranch_execz .LBB75_33
; %bb.32:                               ;   in Loop: Header=BB75_24 Depth=1
	s_ashr_i32 s25, s24, 31
	s_delay_alu instid0(SALU_CYCLE_1) | instskip(NEXT) | instid1(SALU_CYCLE_1)
	s_lshl_b64 s[28:29], s[24:25], 2
	s_add_u32 s28, s14, s28
	s_addc_u32 s29, s15, s29
	global_store_b32 v23, v42, s[28:29]
.LBB75_33:                              ;   in Loop: Header=BB75_24 Depth=1
	s_or_b32 exec_lo, exec_lo, s2
	s_and_saveexec_b32 s2, s1
	s_cbranch_execz .LBB75_22
; %bb.34:                               ;   in Loop: Header=BB75_24 Depth=1
	v_rcp_f32_e32 v42, v42
	s_mul_i32 s23, s24, s41
	s_mul_hi_i32 s24, s24, s41
	s_add_u32 s36, s12, s23
	s_addc_u32 s23, s13, s24
	s_mov_b32 s39, s31
	s_and_b32 s37, s23, 0xffff
	s_waitcnt_depctr 0xfff
	v_mul_f32_e32 v40, v40, v42
	v_mul_f32_e32 v41, v41, v42
	;; [unrolled: 1-line block ×5, first 2 shown]
	;;#ASMSTART
	v_med3_f32 v40, v40, v24, v25
v_med3_f32 v41, v41, v24, v25
v_cvt_pk_fp8_f32 v33, v40, v41
	;;#ASMEND
	;;#ASMSTART
	v_med3_f32 v38, v38, v24, v25
v_med3_f32 v39, v39, v24, v25
v_cvt_pk_fp8_f32 v40, v38, v39
	;;#ASMEND
	v_perm_b32 v38, v40, v33, 0x5040100
	v_mul_f32_e32 v36, v36, v42
	v_mul_f32_e32 v37, v37, v42
	;; [unrolled: 1-line block ×5, first 2 shown]
	;;#ASMSTART
	v_med3_f32 v36, v36, v24, v25
v_med3_f32 v37, v37, v24, v25
v_cvt_pk_fp8_f32 v32, v36, v37
	;;#ASMEND
	;;#ASMSTART
	v_med3_f32 v34, v34, v24, v25
v_med3_f32 v35, v35, v24, v25
v_cvt_pk_fp8_f32 v33, v34, v35
	;;#ASMEND
	v_mul_f32_e32 v30, v30, v42
	v_mul_f32_e32 v31, v31, v42
	;; [unrolled: 1-line block ×4, first 2 shown]
	;;#ASMSTART
	v_med3_f32 v43, v43, v24, v25
v_med3_f32 v39, v39, v24, v25
v_cvt_pk_fp8_f32 v34, v43, v39
	;;#ASMEND
	;;#ASMSTART
	v_med3_f32 v30, v30, v24, v25
v_med3_f32 v31, v31, v24, v25
v_cvt_pk_fp8_f32 v35, v30, v31
	;;#ASMEND
	v_mul_f32_e32 v26, v26, v42
	v_mul_f32_e32 v27, v27, v42
	;;#ASMSTART
	v_med3_f32 v28, v28, v24, v25
v_med3_f32 v29, v29, v24, v25
v_cvt_pk_fp8_f32 v30, v28, v29
	;;#ASMEND
	v_perm_b32 v33, v32, v33, 0x1000504
	v_perm_b32 v32, v38, v40, 0x1060504
	;; [unrolled: 1-line block ×3, first 2 shown]
	;;#ASMSTART
	v_med3_f32 v26, v26, v24, v25
v_med3_f32 v27, v27, v24, v25
v_cvt_pk_fp8_f32 v28, v26, v27
	;;#ASMEND
	v_perm_b32 v35, v30, v28, 0x1000504
	buffer_store_b128 v[32:35], v21, s[36:39], 0 offen
	;;#ASMSTART
	s_nop 0
	;;#ASMEND
	s_branch .LBB75_22
.LBB75_35:
	s_nop 0
	s_sendmsg sendmsg(MSG_DEALLOC_VGPRS)
	s_endpgm
	.section	.rodata,"a",@progbits
	.p2align	6, 0x0
	.amdhsa_kernel _ZN5aiter36smooth_per_token_scaled_quant_kernelItDB8_Li256ELi16ELb1ELb1ELb1ELi1024EEEvPT0_PfPT_S4_PiS7_iiPKiiiiiiiii
		.amdhsa_group_segment_fixed_size 4128
		.amdhsa_private_segment_fixed_size 0
		.amdhsa_kernarg_size 96
		.amdhsa_user_sgpr_count 15
		.amdhsa_user_sgpr_dispatch_ptr 0
		.amdhsa_user_sgpr_queue_ptr 0
		.amdhsa_user_sgpr_kernarg_segment_ptr 1
		.amdhsa_user_sgpr_dispatch_id 0
		.amdhsa_user_sgpr_private_segment_size 0
		.amdhsa_wavefront_size32 1
		.amdhsa_uses_dynamic_stack 0
		.amdhsa_enable_private_segment 0
		.amdhsa_system_sgpr_workgroup_id_x 1
		.amdhsa_system_sgpr_workgroup_id_y 0
		.amdhsa_system_sgpr_workgroup_id_z 0
		.amdhsa_system_sgpr_workgroup_info 0
		.amdhsa_system_vgpr_workitem_id 0
		.amdhsa_next_free_vgpr 50
		.amdhsa_next_free_sgpr 47
		.amdhsa_reserve_vcc 1
		.amdhsa_float_round_mode_32 0
		.amdhsa_float_round_mode_16_64 0
		.amdhsa_float_denorm_mode_32 3
		.amdhsa_float_denorm_mode_16_64 3
		.amdhsa_dx10_clamp 1
		.amdhsa_ieee_mode 1
		.amdhsa_fp16_overflow 0
		.amdhsa_workgroup_processor_mode 1
		.amdhsa_memory_ordered 1
		.amdhsa_forward_progress 0
		.amdhsa_shared_vgpr_count 0
		.amdhsa_exception_fp_ieee_invalid_op 0
		.amdhsa_exception_fp_denorm_src 0
		.amdhsa_exception_fp_ieee_div_zero 0
		.amdhsa_exception_fp_ieee_overflow 0
		.amdhsa_exception_fp_ieee_underflow 0
		.amdhsa_exception_fp_ieee_inexact 0
		.amdhsa_exception_int_div_zero 0
	.end_amdhsa_kernel
	.section	.text._ZN5aiter36smooth_per_token_scaled_quant_kernelItDB8_Li256ELi16ELb1ELb1ELb1ELi1024EEEvPT0_PfPT_S4_PiS7_iiPKiiiiiiiii,"axG",@progbits,_ZN5aiter36smooth_per_token_scaled_quant_kernelItDB8_Li256ELi16ELb1ELb1ELb1ELi1024EEEvPT0_PfPT_S4_PiS7_iiPKiiiiiiiii,comdat
.Lfunc_end75:
	.size	_ZN5aiter36smooth_per_token_scaled_quant_kernelItDB8_Li256ELi16ELb1ELb1ELb1ELi1024EEEvPT0_PfPT_S4_PiS7_iiPKiiiiiiiii, .Lfunc_end75-_ZN5aiter36smooth_per_token_scaled_quant_kernelItDB8_Li256ELi16ELb1ELb1ELb1ELi1024EEEvPT0_PfPT_S4_PiS7_iiPKiiiiiiiii
                                        ; -- End function
	.section	.AMDGPU.csdata,"",@progbits
; Kernel info:
; codeLenInByte = 4384
; NumSgprs: 49
; NumVgprs: 50
; ScratchSize: 0
; MemoryBound: 0
; FloatMode: 240
; IeeeMode: 1
; LDSByteSize: 4128 bytes/workgroup (compile time only)
; SGPRBlocks: 6
; VGPRBlocks: 6
; NumSGPRsForWavesPerEU: 49
; NumVGPRsForWavesPerEU: 50
; Occupancy: 16
; WaveLimiterHint : 0
; COMPUTE_PGM_RSRC2:SCRATCH_EN: 0
; COMPUTE_PGM_RSRC2:USER_SGPR: 15
; COMPUTE_PGM_RSRC2:TRAP_HANDLER: 0
; COMPUTE_PGM_RSRC2:TGID_X_EN: 1
; COMPUTE_PGM_RSRC2:TGID_Y_EN: 0
; COMPUTE_PGM_RSRC2:TGID_Z_EN: 0
; COMPUTE_PGM_RSRC2:TIDIG_COMP_CNT: 0
	.section	.text._ZN5aiter36smooth_per_token_scaled_quant_kernelIDF16_DB8_Li256ELi16ELb1ELb1ELb0ELi1024EEEvPT0_PfPT_S4_PiS7_iiPKiiiiiiiii,"axG",@progbits,_ZN5aiter36smooth_per_token_scaled_quant_kernelIDF16_DB8_Li256ELi16ELb1ELb1ELb0ELi1024EEEvPT0_PfPT_S4_PiS7_iiPKiiiiiiiii,comdat
	.protected	_ZN5aiter36smooth_per_token_scaled_quant_kernelIDF16_DB8_Li256ELi16ELb1ELb1ELb0ELi1024EEEvPT0_PfPT_S4_PiS7_iiPKiiiiiiiii ; -- Begin function _ZN5aiter36smooth_per_token_scaled_quant_kernelIDF16_DB8_Li256ELi16ELb1ELb1ELb0ELi1024EEEvPT0_PfPT_S4_PiS7_iiPKiiiiiiiii
	.globl	_ZN5aiter36smooth_per_token_scaled_quant_kernelIDF16_DB8_Li256ELi16ELb1ELb1ELb0ELi1024EEEvPT0_PfPT_S4_PiS7_iiPKiiiiiiiii
	.p2align	8
	.type	_ZN5aiter36smooth_per_token_scaled_quant_kernelIDF16_DB8_Li256ELi16ELb1ELb1ELb0ELi1024EEEvPT0_PfPT_S4_PiS7_iiPKiiiiiiiii,@function
_ZN5aiter36smooth_per_token_scaled_quant_kernelIDF16_DB8_Li256ELi16ELb1ELb1ELb0ELi1024EEEvPT0_PfPT_S4_PiS7_iiPKiiiiiiiii: ; @_ZN5aiter36smooth_per_token_scaled_quant_kernelIDF16_DB8_Li256ELi16ELb1ELb1ELb0ELi1024EEEvPT0_PfPT_S4_PiS7_iiPKiiiiiiiii
; %bb.0:
	s_clause 0x1
	s_load_b64 s[2:3], s[0:1], 0x38
	s_load_b256 s[4:11], s[0:1], 0x40
	s_waitcnt lgkmcnt(0)
	s_cmp_lg_u64 s[2:3], 0
	s_cbranch_scc0 .LBB76_24
; %bb.1:
	s_load_b32 s2, s[2:3], 0x0
	s_waitcnt lgkmcnt(0)
	s_mul_i32 s4, s2, s4
	s_cbranch_execnz .LBB76_3
.LBB76_2:
	s_mul_i32 s4, s6, s5
.LBB76_3:
	s_load_b64 s[2:3], s[0:1], 0x30
	s_abs_i32 s14, s4
	s_waitcnt lgkmcnt(0)
	s_abs_i32 s11, s2
	s_delay_alu instid0(SALU_CYCLE_1) | instskip(SKIP_1) | instid1(VALU_DEP_1)
	v_cvt_f32_u32_e32 v1, s11
	s_sub_i32 s13, 0, s11
	v_rcp_iflag_f32_e32 v1, v1
	s_waitcnt_depctr 0xfff
	v_mul_f32_e32 v1, 0x4f7ffffe, v1
	s_delay_alu instid0(VALU_DEP_1) | instskip(NEXT) | instid1(VALU_DEP_1)
	v_cvt_u32_f32_e32 v1, v1
	v_readfirstlane_b32 s12, v1
	s_delay_alu instid0(VALU_DEP_1) | instskip(NEXT) | instid1(SALU_CYCLE_1)
	s_mul_i32 s13, s13, s12
	s_mul_hi_u32 s13, s12, s13
	s_delay_alu instid0(SALU_CYCLE_1) | instskip(SKIP_4) | instid1(SALU_CYCLE_1)
	s_add_i32 s12, s12, s13
	s_xor_b32 s13, s4, s2
	s_mul_hi_u32 s12, s14, s12
	s_ashr_i32 s13, s13, 31
	s_mul_i32 s16, s12, s11
	s_sub_i32 s14, s14, s16
	s_add_i32 s16, s12, 1
	s_sub_i32 s17, s14, s11
	s_cmp_ge_u32 s14, s11
	s_cselect_b32 s12, s16, s12
	s_cselect_b32 s14, s17, s14
	s_add_i32 s16, s12, 1
	s_cmp_ge_u32 s14, s11
	s_cselect_b32 s11, s16, s12
	s_mov_b32 s12, 0
	s_xor_b32 s11, s11, s13
	s_delay_alu instid0(SALU_CYCLE_1) | instskip(NEXT) | instid1(SALU_CYCLE_1)
	s_sub_i32 s11, s11, s13
	s_mul_i32 s2, s11, s2
	s_delay_alu instid0(SALU_CYCLE_1) | instskip(NEXT) | instid1(SALU_CYCLE_1)
	s_sub_i32 s13, s4, s2
	s_cmp_lt_u32 s15, s13
	s_cselect_b32 s2, -1, 0
	s_add_i32 s4, s11, 1
	s_cmp_ge_u32 s15, s13
	s_cbranch_scc0 .LBB76_5
; %bb.4:
	s_sub_i32 s14, s15, s13
	s_mul_i32 s13, s13, s4
	s_mul_i32 s14, s14, s11
	s_delay_alu instid0(SALU_CYCLE_1)
	s_add_i32 s34, s14, s13
	s_and_not1_b32 vcc_lo, exec_lo, s12
	s_cbranch_vccz .LBB76_6
	s_branch .LBB76_7
.LBB76_5:
                                        ; implicit-def: $sgpr34
.LBB76_6:
	s_mul_i32 s34, s4, s15
.LBB76_7:
	v_cndmask_b32_e64 v1, 0, 1, s2
	s_delay_alu instid0(VALU_DEP_1) | instskip(NEXT) | instid1(VALU_DEP_1)
	v_readfirstlane_b32 s2, v1
	s_add_i32 s4, s11, s2
	s_delay_alu instid0(SALU_CYCLE_1)
	s_cmp_lt_i32 s4, 1
	s_cbranch_scc1 .LBB76_23
; %bb.8:
	s_clause 0x1
	s_load_b64 s[20:21], s[0:1], 0x20
	s_load_b256 s[12:19], s[0:1], 0x0
	s_ashr_i32 s35, s34, 31
	v_dual_mov_b32 v7, 0 :: v_dual_and_b32 v6, 31, v0
	s_lshl_b64 s[24:25], s[34:35], 2
	v_lshrrev_b32_e32 v4, 3, v0
	v_and_b32_e32 v5, 7, v0
	v_lshlrev_b32_e32 v1, 5, v0
	v_cmp_eq_u32_e32 vcc_lo, 0, v0
	v_lshlrev_b32_e32 v3, 4, v0
	v_cmp_eq_u32_e64 s0, 31, v6
	v_and_b32_e32 v4, 0x7c, v4
	v_lshlrev_b32_e32 v6, 2, v6
	s_mov_b32 s23, -1
	s_mov_b32 s11, s3
	s_mov_b32 s33, 0
	;; [unrolled: 1-line block ×3, first 2 shown]
                                        ; implicit-def: $vgpr10
                                        ; implicit-def: $vgpr15
                                        ; implicit-def: $vgpr11
                                        ; implicit-def: $vgpr17
                                        ; implicit-def: $vgpr12
                                        ; implicit-def: $vgpr18
                                        ; implicit-def: $vgpr13
                                        ; implicit-def: $vgpr20
                                        ; implicit-def: $vgpr14
                                        ; implicit-def: $vgpr22
                                        ; implicit-def: $vgpr16
                                        ; implicit-def: $vgpr23
                                        ; implicit-def: $vgpr19
                                        ; implicit-def: $vgpr24
                                        ; implicit-def: $vgpr21
                                        ; implicit-def: $vgpr25
	s_waitcnt lgkmcnt(0)
	s_add_u32 s24, s20, s24
	s_addc_u32 s1, s21, s25
	s_abs_i32 s35, s6
	s_abs_i32 s40, s5
	v_cvt_f32_u32_e32 v8, s35
	v_cvt_f32_u32_e32 v9, s40
	s_add_i32 s20, s3, 3
	s_add_i32 s2, s3, 15
	s_ashr_i32 s21, s20, 31
	v_rcp_iflag_f32_e32 v8, v8
	v_rcp_iflag_f32_e32 v9, v9
	v_lshlrev_b32_e32 v2, 6, v0
	s_and_b32 s25, s1, 0xffff
	s_ashr_i32 s1, s2, 31
	s_lshr_b32 s21, s21, 30
	s_lshr_b32 s1, s1, 28
	s_add_i32 s20, s20, s21
	s_add_i32 s2, s2, s1
	s_sub_i32 s28, 0, s35
	s_waitcnt_depctr 0xfff
	v_dual_mul_f32 v8, 0x4f7ffffe, v8 :: v_dual_mul_f32 v9, 0x4f7ffffe, v9
	s_sub_i32 s29, 0, s40
	s_ashr_i32 s1, s2, 4
	s_lshl_b32 s22, s4, 2
	s_delay_alu instid0(VALU_DEP_1)
	v_cvt_u32_f32_e32 v8, v8
	v_cvt_u32_f32_e32 v9, v9
	v_cmp_gt_u32_e64 s1, s1, v0
	v_mov_b32_e32 v0, 0
	s_and_b32 s38, s20, -4
	v_readfirstlane_b32 s21, v8
	v_readfirstlane_b32 s31, v9
	v_dual_mov_b32 v8, 0xc3e00000 :: v_dual_lshlrev_b32 v5, 2, v5
	v_mov_b32_e32 v9, 0x43e00000
	s_delay_alu instid0(VALU_DEP_4) | instskip(NEXT) | instid1(VALU_DEP_3)
	s_mul_i32 s28, s28, s21
	s_mul_i32 s29, s29, s31
	s_mul_hi_u32 s2, s21, s28
	s_mul_hi_u32 s20, s31, s29
	s_lshl_b32 s30, s3, 1
	s_ashr_i32 s41, s6, 31
	s_ashr_i32 s42, s5, 31
	s_mov_b64 s[26:27], s[22:23]
	s_lshl_b32 s22, s3, 2
	s_add_i32 s43, s21, s2
	s_add_i32 s44, s31, s20
	s_mov_b32 s28, s23
	s_branch .LBB76_11
.LBB76_9:                               ;   in Loop: Header=BB76_11 Depth=1
	s_or_b32 exec_lo, exec_lo, s2
.LBB76_10:                              ;   in Loop: Header=BB76_11 Depth=1
	v_add_nc_u32_e32 v6, 4, v6
	s_add_i32 s33, s33, 1
	s_delay_alu instid0(SALU_CYCLE_1)
	s_cmp_eq_u32 s4, s33
	s_cbranch_scc1 .LBB76_23
.LBB76_11:                              ; =>This Inner Loop Header: Depth=1
	s_and_b32 s2, s33, 31
	s_delay_alu instid0(SALU_CYCLE_1)
	s_cmp_lg_u32 s2, 0
	s_cbranch_scc1 .LBB76_14
; %bb.12:                               ;   in Loop: Header=BB76_11 Depth=1
	buffer_load_b32 v7, v6, s[24:27], 0 offen
	s_cmp_lg_u32 s33, 0
	s_waitcnt vmcnt(3) expcnt(0) lgkmcnt(55)
	s_cbranch_scc1 .LBB76_14
; %bb.13:                               ;   in Loop: Header=BB76_11 Depth=1
	s_waitcnt vmcnt(0)
	s_waitcnt_vscnt null, 0x0
	s_barrier
	buffer_gl0_inv
.LBB76_14:                              ;   in Loop: Header=BB76_11 Depth=1
	s_waitcnt vmcnt(0)
	v_readlane_b32 s2, v7, s2
	s_delay_alu instid0(VALU_DEP_1)
	s_cmp_lt_i32 s2, 0
	s_cbranch_scc1 .LBB76_10
; %bb.15:                               ;   in Loop: Header=BB76_11 Depth=1
	s_add_i32 s36, s34, s33
	s_delay_alu instid0(SALU_CYCLE_1)
	s_abs_i32 s37, s36
	s_ashr_i32 s39, s36, 31
	s_mul_hi_u32 s20, s37, s43
	s_xor_b32 s29, s39, s41
	s_mul_i32 s21, s20, s35
	s_add_i32 s31, s20, 1
	s_sub_i32 s21, s37, s21
	s_delay_alu instid0(SALU_CYCLE_1)
	s_sub_i32 s46, s21, s35
	s_cmp_ge_u32 s21, s35
	s_cselect_b32 s20, s31, s20
	s_cselect_b32 s21, s46, s21
	s_add_i32 s31, s20, 1
	s_cmp_ge_u32 s21, s35
	s_cselect_b32 s20, s31, s20
	s_delay_alu instid0(SALU_CYCLE_1) | instskip(NEXT) | instid1(SALU_CYCLE_1)
	s_xor_b32 s20, s20, s29
	s_sub_i32 s20, s20, s29
	s_delay_alu instid0(SALU_CYCLE_1) | instskip(SKIP_2) | instid1(SALU_CYCLE_1)
	s_mul_i32 s21, s20, s6
	s_mul_i32 s20, s20, s7
	s_sub_i32 s21, s36, s21
	s_mul_i32 s21, s21, s8
	s_delay_alu instid0(SALU_CYCLE_1) | instskip(NEXT) | instid1(SALU_CYCLE_1)
	s_add_i32 s20, s21, s20
	s_cmp_eq_u32 s20, s28
	s_cbranch_scc1 .LBB76_17
; %bb.16:                               ;   in Loop: Header=BB76_11 Depth=1
	s_mul_hi_i32 s29, s20, s11
	s_mul_i32 s28, s20, s11
	s_mov_b32 s31, s23
	s_lshl_b64 s[28:29], s[28:29], 1
	s_delay_alu instid0(SALU_CYCLE_1) | instskip(SKIP_1) | instid1(SALU_CYCLE_1)
	s_add_u32 s28, s16, s28
	s_addc_u32 s21, s17, s29
	s_and_b32 s29, s21, 0xffff
	s_clause 0x1
	buffer_load_b128 v[11:14], v1, s[28:31], 0 offen
	buffer_load_b128 v[19:22], v1, s[28:31], 16 offen
	s_mov_b32 s28, s20
	s_waitcnt vmcnt(1)
	v_lshrrev_b32_e32 v15, 16, v11
	v_lshrrev_b32_e32 v17, 16, v12
	;; [unrolled: 1-line block ×4, first 2 shown]
	s_waitcnt vmcnt(0)
	v_lshrrev_b32_e32 v24, 16, v19
	v_lshrrev_b32_e32 v25, 16, v20
	;; [unrolled: 1-line block ×4, first 2 shown]
	v_cvt_f32_f16_e32 v10, v11
	v_cvt_f32_f16_e32 v11, v12
	;; [unrolled: 1-line block ×16, first 2 shown]
.LBB76_17:                              ;   in Loop: Header=BB76_11 Depth=1
	s_mul_i32 s20, s2, s3
	s_delay_alu instid0(SALU_CYCLE_1) | instskip(NEXT) | instid1(SALU_CYCLE_1)
	s_ashr_i32 s21, s20, 31
	s_lshl_b64 s[20:21], s[20:21], 2
	s_delay_alu instid0(SALU_CYCLE_1) | instskip(SKIP_1) | instid1(SALU_CYCLE_1)
	s_add_u32 s20, s18, s20
	s_addc_u32 s2, s19, s21
	s_and_b32 s21, s2, 0xffff
	s_clause 0x3
	buffer_load_b128 v[26:29], v2, s[20:23], 0 offen
	buffer_load_b128 v[30:33], v2, s[20:23], 16 offen
	;; [unrolled: 1-line block ×4, first 2 shown]
	s_waitcnt vmcnt(3)
	v_dual_mul_f32 v40, v10, v26 :: v_dual_mul_f32 v41, v15, v27
	v_dual_mul_f32 v38, v11, v28 :: v_dual_mul_f32 v39, v17, v29
	s_waitcnt vmcnt(2)
	v_dual_mul_f32 v36, v12, v30 :: v_dual_mul_f32 v37, v18, v31
	s_delay_alu instid0(VALU_DEP_3) | instskip(SKIP_3) | instid1(VALU_DEP_3)
	v_max3_f32 v26, |v40|, 0x2edbe6ff, |v41|
	v_dual_mul_f32 v34, v13, v32 :: v_dual_mul_f32 v35, v20, v33
	s_waitcnt vmcnt(1)
	v_dual_mul_f32 v33, v14, v42 :: v_dual_mul_f32 v30, v16, v44
	v_max3_f32 v26, v26, |v38|, |v39|
	v_dual_mul_f32 v32, v22, v43 :: v_dual_mul_f32 v31, v23, v45
	s_waitcnt vmcnt(0)
	v_dual_mul_f32 v27, v19, v46 :: v_dual_mul_f32 v28, v24, v47
	s_delay_alu instid0(VALU_DEP_3) | instskip(SKIP_1) | instid1(VALU_DEP_2)
	v_max3_f32 v26, v26, |v36|, |v37|
	v_mul_f32_e32 v29, v25, v49
	v_max3_f32 v26, v26, |v34|, |v35|
	s_delay_alu instid0(VALU_DEP_1) | instskip(NEXT) | instid1(VALU_DEP_1)
	v_max3_f32 v26, v26, |v33|, |v32|
	v_max3_f32 v42, v26, |v30|, |v31|
	v_mul_f32_e32 v26, v21, v48
	s_delay_alu instid0(VALU_DEP_2) | instskip(NEXT) | instid1(VALU_DEP_1)
	v_max3_f32 v42, v42, |v27|, |v28|
	v_max3_f32 v42, v42, |v26|, |v29|
	s_delay_alu instid0(VALU_DEP_1) | instskip(NEXT) | instid1(VALU_DEP_1)
	v_mov_b32_dpp v43, v42 quad_perm:[1,0,3,2] row_mask:0xf bank_mask:0xf
	v_cmp_gt_f32_e64 s2, v42, v43
	s_delay_alu instid0(VALU_DEP_1) | instskip(NEXT) | instid1(VALU_DEP_1)
	v_cndmask_b32_e64 v42, v43, v42, s2
	v_mov_b32_dpp v43, v42 quad_perm:[2,3,0,1] row_mask:0xf bank_mask:0xf
	s_delay_alu instid0(VALU_DEP_1) | instskip(NEXT) | instid1(VALU_DEP_1)
	v_cmp_gt_f32_e64 s2, v42, v43
	v_cndmask_b32_e64 v42, v43, v42, s2
	s_delay_alu instid0(VALU_DEP_1) | instskip(NEXT) | instid1(VALU_DEP_1)
	v_mov_b32_dpp v43, v42 row_xmask:7 row_mask:0xf bank_mask:0xf
	v_cmp_gt_f32_e64 s2, v42, v43
	s_delay_alu instid0(VALU_DEP_1) | instskip(NEXT) | instid1(VALU_DEP_1)
	v_cndmask_b32_e64 v42, v43, v42, s2
	v_mov_b32_dpp v43, v42 row_xmask:15 row_mask:0xf bank_mask:0xf
	s_delay_alu instid0(VALU_DEP_1)
	v_cmp_gt_f32_e64 s2, v42, v43
	s_and_saveexec_b32 s20, s0
	s_cbranch_execz .LBB76_19
; %bb.18:                               ;   in Loop: Header=BB76_11 Depth=1
	s_delay_alu instid0(VALU_DEP_1) | instskip(NEXT) | instid1(VALU_DEP_1)
	v_cndmask_b32_e64 v42, v43, v42, s2
	v_permlanex16_b32 v43, v42, s45, 0xfedcba98 op_sel:[1,1]
	s_delay_alu instid0(VALU_DEP_1) | instskip(NEXT) | instid1(VALU_DEP_1)
	v_cmp_gt_f32_e64 s2, v42, v43
	v_cndmask_b32_e64 v42, v43, v42, s2
	ds_store_b32 v4, v42
.LBB76_19:                              ;   in Loop: Header=BB76_11 Depth=1
	s_or_b32 exec_lo, exec_lo, s20
	s_waitcnt lgkmcnt(0)
	s_waitcnt_vscnt null, 0x0
	s_barrier
	buffer_gl0_inv
	ds_load_b32 v42, v5
	s_mul_hi_u32 s20, s37, s44
	s_xor_b32 s29, s39, s42
	s_mul_i32 s21, s20, s40
	s_waitcnt lgkmcnt(0)
	v_mov_b32_dpp v43, v42 quad_perm:[1,0,3,2] row_mask:0xf bank_mask:0xf
	s_delay_alu instid0(VALU_DEP_1) | instskip(NEXT) | instid1(VALU_DEP_1)
	v_cmp_gt_f32_e64 s2, v42, v43
	v_cndmask_b32_e64 v42, v43, v42, s2
	s_sub_i32 s2, s37, s21
	s_add_i32 s21, s20, 1
	s_sub_i32 s31, s2, s40
	s_cmp_ge_u32 s2, s40
	v_mov_b32_dpp v43, v42 quad_perm:[2,3,0,1] row_mask:0xf bank_mask:0xf
	s_cselect_b32 s20, s21, s20
	s_cselect_b32 s21, s31, s2
	s_delay_alu instid0(VALU_DEP_1) | instskip(NEXT) | instid1(VALU_DEP_1)
	v_cmp_gt_f32_e64 s2, v42, v43
	v_cndmask_b32_e64 v42, v43, v42, s2
	s_add_i32 s2, s20, 1
	s_cmp_ge_u32 s21, s40
	s_cselect_b32 s2, s2, s20
	s_delay_alu instid0(VALU_DEP_1) | instskip(SKIP_1) | instid1(SALU_CYCLE_1)
	v_mov_b32_dpp v43, v42 row_xmask:7 row_mask:0xf bank_mask:0xf
	s_xor_b32 s2, s2, s29
	s_sub_i32 s20, s2, s29
	s_delay_alu instid0(VALU_DEP_1) | instskip(NEXT) | instid1(VALU_DEP_1)
	v_cmp_gt_f32_e64 s2, v42, v43
	v_cndmask_b32_e64 v42, v43, v42, s2
	s_mul_i32 s2, s20, s5
	s_mul_i32 s20, s20, s9
	s_sub_i32 s2, s36, s2
	s_delay_alu instid0(VALU_DEP_1) | instskip(SKIP_1) | instid1(SALU_CYCLE_1)
	v_mul_f32_e32 v42, 0x3b124925, v42
	s_mul_i32 s2, s2, s10
	s_add_i32 s20, s2, s20
	s_and_saveexec_b32 s2, vcc_lo
	s_cbranch_execz .LBB76_21
; %bb.20:                               ;   in Loop: Header=BB76_11 Depth=1
	s_ashr_i32 s21, s20, 31
	s_delay_alu instid0(SALU_CYCLE_1) | instskip(NEXT) | instid1(SALU_CYCLE_1)
	s_lshl_b64 s[36:37], s[20:21], 2
	s_add_u32 s36, s14, s36
	s_addc_u32 s37, s15, s37
	global_store_b32 v0, v42, s[36:37]
.LBB76_21:                              ;   in Loop: Header=BB76_11 Depth=1
	s_or_b32 exec_lo, exec_lo, s2
	s_and_saveexec_b32 s2, s1
	s_cbranch_execz .LBB76_9
; %bb.22:                               ;   in Loop: Header=BB76_11 Depth=1
	v_rcp_f32_e32 v42, v42
	s_mul_i32 s21, s20, s11
	s_mul_hi_i32 s20, s20, s11
	s_add_u32 s36, s12, s21
	s_addc_u32 s20, s13, s20
	s_mov_b32 s39, s23
	s_and_b32 s37, s20, 0xffff
	s_waitcnt_depctr 0xfff
	v_mul_f32_e32 v40, v40, v42
	v_mul_f32_e32 v41, v41, v42
	;; [unrolled: 1-line block ×5, first 2 shown]
	;;#ASMSTART
	v_med3_f32 v40, v40, v8, v9
v_med3_f32 v41, v41, v8, v9
v_cvt_pk_fp8_f32 v33, v40, v41
	;;#ASMEND
	;;#ASMSTART
	v_med3_f32 v38, v38, v8, v9
v_med3_f32 v39, v39, v8, v9
v_cvt_pk_fp8_f32 v40, v38, v39
	;;#ASMEND
	v_perm_b32 v38, v40, v33, 0x5040100
	v_mul_f32_e32 v36, v36, v42
	v_mul_f32_e32 v37, v37, v42
	;; [unrolled: 1-line block ×5, first 2 shown]
	;;#ASMSTART
	v_med3_f32 v36, v36, v8, v9
v_med3_f32 v37, v37, v8, v9
v_cvt_pk_fp8_f32 v32, v36, v37
	;;#ASMEND
	;;#ASMSTART
	v_med3_f32 v34, v34, v8, v9
v_med3_f32 v35, v35, v8, v9
v_cvt_pk_fp8_f32 v33, v34, v35
	;;#ASMEND
	v_mul_f32_e32 v30, v30, v42
	v_mul_f32_e32 v31, v31, v42
	;; [unrolled: 1-line block ×4, first 2 shown]
	;;#ASMSTART
	v_med3_f32 v43, v43, v8, v9
v_med3_f32 v39, v39, v8, v9
v_cvt_pk_fp8_f32 v34, v43, v39
	;;#ASMEND
	;;#ASMSTART
	v_med3_f32 v30, v30, v8, v9
v_med3_f32 v31, v31, v8, v9
v_cvt_pk_fp8_f32 v35, v30, v31
	;;#ASMEND
	v_mul_f32_e32 v26, v26, v42
	v_mul_f32_e32 v29, v29, v42
	;;#ASMSTART
	v_med3_f32 v27, v27, v8, v9
v_med3_f32 v28, v28, v8, v9
v_cvt_pk_fp8_f32 v30, v27, v28
	;;#ASMEND
	v_perm_b32 v33, v32, v33, 0x1000504
	v_perm_b32 v32, v38, v40, 0x1060504
	;; [unrolled: 1-line block ×3, first 2 shown]
	;;#ASMSTART
	v_med3_f32 v26, v26, v8, v9
v_med3_f32 v29, v29, v8, v9
v_cvt_pk_fp8_f32 v27, v26, v29
	;;#ASMEND
	v_perm_b32 v35, v30, v27, 0x1000504
	buffer_store_b128 v[32:35], v3, s[36:39], 0 offen
	;;#ASMSTART
	s_nop 0
	;;#ASMEND
	s_branch .LBB76_9
.LBB76_23:
	s_nop 0
	s_sendmsg sendmsg(MSG_DEALLOC_VGPRS)
	s_endpgm
.LBB76_24:
                                        ; implicit-def: $sgpr4
	s_branch .LBB76_2
	.section	.rodata,"a",@progbits
	.p2align	6, 0x0
	.amdhsa_kernel _ZN5aiter36smooth_per_token_scaled_quant_kernelIDF16_DB8_Li256ELi16ELb1ELb1ELb0ELi1024EEEvPT0_PfPT_S4_PiS7_iiPKiiiiiiiii
		.amdhsa_group_segment_fixed_size 32
		.amdhsa_private_segment_fixed_size 0
		.amdhsa_kernarg_size 96
		.amdhsa_user_sgpr_count 15
		.amdhsa_user_sgpr_dispatch_ptr 0
		.amdhsa_user_sgpr_queue_ptr 0
		.amdhsa_user_sgpr_kernarg_segment_ptr 1
		.amdhsa_user_sgpr_dispatch_id 0
		.amdhsa_user_sgpr_private_segment_size 0
		.amdhsa_wavefront_size32 1
		.amdhsa_uses_dynamic_stack 0
		.amdhsa_enable_private_segment 0
		.amdhsa_system_sgpr_workgroup_id_x 1
		.amdhsa_system_sgpr_workgroup_id_y 0
		.amdhsa_system_sgpr_workgroup_id_z 0
		.amdhsa_system_sgpr_workgroup_info 0
		.amdhsa_system_vgpr_workitem_id 0
		.amdhsa_next_free_vgpr 50
		.amdhsa_next_free_sgpr 47
		.amdhsa_reserve_vcc 1
		.amdhsa_float_round_mode_32 0
		.amdhsa_float_round_mode_16_64 0
		.amdhsa_float_denorm_mode_32 3
		.amdhsa_float_denorm_mode_16_64 3
		.amdhsa_dx10_clamp 1
		.amdhsa_ieee_mode 1
		.amdhsa_fp16_overflow 0
		.amdhsa_workgroup_processor_mode 1
		.amdhsa_memory_ordered 1
		.amdhsa_forward_progress 0
		.amdhsa_shared_vgpr_count 0
		.amdhsa_exception_fp_ieee_invalid_op 0
		.amdhsa_exception_fp_denorm_src 0
		.amdhsa_exception_fp_ieee_div_zero 0
		.amdhsa_exception_fp_ieee_overflow 0
		.amdhsa_exception_fp_ieee_underflow 0
		.amdhsa_exception_fp_ieee_inexact 0
		.amdhsa_exception_int_div_zero 0
	.end_amdhsa_kernel
	.section	.text._ZN5aiter36smooth_per_token_scaled_quant_kernelIDF16_DB8_Li256ELi16ELb1ELb1ELb0ELi1024EEEvPT0_PfPT_S4_PiS7_iiPKiiiiiiiii,"axG",@progbits,_ZN5aiter36smooth_per_token_scaled_quant_kernelIDF16_DB8_Li256ELi16ELb1ELb1ELb0ELi1024EEEvPT0_PfPT_S4_PiS7_iiPKiiiiiiiii,comdat
.Lfunc_end76:
	.size	_ZN5aiter36smooth_per_token_scaled_quant_kernelIDF16_DB8_Li256ELi16ELb1ELb1ELb0ELi1024EEEvPT0_PfPT_S4_PiS7_iiPKiiiiiiiii, .Lfunc_end76-_ZN5aiter36smooth_per_token_scaled_quant_kernelIDF16_DB8_Li256ELi16ELb1ELb1ELb0ELi1024EEEvPT0_PfPT_S4_PiS7_iiPKiiiiiiiii
                                        ; -- End function
	.section	.AMDGPU.csdata,"",@progbits
; Kernel info:
; codeLenInByte = 2364
; NumSgprs: 49
; NumVgprs: 50
; ScratchSize: 0
; MemoryBound: 0
; FloatMode: 240
; IeeeMode: 1
; LDSByteSize: 32 bytes/workgroup (compile time only)
; SGPRBlocks: 6
; VGPRBlocks: 6
; NumSGPRsForWavesPerEU: 49
; NumVGPRsForWavesPerEU: 50
; Occupancy: 16
; WaveLimiterHint : 0
; COMPUTE_PGM_RSRC2:SCRATCH_EN: 0
; COMPUTE_PGM_RSRC2:USER_SGPR: 15
; COMPUTE_PGM_RSRC2:TRAP_HANDLER: 0
; COMPUTE_PGM_RSRC2:TGID_X_EN: 1
; COMPUTE_PGM_RSRC2:TGID_Y_EN: 0
; COMPUTE_PGM_RSRC2:TGID_Z_EN: 0
; COMPUTE_PGM_RSRC2:TIDIG_COMP_CNT: 0
	.section	.text._ZN5aiter36smooth_per_token_scaled_quant_kernelItDB8_Li256ELi16ELb1ELb1ELb0ELi1024EEEvPT0_PfPT_S4_PiS7_iiPKiiiiiiiii,"axG",@progbits,_ZN5aiter36smooth_per_token_scaled_quant_kernelItDB8_Li256ELi16ELb1ELb1ELb0ELi1024EEEvPT0_PfPT_S4_PiS7_iiPKiiiiiiiii,comdat
	.protected	_ZN5aiter36smooth_per_token_scaled_quant_kernelItDB8_Li256ELi16ELb1ELb1ELb0ELi1024EEEvPT0_PfPT_S4_PiS7_iiPKiiiiiiiii ; -- Begin function _ZN5aiter36smooth_per_token_scaled_quant_kernelItDB8_Li256ELi16ELb1ELb1ELb0ELi1024EEEvPT0_PfPT_S4_PiS7_iiPKiiiiiiiii
	.globl	_ZN5aiter36smooth_per_token_scaled_quant_kernelItDB8_Li256ELi16ELb1ELb1ELb0ELi1024EEEvPT0_PfPT_S4_PiS7_iiPKiiiiiiiii
	.p2align	8
	.type	_ZN5aiter36smooth_per_token_scaled_quant_kernelItDB8_Li256ELi16ELb1ELb1ELb0ELi1024EEEvPT0_PfPT_S4_PiS7_iiPKiiiiiiiii,@function
_ZN5aiter36smooth_per_token_scaled_quant_kernelItDB8_Li256ELi16ELb1ELb1ELb0ELi1024EEEvPT0_PfPT_S4_PiS7_iiPKiiiiiiiii: ; @_ZN5aiter36smooth_per_token_scaled_quant_kernelItDB8_Li256ELi16ELb1ELb1ELb0ELi1024EEEvPT0_PfPT_S4_PiS7_iiPKiiiiiiiii
; %bb.0:
	s_clause 0x1
	s_load_b64 s[2:3], s[0:1], 0x38
	s_load_b256 s[4:11], s[0:1], 0x40
	s_waitcnt lgkmcnt(0)
	s_cmp_lg_u64 s[2:3], 0
	s_cbranch_scc0 .LBB77_24
; %bb.1:
	s_load_b32 s2, s[2:3], 0x0
	s_waitcnt lgkmcnt(0)
	s_mul_i32 s4, s2, s4
	s_cbranch_execnz .LBB77_3
.LBB77_2:
	s_mul_i32 s4, s6, s5
.LBB77_3:
	s_load_b64 s[2:3], s[0:1], 0x30
	s_abs_i32 s14, s4
	s_waitcnt lgkmcnt(0)
	s_abs_i32 s11, s2
	s_delay_alu instid0(SALU_CYCLE_1) | instskip(SKIP_1) | instid1(VALU_DEP_1)
	v_cvt_f32_u32_e32 v1, s11
	s_sub_i32 s13, 0, s11
	v_rcp_iflag_f32_e32 v1, v1
	s_waitcnt_depctr 0xfff
	v_mul_f32_e32 v1, 0x4f7ffffe, v1
	s_delay_alu instid0(VALU_DEP_1) | instskip(NEXT) | instid1(VALU_DEP_1)
	v_cvt_u32_f32_e32 v1, v1
	v_readfirstlane_b32 s12, v1
	s_delay_alu instid0(VALU_DEP_1) | instskip(NEXT) | instid1(SALU_CYCLE_1)
	s_mul_i32 s13, s13, s12
	s_mul_hi_u32 s13, s12, s13
	s_delay_alu instid0(SALU_CYCLE_1) | instskip(SKIP_4) | instid1(SALU_CYCLE_1)
	s_add_i32 s12, s12, s13
	s_xor_b32 s13, s4, s2
	s_mul_hi_u32 s12, s14, s12
	s_ashr_i32 s13, s13, 31
	s_mul_i32 s16, s12, s11
	s_sub_i32 s14, s14, s16
	s_add_i32 s16, s12, 1
	s_sub_i32 s17, s14, s11
	s_cmp_ge_u32 s14, s11
	s_cselect_b32 s12, s16, s12
	s_cselect_b32 s14, s17, s14
	s_add_i32 s16, s12, 1
	s_cmp_ge_u32 s14, s11
	s_cselect_b32 s11, s16, s12
	s_mov_b32 s12, 0
	s_xor_b32 s11, s11, s13
	s_delay_alu instid0(SALU_CYCLE_1) | instskip(NEXT) | instid1(SALU_CYCLE_1)
	s_sub_i32 s11, s11, s13
	s_mul_i32 s2, s11, s2
	s_delay_alu instid0(SALU_CYCLE_1) | instskip(NEXT) | instid1(SALU_CYCLE_1)
	s_sub_i32 s13, s4, s2
	s_cmp_lt_u32 s15, s13
	s_cselect_b32 s2, -1, 0
	s_add_i32 s4, s11, 1
	s_cmp_ge_u32 s15, s13
	s_cbranch_scc0 .LBB77_5
; %bb.4:
	s_sub_i32 s14, s15, s13
	s_mul_i32 s13, s13, s4
	s_mul_i32 s14, s14, s11
	s_delay_alu instid0(SALU_CYCLE_1)
	s_add_i32 s34, s14, s13
	s_and_not1_b32 vcc_lo, exec_lo, s12
	s_cbranch_vccz .LBB77_6
	s_branch .LBB77_7
.LBB77_5:
                                        ; implicit-def: $sgpr34
.LBB77_6:
	s_mul_i32 s34, s4, s15
.LBB77_7:
	v_cndmask_b32_e64 v1, 0, 1, s2
	s_delay_alu instid0(VALU_DEP_1) | instskip(NEXT) | instid1(VALU_DEP_1)
	v_readfirstlane_b32 s2, v1
	s_add_i32 s4, s11, s2
	s_delay_alu instid0(SALU_CYCLE_1)
	s_cmp_lt_i32 s4, 1
	s_cbranch_scc1 .LBB77_23
; %bb.8:
	s_clause 0x1
	s_load_b64 s[20:21], s[0:1], 0x20
	s_load_b256 s[12:19], s[0:1], 0x0
	s_ashr_i32 s35, s34, 31
	v_dual_mov_b32 v7, 0 :: v_dual_and_b32 v6, 31, v0
	s_lshl_b64 s[24:25], s[34:35], 2
	v_lshrrev_b32_e32 v4, 3, v0
	v_and_b32_e32 v5, 7, v0
	v_lshlrev_b32_e32 v1, 5, v0
	v_cmp_eq_u32_e32 vcc_lo, 0, v0
	v_lshlrev_b32_e32 v3, 4, v0
	v_cmp_eq_u32_e64 s0, 31, v6
	v_and_b32_e32 v4, 0x7c, v4
	v_lshlrev_b32_e32 v6, 2, v6
	s_mov_b32 s23, -1
	s_mov_b32 s11, s3
	s_mov_b32 s33, 0
	;; [unrolled: 1-line block ×3, first 2 shown]
                                        ; implicit-def: $vgpr10
                                        ; implicit-def: $vgpr11
                                        ; implicit-def: $vgpr12
                                        ; implicit-def: $vgpr13
                                        ; implicit-def: $vgpr14
                                        ; implicit-def: $vgpr15
                                        ; implicit-def: $vgpr16
                                        ; implicit-def: $vgpr17
                                        ; implicit-def: $vgpr18
                                        ; implicit-def: $vgpr19
                                        ; implicit-def: $vgpr20
                                        ; implicit-def: $vgpr21
                                        ; implicit-def: $vgpr22
                                        ; implicit-def: $vgpr23
                                        ; implicit-def: $vgpr24
                                        ; implicit-def: $vgpr25
	s_waitcnt lgkmcnt(0)
	s_add_u32 s24, s20, s24
	s_addc_u32 s1, s21, s25
	s_abs_i32 s35, s6
	s_abs_i32 s40, s5
	v_cvt_f32_u32_e32 v8, s35
	v_cvt_f32_u32_e32 v9, s40
	s_add_i32 s20, s3, 3
	s_add_i32 s2, s3, 15
	s_ashr_i32 s21, s20, 31
	v_rcp_iflag_f32_e32 v8, v8
	v_rcp_iflag_f32_e32 v9, v9
	v_lshlrev_b32_e32 v2, 6, v0
	s_and_b32 s25, s1, 0xffff
	s_ashr_i32 s1, s2, 31
	s_lshr_b32 s21, s21, 30
	s_lshr_b32 s1, s1, 28
	s_add_i32 s20, s20, s21
	s_add_i32 s2, s2, s1
	s_sub_i32 s28, 0, s35
	s_waitcnt_depctr 0xfff
	v_dual_mul_f32 v8, 0x4f7ffffe, v8 :: v_dual_mul_f32 v9, 0x4f7ffffe, v9
	s_sub_i32 s29, 0, s40
	s_ashr_i32 s1, s2, 4
	s_lshl_b32 s22, s4, 2
	s_delay_alu instid0(VALU_DEP_1)
	v_cvt_u32_f32_e32 v8, v8
	v_cvt_u32_f32_e32 v9, v9
	v_cmp_gt_u32_e64 s1, s1, v0
	v_mov_b32_e32 v0, 0
	s_and_b32 s38, s20, -4
	v_readfirstlane_b32 s21, v8
	v_readfirstlane_b32 s31, v9
	v_dual_mov_b32 v8, 0xc3e00000 :: v_dual_lshlrev_b32 v5, 2, v5
	v_mov_b32_e32 v9, 0x43e00000
	s_delay_alu instid0(VALU_DEP_4) | instskip(NEXT) | instid1(VALU_DEP_3)
	s_mul_i32 s28, s28, s21
	s_mul_i32 s29, s29, s31
	s_mul_hi_u32 s2, s21, s28
	s_mul_hi_u32 s20, s31, s29
	s_lshl_b32 s30, s3, 1
	s_ashr_i32 s41, s6, 31
	s_ashr_i32 s42, s5, 31
	s_mov_b64 s[26:27], s[22:23]
	s_lshl_b32 s22, s3, 2
	s_add_i32 s43, s21, s2
	s_add_i32 s44, s31, s20
	s_mov_b32 s28, s23
	s_branch .LBB77_11
.LBB77_9:                               ;   in Loop: Header=BB77_11 Depth=1
	s_or_b32 exec_lo, exec_lo, s2
.LBB77_10:                              ;   in Loop: Header=BB77_11 Depth=1
	v_add_nc_u32_e32 v6, 4, v6
	s_add_i32 s33, s33, 1
	s_delay_alu instid0(SALU_CYCLE_1)
	s_cmp_eq_u32 s4, s33
	s_cbranch_scc1 .LBB77_23
.LBB77_11:                              ; =>This Inner Loop Header: Depth=1
	s_and_b32 s2, s33, 31
	s_delay_alu instid0(SALU_CYCLE_1)
	s_cmp_lg_u32 s2, 0
	s_cbranch_scc1 .LBB77_14
; %bb.12:                               ;   in Loop: Header=BB77_11 Depth=1
	buffer_load_b32 v7, v6, s[24:27], 0 offen
	s_cmp_lg_u32 s33, 0
	s_waitcnt vmcnt(3) expcnt(0) lgkmcnt(55)
	s_cbranch_scc1 .LBB77_14
; %bb.13:                               ;   in Loop: Header=BB77_11 Depth=1
	s_waitcnt vmcnt(0)
	s_waitcnt_vscnt null, 0x0
	s_barrier
	buffer_gl0_inv
.LBB77_14:                              ;   in Loop: Header=BB77_11 Depth=1
	s_waitcnt vmcnt(0)
	v_readlane_b32 s2, v7, s2
	s_delay_alu instid0(VALU_DEP_1)
	s_cmp_lt_i32 s2, 0
	s_cbranch_scc1 .LBB77_10
; %bb.15:                               ;   in Loop: Header=BB77_11 Depth=1
	s_add_i32 s36, s34, s33
	s_delay_alu instid0(SALU_CYCLE_1)
	s_abs_i32 s37, s36
	s_ashr_i32 s39, s36, 31
	s_mul_hi_u32 s20, s37, s43
	s_xor_b32 s29, s39, s41
	s_mul_i32 s21, s20, s35
	s_add_i32 s31, s20, 1
	s_sub_i32 s21, s37, s21
	s_delay_alu instid0(SALU_CYCLE_1)
	s_sub_i32 s46, s21, s35
	s_cmp_ge_u32 s21, s35
	s_cselect_b32 s20, s31, s20
	s_cselect_b32 s21, s46, s21
	s_add_i32 s31, s20, 1
	s_cmp_ge_u32 s21, s35
	s_cselect_b32 s20, s31, s20
	s_delay_alu instid0(SALU_CYCLE_1) | instskip(NEXT) | instid1(SALU_CYCLE_1)
	s_xor_b32 s20, s20, s29
	s_sub_i32 s20, s20, s29
	s_delay_alu instid0(SALU_CYCLE_1) | instskip(SKIP_2) | instid1(SALU_CYCLE_1)
	s_mul_i32 s21, s20, s6
	s_mul_i32 s20, s20, s7
	s_sub_i32 s21, s36, s21
	s_mul_i32 s21, s21, s8
	s_delay_alu instid0(SALU_CYCLE_1) | instskip(NEXT) | instid1(SALU_CYCLE_1)
	s_add_i32 s20, s21, s20
	s_cmp_eq_u32 s20, s28
	s_cbranch_scc1 .LBB77_17
; %bb.16:                               ;   in Loop: Header=BB77_11 Depth=1
	s_mul_hi_i32 s29, s20, s11
	s_mul_i32 s28, s20, s11
	s_mov_b32 s31, s23
	s_lshl_b64 s[28:29], s[28:29], 1
	s_delay_alu instid0(SALU_CYCLE_1) | instskip(SKIP_1) | instid1(SALU_CYCLE_1)
	s_add_u32 s28, s16, s28
	s_addc_u32 s21, s17, s29
	s_and_b32 s29, s21, 0xffff
	s_clause 0x1
	buffer_load_b128 v[10:13], v1, s[28:31], 0 offen
	buffer_load_b128 v[14:17], v1, s[28:31], 16 offen
	s_mov_b32 s28, s20
	s_waitcnt vmcnt(1)
	v_and_b32_e32 v18, 0xffff, v10
	v_lshrrev_b32_e32 v19, 16, v10
	v_and_b32_e32 v20, 0xffff, v11
	v_lshrrev_b32_e32 v21, 16, v11
	v_and_b32_e32 v22, 0xffff, v12
	v_lshrrev_b32_e32 v23, 16, v12
	v_and_b32_e32 v24, 0xffff, v13
	v_lshrrev_b32_e32 v25, 16, v13
	s_waitcnt vmcnt(0)
	v_and_b32_e32 v26, 0xffff, v14
	v_lshrrev_b32_e32 v27, 16, v14
	v_and_b32_e32 v28, 0xffff, v15
	v_lshrrev_b32_e32 v29, 16, v15
	;; [unrolled: 2-line block ×4, first 2 shown]
	v_cvt_f32_u32_e32 v10, v18
	v_cvt_f32_u32_e32 v11, v19
	;; [unrolled: 1-line block ×16, first 2 shown]
.LBB77_17:                              ;   in Loop: Header=BB77_11 Depth=1
	s_mul_i32 s20, s2, s3
	s_delay_alu instid0(SALU_CYCLE_1) | instskip(NEXT) | instid1(SALU_CYCLE_1)
	s_ashr_i32 s21, s20, 31
	s_lshl_b64 s[20:21], s[20:21], 2
	s_delay_alu instid0(SALU_CYCLE_1) | instskip(SKIP_1) | instid1(SALU_CYCLE_1)
	s_add_u32 s20, s18, s20
	s_addc_u32 s2, s19, s21
	s_and_b32 s21, s2, 0xffff
	s_clause 0x3
	buffer_load_b128 v[26:29], v2, s[20:23], 0 offen
	buffer_load_b128 v[30:33], v2, s[20:23], 16 offen
	;; [unrolled: 1-line block ×4, first 2 shown]
	s_waitcnt vmcnt(3)
	v_dual_mul_f32 v40, v10, v26 :: v_dual_mul_f32 v41, v11, v27
	v_dual_mul_f32 v38, v12, v28 :: v_dual_mul_f32 v39, v13, v29
	s_waitcnt vmcnt(2)
	v_dual_mul_f32 v36, v14, v30 :: v_dual_mul_f32 v37, v15, v31
	s_delay_alu instid0(VALU_DEP_3) | instskip(SKIP_3) | instid1(VALU_DEP_3)
	v_max3_f32 v26, |v40|, 0x2edbe6ff, |v41|
	v_dual_mul_f32 v34, v16, v32 :: v_dual_mul_f32 v35, v17, v33
	s_waitcnt vmcnt(1)
	v_dual_mul_f32 v33, v18, v42 :: v_dual_mul_f32 v32, v19, v43
	v_max3_f32 v26, v26, |v38|, |v39|
	v_dual_mul_f32 v30, v20, v44 :: v_dual_mul_f32 v31, v21, v45
	s_waitcnt vmcnt(0)
	v_dual_mul_f32 v27, v22, v46 :: v_dual_mul_f32 v28, v23, v47
	s_delay_alu instid0(VALU_DEP_3) | instskip(SKIP_1) | instid1(VALU_DEP_2)
	v_max3_f32 v26, v26, |v36|, |v37|
	v_mul_f32_e32 v29, v25, v49
	v_max3_f32 v26, v26, |v34|, |v35|
	s_delay_alu instid0(VALU_DEP_1) | instskip(NEXT) | instid1(VALU_DEP_1)
	v_max3_f32 v26, v26, |v33|, |v32|
	v_max3_f32 v42, v26, |v30|, |v31|
	v_mul_f32_e32 v26, v24, v48
	s_delay_alu instid0(VALU_DEP_2) | instskip(NEXT) | instid1(VALU_DEP_1)
	v_max3_f32 v42, v42, |v27|, |v28|
	v_max3_f32 v42, v42, |v26|, |v29|
	s_delay_alu instid0(VALU_DEP_1) | instskip(NEXT) | instid1(VALU_DEP_1)
	v_mov_b32_dpp v43, v42 quad_perm:[1,0,3,2] row_mask:0xf bank_mask:0xf
	v_cmp_gt_f32_e64 s2, v42, v43
	s_delay_alu instid0(VALU_DEP_1) | instskip(NEXT) | instid1(VALU_DEP_1)
	v_cndmask_b32_e64 v42, v43, v42, s2
	v_mov_b32_dpp v43, v42 quad_perm:[2,3,0,1] row_mask:0xf bank_mask:0xf
	s_delay_alu instid0(VALU_DEP_1) | instskip(NEXT) | instid1(VALU_DEP_1)
	v_cmp_gt_f32_e64 s2, v42, v43
	v_cndmask_b32_e64 v42, v43, v42, s2
	s_delay_alu instid0(VALU_DEP_1) | instskip(NEXT) | instid1(VALU_DEP_1)
	v_mov_b32_dpp v43, v42 row_xmask:7 row_mask:0xf bank_mask:0xf
	v_cmp_gt_f32_e64 s2, v42, v43
	s_delay_alu instid0(VALU_DEP_1) | instskip(NEXT) | instid1(VALU_DEP_1)
	v_cndmask_b32_e64 v42, v43, v42, s2
	v_mov_b32_dpp v43, v42 row_xmask:15 row_mask:0xf bank_mask:0xf
	s_delay_alu instid0(VALU_DEP_1)
	v_cmp_gt_f32_e64 s2, v42, v43
	s_and_saveexec_b32 s20, s0
	s_cbranch_execz .LBB77_19
; %bb.18:                               ;   in Loop: Header=BB77_11 Depth=1
	s_delay_alu instid0(VALU_DEP_1) | instskip(NEXT) | instid1(VALU_DEP_1)
	v_cndmask_b32_e64 v42, v43, v42, s2
	v_permlanex16_b32 v43, v42, s45, 0xfedcba98 op_sel:[1,1]
	s_delay_alu instid0(VALU_DEP_1) | instskip(NEXT) | instid1(VALU_DEP_1)
	v_cmp_gt_f32_e64 s2, v42, v43
	v_cndmask_b32_e64 v42, v43, v42, s2
	ds_store_b32 v4, v42
.LBB77_19:                              ;   in Loop: Header=BB77_11 Depth=1
	s_or_b32 exec_lo, exec_lo, s20
	s_waitcnt lgkmcnt(0)
	s_waitcnt_vscnt null, 0x0
	s_barrier
	buffer_gl0_inv
	ds_load_b32 v42, v5
	s_mul_hi_u32 s20, s37, s44
	s_xor_b32 s29, s39, s42
	s_mul_i32 s21, s20, s40
	s_waitcnt lgkmcnt(0)
	v_mov_b32_dpp v43, v42 quad_perm:[1,0,3,2] row_mask:0xf bank_mask:0xf
	s_delay_alu instid0(VALU_DEP_1) | instskip(NEXT) | instid1(VALU_DEP_1)
	v_cmp_gt_f32_e64 s2, v42, v43
	v_cndmask_b32_e64 v42, v43, v42, s2
	s_sub_i32 s2, s37, s21
	s_add_i32 s21, s20, 1
	s_sub_i32 s31, s2, s40
	s_cmp_ge_u32 s2, s40
	v_mov_b32_dpp v43, v42 quad_perm:[2,3,0,1] row_mask:0xf bank_mask:0xf
	s_cselect_b32 s20, s21, s20
	s_cselect_b32 s21, s31, s2
	s_delay_alu instid0(VALU_DEP_1) | instskip(NEXT) | instid1(VALU_DEP_1)
	v_cmp_gt_f32_e64 s2, v42, v43
	v_cndmask_b32_e64 v42, v43, v42, s2
	s_add_i32 s2, s20, 1
	s_cmp_ge_u32 s21, s40
	s_cselect_b32 s2, s2, s20
	s_delay_alu instid0(VALU_DEP_1) | instskip(SKIP_1) | instid1(SALU_CYCLE_1)
	v_mov_b32_dpp v43, v42 row_xmask:7 row_mask:0xf bank_mask:0xf
	s_xor_b32 s2, s2, s29
	s_sub_i32 s20, s2, s29
	s_delay_alu instid0(VALU_DEP_1) | instskip(NEXT) | instid1(VALU_DEP_1)
	v_cmp_gt_f32_e64 s2, v42, v43
	v_cndmask_b32_e64 v42, v43, v42, s2
	s_mul_i32 s2, s20, s5
	s_mul_i32 s20, s20, s9
	s_sub_i32 s2, s36, s2
	s_delay_alu instid0(VALU_DEP_1) | instskip(SKIP_1) | instid1(SALU_CYCLE_1)
	v_mul_f32_e32 v42, 0x3b124925, v42
	s_mul_i32 s2, s2, s10
	s_add_i32 s20, s2, s20
	s_and_saveexec_b32 s2, vcc_lo
	s_cbranch_execz .LBB77_21
; %bb.20:                               ;   in Loop: Header=BB77_11 Depth=1
	s_ashr_i32 s21, s20, 31
	s_delay_alu instid0(SALU_CYCLE_1) | instskip(NEXT) | instid1(SALU_CYCLE_1)
	s_lshl_b64 s[36:37], s[20:21], 2
	s_add_u32 s36, s14, s36
	s_addc_u32 s37, s15, s37
	global_store_b32 v0, v42, s[36:37]
.LBB77_21:                              ;   in Loop: Header=BB77_11 Depth=1
	s_or_b32 exec_lo, exec_lo, s2
	s_and_saveexec_b32 s2, s1
	s_cbranch_execz .LBB77_9
; %bb.22:                               ;   in Loop: Header=BB77_11 Depth=1
	v_rcp_f32_e32 v42, v42
	s_mul_i32 s21, s20, s11
	s_mul_hi_i32 s20, s20, s11
	s_add_u32 s36, s12, s21
	s_addc_u32 s20, s13, s20
	s_mov_b32 s39, s23
	s_and_b32 s37, s20, 0xffff
	s_waitcnt_depctr 0xfff
	v_mul_f32_e32 v40, v40, v42
	v_mul_f32_e32 v41, v41, v42
	;; [unrolled: 1-line block ×5, first 2 shown]
	;;#ASMSTART
	v_med3_f32 v40, v40, v8, v9
v_med3_f32 v41, v41, v8, v9
v_cvt_pk_fp8_f32 v33, v40, v41
	;;#ASMEND
	;;#ASMSTART
	v_med3_f32 v38, v38, v8, v9
v_med3_f32 v39, v39, v8, v9
v_cvt_pk_fp8_f32 v40, v38, v39
	;;#ASMEND
	v_perm_b32 v38, v40, v33, 0x5040100
	v_mul_f32_e32 v36, v36, v42
	v_mul_f32_e32 v37, v37, v42
	;; [unrolled: 1-line block ×5, first 2 shown]
	;;#ASMSTART
	v_med3_f32 v36, v36, v8, v9
v_med3_f32 v37, v37, v8, v9
v_cvt_pk_fp8_f32 v32, v36, v37
	;;#ASMEND
	;;#ASMSTART
	v_med3_f32 v34, v34, v8, v9
v_med3_f32 v35, v35, v8, v9
v_cvt_pk_fp8_f32 v33, v34, v35
	;;#ASMEND
	v_mul_f32_e32 v30, v30, v42
	v_mul_f32_e32 v31, v31, v42
	;; [unrolled: 1-line block ×4, first 2 shown]
	;;#ASMSTART
	v_med3_f32 v43, v43, v8, v9
v_med3_f32 v39, v39, v8, v9
v_cvt_pk_fp8_f32 v34, v43, v39
	;;#ASMEND
	;;#ASMSTART
	v_med3_f32 v30, v30, v8, v9
v_med3_f32 v31, v31, v8, v9
v_cvt_pk_fp8_f32 v35, v30, v31
	;;#ASMEND
	v_mul_f32_e32 v26, v26, v42
	v_mul_f32_e32 v29, v29, v42
	;;#ASMSTART
	v_med3_f32 v27, v27, v8, v9
v_med3_f32 v28, v28, v8, v9
v_cvt_pk_fp8_f32 v30, v27, v28
	;;#ASMEND
	v_perm_b32 v33, v32, v33, 0x1000504
	v_perm_b32 v32, v38, v40, 0x1060504
	;; [unrolled: 1-line block ×3, first 2 shown]
	;;#ASMSTART
	v_med3_f32 v26, v26, v8, v9
v_med3_f32 v29, v29, v8, v9
v_cvt_pk_fp8_f32 v27, v26, v29
	;;#ASMEND
	v_perm_b32 v35, v30, v27, 0x1000504
	buffer_store_b128 v[32:35], v3, s[36:39], 0 offen
	;;#ASMSTART
	s_nop 0
	;;#ASMEND
	s_branch .LBB77_9
.LBB77_23:
	s_nop 0
	s_sendmsg sendmsg(MSG_DEALLOC_VGPRS)
	s_endpgm
.LBB77_24:
                                        ; implicit-def: $sgpr4
	s_branch .LBB77_2
	.section	.rodata,"a",@progbits
	.p2align	6, 0x0
	.amdhsa_kernel _ZN5aiter36smooth_per_token_scaled_quant_kernelItDB8_Li256ELi16ELb1ELb1ELb0ELi1024EEEvPT0_PfPT_S4_PiS7_iiPKiiiiiiiii
		.amdhsa_group_segment_fixed_size 32
		.amdhsa_private_segment_fixed_size 0
		.amdhsa_kernarg_size 96
		.amdhsa_user_sgpr_count 15
		.amdhsa_user_sgpr_dispatch_ptr 0
		.amdhsa_user_sgpr_queue_ptr 0
		.amdhsa_user_sgpr_kernarg_segment_ptr 1
		.amdhsa_user_sgpr_dispatch_id 0
		.amdhsa_user_sgpr_private_segment_size 0
		.amdhsa_wavefront_size32 1
		.amdhsa_uses_dynamic_stack 0
		.amdhsa_enable_private_segment 0
		.amdhsa_system_sgpr_workgroup_id_x 1
		.amdhsa_system_sgpr_workgroup_id_y 0
		.amdhsa_system_sgpr_workgroup_id_z 0
		.amdhsa_system_sgpr_workgroup_info 0
		.amdhsa_system_vgpr_workitem_id 0
		.amdhsa_next_free_vgpr 50
		.amdhsa_next_free_sgpr 47
		.amdhsa_reserve_vcc 1
		.amdhsa_float_round_mode_32 0
		.amdhsa_float_round_mode_16_64 0
		.amdhsa_float_denorm_mode_32 3
		.amdhsa_float_denorm_mode_16_64 3
		.amdhsa_dx10_clamp 1
		.amdhsa_ieee_mode 1
		.amdhsa_fp16_overflow 0
		.amdhsa_workgroup_processor_mode 1
		.amdhsa_memory_ordered 1
		.amdhsa_forward_progress 0
		.amdhsa_shared_vgpr_count 0
		.amdhsa_exception_fp_ieee_invalid_op 0
		.amdhsa_exception_fp_denorm_src 0
		.amdhsa_exception_fp_ieee_div_zero 0
		.amdhsa_exception_fp_ieee_overflow 0
		.amdhsa_exception_fp_ieee_underflow 0
		.amdhsa_exception_fp_ieee_inexact 0
		.amdhsa_exception_int_div_zero 0
	.end_amdhsa_kernel
	.section	.text._ZN5aiter36smooth_per_token_scaled_quant_kernelItDB8_Li256ELi16ELb1ELb1ELb0ELi1024EEEvPT0_PfPT_S4_PiS7_iiPKiiiiiiiii,"axG",@progbits,_ZN5aiter36smooth_per_token_scaled_quant_kernelItDB8_Li256ELi16ELb1ELb1ELb0ELi1024EEEvPT0_PfPT_S4_PiS7_iiPKiiiiiiiii,comdat
.Lfunc_end77:
	.size	_ZN5aiter36smooth_per_token_scaled_quant_kernelItDB8_Li256ELi16ELb1ELb1ELb0ELi1024EEEvPT0_PfPT_S4_PiS7_iiPKiiiiiiiii, .Lfunc_end77-_ZN5aiter36smooth_per_token_scaled_quant_kernelItDB8_Li256ELi16ELb1ELb1ELb0ELi1024EEEvPT0_PfPT_S4_PiS7_iiPKiiiiiiiii
                                        ; -- End function
	.section	.AMDGPU.csdata,"",@progbits
; Kernel info:
; codeLenInByte = 2428
; NumSgprs: 49
; NumVgprs: 50
; ScratchSize: 0
; MemoryBound: 0
; FloatMode: 240
; IeeeMode: 1
; LDSByteSize: 32 bytes/workgroup (compile time only)
; SGPRBlocks: 6
; VGPRBlocks: 6
; NumSGPRsForWavesPerEU: 49
; NumVGPRsForWavesPerEU: 50
; Occupancy: 16
; WaveLimiterHint : 0
; COMPUTE_PGM_RSRC2:SCRATCH_EN: 0
; COMPUTE_PGM_RSRC2:USER_SGPR: 15
; COMPUTE_PGM_RSRC2:TRAP_HANDLER: 0
; COMPUTE_PGM_RSRC2:TGID_X_EN: 1
; COMPUTE_PGM_RSRC2:TGID_Y_EN: 0
; COMPUTE_PGM_RSRC2:TGID_Z_EN: 0
; COMPUTE_PGM_RSRC2:TIDIG_COMP_CNT: 0
	.section	.text._ZN5aiter36smooth_per_token_scaled_quant_kernelIDF16_DB8_Li256ELi16ELb1ELb0ELb0ELi1024EEEvPT0_PfPT_S4_PiS7_iiPKiiiiiiiii,"axG",@progbits,_ZN5aiter36smooth_per_token_scaled_quant_kernelIDF16_DB8_Li256ELi16ELb1ELb0ELb0ELi1024EEEvPT0_PfPT_S4_PiS7_iiPKiiiiiiiii,comdat
	.protected	_ZN5aiter36smooth_per_token_scaled_quant_kernelIDF16_DB8_Li256ELi16ELb1ELb0ELb0ELi1024EEEvPT0_PfPT_S4_PiS7_iiPKiiiiiiiii ; -- Begin function _ZN5aiter36smooth_per_token_scaled_quant_kernelIDF16_DB8_Li256ELi16ELb1ELb0ELb0ELi1024EEEvPT0_PfPT_S4_PiS7_iiPKiiiiiiiii
	.globl	_ZN5aiter36smooth_per_token_scaled_quant_kernelIDF16_DB8_Li256ELi16ELb1ELb0ELb0ELi1024EEEvPT0_PfPT_S4_PiS7_iiPKiiiiiiiii
	.p2align	8
	.type	_ZN5aiter36smooth_per_token_scaled_quant_kernelIDF16_DB8_Li256ELi16ELb1ELb0ELb0ELi1024EEEvPT0_PfPT_S4_PiS7_iiPKiiiiiiiii,@function
_ZN5aiter36smooth_per_token_scaled_quant_kernelIDF16_DB8_Li256ELi16ELb1ELb0ELb0ELi1024EEEvPT0_PfPT_S4_PiS7_iiPKiiiiiiiii: ; @_ZN5aiter36smooth_per_token_scaled_quant_kernelIDF16_DB8_Li256ELi16ELb1ELb0ELb0ELi1024EEEvPT0_PfPT_S4_PiS7_iiPKiiiiiiiii
; %bb.0:
	s_clause 0x1
	s_load_b64 s[2:3], s[0:1], 0x38
	s_load_b256 s[4:11], s[0:1], 0x40
	s_waitcnt lgkmcnt(0)
	s_cmp_lg_u64 s[2:3], 0
	s_cbranch_scc0 .LBB78_19
; %bb.1:
	s_load_b32 s2, s[2:3], 0x0
	s_waitcnt lgkmcnt(0)
	s_mul_i32 s4, s2, s4
	s_cbranch_execnz .LBB78_3
.LBB78_2:
	s_mul_i32 s4, s6, s5
.LBB78_3:
	s_load_b64 s[2:3], s[0:1], 0x30
	s_abs_i32 s14, s4
	s_waitcnt lgkmcnt(0)
	s_abs_i32 s11, s2
	s_delay_alu instid0(SALU_CYCLE_1) | instskip(SKIP_1) | instid1(VALU_DEP_1)
	v_cvt_f32_u32_e32 v1, s11
	s_sub_i32 s13, 0, s11
	v_rcp_iflag_f32_e32 v1, v1
	s_waitcnt_depctr 0xfff
	v_mul_f32_e32 v1, 0x4f7ffffe, v1
	s_delay_alu instid0(VALU_DEP_1) | instskip(NEXT) | instid1(VALU_DEP_1)
	v_cvt_u32_f32_e32 v1, v1
	v_readfirstlane_b32 s12, v1
	s_delay_alu instid0(VALU_DEP_1) | instskip(NEXT) | instid1(SALU_CYCLE_1)
	s_mul_i32 s13, s13, s12
	s_mul_hi_u32 s13, s12, s13
	s_delay_alu instid0(SALU_CYCLE_1) | instskip(SKIP_4) | instid1(SALU_CYCLE_1)
	s_add_i32 s12, s12, s13
	s_xor_b32 s13, s4, s2
	s_mul_hi_u32 s12, s14, s12
	s_ashr_i32 s13, s13, 31
	s_mul_i32 s16, s12, s11
	s_sub_i32 s14, s14, s16
	s_add_i32 s16, s12, 1
	s_sub_i32 s17, s14, s11
	s_cmp_ge_u32 s14, s11
	s_cselect_b32 s12, s16, s12
	s_cselect_b32 s14, s17, s14
	s_add_i32 s16, s12, 1
	s_cmp_ge_u32 s14, s11
	s_cselect_b32 s11, s16, s12
	s_delay_alu instid0(SALU_CYCLE_1) | instskip(NEXT) | instid1(SALU_CYCLE_1)
	s_xor_b32 s11, s11, s13
	s_sub_i32 s11, s11, s13
	s_mov_b32 s13, 0
	s_mul_i32 s2, s11, s2
	s_delay_alu instid0(SALU_CYCLE_1) | instskip(NEXT) | instid1(SALU_CYCLE_1)
	s_sub_i32 s4, s4, s2
	s_cmp_lt_u32 s15, s4
	s_cselect_b32 s2, -1, 0
	s_add_i32 s12, s11, 1
	s_cmp_ge_u32 s15, s4
	s_cbranch_scc0 .LBB78_5
; %bb.4:
	s_sub_i32 s14, s15, s4
	s_mul_i32 s4, s4, s12
	s_mul_i32 s14, s14, s11
	s_delay_alu instid0(SALU_CYCLE_1)
	s_add_i32 s4, s14, s4
	s_and_not1_b32 vcc_lo, exec_lo, s13
	s_cbranch_vccz .LBB78_6
	s_branch .LBB78_7
.LBB78_5:
                                        ; implicit-def: $sgpr4
.LBB78_6:
	s_mul_i32 s4, s12, s15
.LBB78_7:
	v_cndmask_b32_e64 v1, 0, 1, s2
	s_delay_alu instid0(VALU_DEP_1) | instskip(NEXT) | instid1(VALU_DEP_1)
	v_readfirstlane_b32 s2, v1
	s_add_i32 s11, s11, s2
	s_delay_alu instid0(SALU_CYCLE_1)
	s_cmp_lt_i32 s11, 1
	s_cbranch_scc1 .LBB78_18
; %bb.8:
	s_abs_i32 s34, s6
	s_abs_i32 s35, s5
	v_cvt_f32_u32_e32 v6, s34
	v_cvt_f32_u32_e32 v7, s35
	v_and_b32_e32 v3, 31, v0
	v_lshrrev_b32_e32 v4, 3, v0
	v_and_b32_e32 v5, 7, v0
	v_rcp_iflag_f32_e32 v6, v6
	v_rcp_iflag_f32_e32 v7, v7
	s_load_b256 s[12:19], s[0:1], 0x0
	s_add_i32 s1, s3, 15
	v_lshlrev_b32_e32 v2, 6, v0
	s_ashr_i32 s0, s1, 31
	v_cmp_eq_u32_e32 vcc_lo, 31, v3
	v_and_b32_e32 v3, 0x7c, v4
	v_lshlrev_b32_e32 v4, 2, v5
	s_lshr_b32 s2, s0, 28
	s_waitcnt_depctr 0xfff
	v_mul_f32_e32 v5, 0x4f7ffffe, v6
	v_dual_mul_f32 v6, 0x4f7ffffe, v7 :: v_dual_lshlrev_b32 v1, 5, v0
	s_add_i32 s1, s1, s2
	s_add_i32 s2, s3, 3
	s_mov_b32 s33, s3
	s_lshl_b32 s22, s3, 1
	s_lshl_b32 s26, s3, 2
	s_ashr_i32 s3, s2, 31
	v_cvt_u32_f32_e32 v5, v5
	s_lshr_b32 s3, s3, 30
	v_cvt_u32_f32_e32 v6, v6
	s_add_i32 s2, s2, s3
	s_sub_i32 s3, 0, s34
	s_and_b32 s30, s2, -4
	v_readfirstlane_b32 s2, v5
	v_readfirstlane_b32 s20, v6
	s_sub_i32 s21, 0, s35
	s_ashr_i32 s1, s1, 4
	v_cmp_eq_u32_e64 s0, 0, v0
	s_mul_i32 s3, s3, s2
	s_mul_i32 s21, s21, s20
	s_mul_hi_u32 s3, s2, s3
	v_cmp_gt_u32_e64 s1, s1, v0
	v_dual_mov_b32 v7, 0x43e00000 :: v_dual_lshlrev_b32 v0, 4, v0
	v_dual_mov_b32 v5, 0 :: v_dual_mov_b32 v6, 0xc3e00000
	s_mov_b32 s23, -1
	s_waitcnt lgkmcnt(0)
	s_and_b32 s19, s19, 0xffff
	s_add_i32 s37, s2, s3
	s_mul_hi_u32 s2, s20, s21
	s_mov_b32 s27, s23
	s_ashr_i32 s36, s6, 31
	s_ashr_i32 s38, s5, 31
	s_add_i32 s39, s20, s2
	s_mov_b32 s24, s18
	s_mov_b32 s25, s19
	;; [unrolled: 1-line block ×4, first 2 shown]
                                        ; implicit-def: $vgpr8
                                        ; implicit-def: $vgpr13
                                        ; implicit-def: $vgpr9
                                        ; implicit-def: $vgpr15
                                        ; implicit-def: $vgpr10
                                        ; implicit-def: $vgpr16
                                        ; implicit-def: $vgpr11
                                        ; implicit-def: $vgpr18
                                        ; implicit-def: $vgpr12
                                        ; implicit-def: $vgpr20
                                        ; implicit-def: $vgpr14
                                        ; implicit-def: $vgpr21
                                        ; implicit-def: $vgpr17
                                        ; implicit-def: $vgpr22
                                        ; implicit-def: $vgpr19
                                        ; implicit-def: $vgpr23
	s_branch .LBB78_10
.LBB78_9:                               ;   in Loop: Header=BB78_10 Depth=1
	s_or_b32 exec_lo, exec_lo, s3
	s_add_i32 s11, s11, -1
	s_add_i32 s4, s4, 1
	s_cmp_eq_u32 s11, 0
	s_cbranch_scc1 .LBB78_18
.LBB78_10:                              ; =>This Inner Loop Header: Depth=1
	s_abs_i32 s3, s4
	s_ashr_i32 s28, s4, 31
	s_mul_hi_u32 s2, s3, s37
	s_xor_b32 s21, s28, s36
	s_mul_i32 s20, s2, s34
	s_add_i32 s29, s2, 1
	s_sub_i32 s20, s3, s20
	s_delay_alu instid0(SALU_CYCLE_1)
	s_sub_i32 s31, s20, s34
	s_cmp_ge_u32 s20, s34
	s_cselect_b32 s2, s29, s2
	s_cselect_b32 s20, s31, s20
	s_add_i32 s29, s2, 1
	s_cmp_ge_u32 s20, s34
	s_cselect_b32 s2, s29, s2
	s_delay_alu instid0(SALU_CYCLE_1) | instskip(NEXT) | instid1(SALU_CYCLE_1)
	s_xor_b32 s2, s2, s21
	s_sub_i32 s2, s2, s21
	s_delay_alu instid0(SALU_CYCLE_1) | instskip(SKIP_2) | instid1(SALU_CYCLE_1)
	s_mul_i32 s20, s2, s6
	s_mul_i32 s2, s2, s7
	s_sub_i32 s20, s4, s20
	s_mul_i32 s20, s20, s8
	s_delay_alu instid0(SALU_CYCLE_1) | instskip(NEXT) | instid1(SALU_CYCLE_1)
	s_add_i32 s2, s20, s2
	s_cmp_eq_u32 s2, s19
	s_cbranch_scc1 .LBB78_12
; %bb.11:                               ;   in Loop: Header=BB78_10 Depth=1
	s_mul_hi_i32 s21, s2, s33
	s_mul_i32 s20, s2, s33
	s_delay_alu instid0(SALU_CYCLE_1) | instskip(NEXT) | instid1(SALU_CYCLE_1)
	s_lshl_b64 s[20:21], s[20:21], 1
	s_add_u32 s20, s16, s20
	s_addc_u32 s19, s17, s21
	s_delay_alu instid0(SALU_CYCLE_1)
	s_and_b32 s21, s19, 0xffff
	s_clause 0x1
	buffer_load_b128 v[9:12], v1, s[20:23], 0 offen
	buffer_load_b128 v[17:20], v1, s[20:23], 16 offen
	s_mov_b32 s19, s2
	s_waitcnt vmcnt(1)
	v_lshrrev_b32_e32 v13, 16, v9
	v_lshrrev_b32_e32 v15, 16, v10
	;; [unrolled: 1-line block ×4, first 2 shown]
	s_waitcnt vmcnt(0)
	v_lshrrev_b32_e32 v22, 16, v17
	v_lshrrev_b32_e32 v23, 16, v18
	;; [unrolled: 1-line block ×4, first 2 shown]
	v_cvt_f32_f16_e32 v8, v9
	v_cvt_f32_f16_e32 v9, v10
	;; [unrolled: 1-line block ×16, first 2 shown]
.LBB78_12:                              ;   in Loop: Header=BB78_10 Depth=1
	s_clause 0x3
	buffer_load_b128 v[24:27], v2, s[24:27], 0 offen
	buffer_load_b128 v[28:31], v2, s[24:27], 16 offen
	buffer_load_b128 v[40:43], v2, s[24:27], 32 offen
	buffer_load_b128 v[44:47], v2, s[24:27], 48 offen
	s_waitcnt vmcnt(3)
	v_dual_mul_f32 v38, v8, v24 :: v_dual_mul_f32 v39, v13, v25
	v_dual_mul_f32 v36, v9, v26 :: v_dual_mul_f32 v37, v15, v27
	s_waitcnt vmcnt(2)
	v_dual_mul_f32 v34, v10, v28 :: v_dual_mul_f32 v35, v16, v29
	s_delay_alu instid0(VALU_DEP_3) | instskip(SKIP_3) | instid1(VALU_DEP_3)
	v_max3_f32 v24, |v38|, 0x2edbe6ff, |v39|
	v_dual_mul_f32 v32, v11, v30 :: v_dual_mul_f32 v33, v18, v31
	s_waitcnt vmcnt(1)
	v_dual_mul_f32 v31, v12, v40 :: v_dual_mul_f32 v28, v14, v42
	v_max3_f32 v24, v24, |v36|, |v37|
	v_dual_mul_f32 v30, v20, v41 :: v_dual_mul_f32 v29, v21, v43
	s_waitcnt vmcnt(0)
	v_dual_mul_f32 v25, v17, v44 :: v_dual_mul_f32 v26, v22, v45
	s_delay_alu instid0(VALU_DEP_3) | instskip(SKIP_1) | instid1(VALU_DEP_2)
	v_max3_f32 v24, v24, |v34|, |v35|
	v_mul_f32_e32 v27, v23, v47
	v_max3_f32 v24, v24, |v32|, |v33|
	s_delay_alu instid0(VALU_DEP_1) | instskip(NEXT) | instid1(VALU_DEP_1)
	v_max3_f32 v24, v24, |v31|, |v30|
	v_max3_f32 v40, v24, |v28|, |v29|
	v_mul_f32_e32 v24, v19, v46
	s_delay_alu instid0(VALU_DEP_2) | instskip(NEXT) | instid1(VALU_DEP_1)
	v_max3_f32 v40, v40, |v25|, |v26|
	v_max3_f32 v40, v40, |v24|, |v27|
	s_delay_alu instid0(VALU_DEP_1) | instskip(NEXT) | instid1(VALU_DEP_1)
	v_mov_b32_dpp v41, v40 quad_perm:[1,0,3,2] row_mask:0xf bank_mask:0xf
	v_cmp_gt_f32_e64 s2, v40, v41
	s_delay_alu instid0(VALU_DEP_1) | instskip(NEXT) | instid1(VALU_DEP_1)
	v_cndmask_b32_e64 v40, v41, v40, s2
	v_mov_b32_dpp v41, v40 quad_perm:[2,3,0,1] row_mask:0xf bank_mask:0xf
	s_delay_alu instid0(VALU_DEP_1) | instskip(NEXT) | instid1(VALU_DEP_1)
	v_cmp_gt_f32_e64 s2, v40, v41
	v_cndmask_b32_e64 v40, v41, v40, s2
	s_delay_alu instid0(VALU_DEP_1) | instskip(NEXT) | instid1(VALU_DEP_1)
	v_mov_b32_dpp v41, v40 row_xmask:7 row_mask:0xf bank_mask:0xf
	v_cmp_gt_f32_e64 s2, v40, v41
	s_delay_alu instid0(VALU_DEP_1) | instskip(NEXT) | instid1(VALU_DEP_1)
	v_cndmask_b32_e64 v40, v41, v40, s2
	v_mov_b32_dpp v41, v40 row_xmask:15 row_mask:0xf bank_mask:0xf
	s_delay_alu instid0(VALU_DEP_1)
	v_cmp_gt_f32_e64 s2, v40, v41
	s_and_saveexec_b32 s20, vcc_lo
	s_cbranch_execz .LBB78_14
; %bb.13:                               ;   in Loop: Header=BB78_10 Depth=1
	s_delay_alu instid0(VALU_DEP_1) | instskip(NEXT) | instid1(VALU_DEP_1)
	v_cndmask_b32_e64 v40, v41, v40, s2
	v_permlanex16_b32 v41, v40, s18, 0xfedcba98 op_sel:[1,1]
	s_delay_alu instid0(VALU_DEP_1) | instskip(NEXT) | instid1(VALU_DEP_1)
	v_cmp_gt_f32_e64 s2, v40, v41
	v_cndmask_b32_e64 v40, v41, v40, s2
	ds_store_b32 v3, v40
.LBB78_14:                              ;   in Loop: Header=BB78_10 Depth=1
	s_or_b32 exec_lo, exec_lo, s20
	s_waitcnt lgkmcnt(0)
	s_waitcnt_vscnt null, 0x0
	s_barrier
	buffer_gl0_inv
	ds_load_b32 v40, v4
	s_mul_hi_u32 s20, s3, s39
	s_xor_b32 s28, s28, s38
	s_mul_i32 s21, s20, s35
	s_waitcnt lgkmcnt(0)
	v_mov_b32_dpp v41, v40 quad_perm:[1,0,3,2] row_mask:0xf bank_mask:0xf
	s_delay_alu instid0(VALU_DEP_1) | instskip(NEXT) | instid1(VALU_DEP_1)
	v_cmp_gt_f32_e64 s2, v40, v41
	v_cndmask_b32_e64 v40, v41, v40, s2
	s_sub_i32 s2, s3, s21
	s_add_i32 s3, s20, 1
	s_sub_i32 s21, s2, s35
	s_cmp_ge_u32 s2, s35
	v_mov_b32_dpp v41, v40 quad_perm:[2,3,0,1] row_mask:0xf bank_mask:0xf
	s_cselect_b32 s3, s3, s20
	s_cselect_b32 s20, s21, s2
	s_delay_alu instid0(VALU_DEP_1) | instskip(NEXT) | instid1(VALU_DEP_1)
	v_cmp_gt_f32_e64 s2, v40, v41
	v_cndmask_b32_e64 v40, v41, v40, s2
	s_add_i32 s2, s3, 1
	s_cmp_ge_u32 s20, s35
	s_cselect_b32 s2, s2, s3
	s_delay_alu instid0(VALU_DEP_1) | instskip(SKIP_1) | instid1(SALU_CYCLE_1)
	v_mov_b32_dpp v41, v40 row_xmask:7 row_mask:0xf bank_mask:0xf
	s_xor_b32 s2, s2, s28
	s_sub_i32 s3, s2, s28
	s_delay_alu instid0(VALU_DEP_1) | instskip(NEXT) | instid1(VALU_DEP_1)
	v_cmp_gt_f32_e64 s2, v40, v41
	v_cndmask_b32_e64 v40, v41, v40, s2
	s_mul_i32 s2, s3, s5
	s_mul_i32 s3, s3, s9
	s_sub_i32 s2, s4, s2
	s_delay_alu instid0(VALU_DEP_1) | instskip(SKIP_1) | instid1(SALU_CYCLE_1)
	v_mul_f32_e32 v40, 0x3b124925, v40
	s_mul_i32 s2, s2, s10
	s_add_i32 s2, s2, s3
	s_and_saveexec_b32 s20, s0
	s_cbranch_execz .LBB78_16
; %bb.15:                               ;   in Loop: Header=BB78_10 Depth=1
	s_ashr_i32 s3, s2, 31
	s_delay_alu instid0(SALU_CYCLE_1) | instskip(NEXT) | instid1(SALU_CYCLE_1)
	s_lshl_b64 s[28:29], s[2:3], 2
	s_add_u32 s28, s14, s28
	s_addc_u32 s29, s15, s29
	global_store_b32 v5, v40, s[28:29]
.LBB78_16:                              ;   in Loop: Header=BB78_10 Depth=1
	s_or_b32 exec_lo, exec_lo, s20
	s_and_saveexec_b32 s3, s1
	s_cbranch_execz .LBB78_9
; %bb.17:                               ;   in Loop: Header=BB78_10 Depth=1
	v_rcp_f32_e32 v40, v40
	s_mul_i32 s20, s2, s33
	s_mul_hi_i32 s2, s2, s33
	s_add_u32 s28, s12, s20
	s_addc_u32 s2, s13, s2
	s_mov_b32 s31, s23
	s_and_b32 s29, s2, 0xffff
	s_waitcnt_depctr 0xfff
	v_mul_f32_e32 v38, v38, v40
	v_mul_f32_e32 v39, v39, v40
	v_mul_f32_e32 v36, v36, v40
	v_mul_f32_e32 v37, v37, v40
	v_mul_f32_e32 v41, v31, v40
	;;#ASMSTART
	v_med3_f32 v38, v38, v6, v7
v_med3_f32 v39, v39, v6, v7
v_cvt_pk_fp8_f32 v31, v38, v39
	;;#ASMEND
	;;#ASMSTART
	v_med3_f32 v36, v36, v6, v7
v_med3_f32 v37, v37, v6, v7
v_cvt_pk_fp8_f32 v38, v36, v37
	;;#ASMEND
	v_perm_b32 v36, v38, v31, 0x5040100
	v_mul_f32_e32 v34, v34, v40
	v_mul_f32_e32 v35, v35, v40
	;; [unrolled: 1-line block ×5, first 2 shown]
	;;#ASMSTART
	v_med3_f32 v34, v34, v6, v7
v_med3_f32 v35, v35, v6, v7
v_cvt_pk_fp8_f32 v30, v34, v35
	;;#ASMEND
	;;#ASMSTART
	v_med3_f32 v32, v32, v6, v7
v_med3_f32 v33, v33, v6, v7
v_cvt_pk_fp8_f32 v31, v32, v33
	;;#ASMEND
	v_mul_f32_e32 v28, v28, v40
	v_mul_f32_e32 v29, v29, v40
	;; [unrolled: 1-line block ×4, first 2 shown]
	;;#ASMSTART
	v_med3_f32 v41, v41, v6, v7
v_med3_f32 v37, v37, v6, v7
v_cvt_pk_fp8_f32 v32, v41, v37
	;;#ASMEND
	;;#ASMSTART
	v_med3_f32 v28, v28, v6, v7
v_med3_f32 v29, v29, v6, v7
v_cvt_pk_fp8_f32 v33, v28, v29
	;;#ASMEND
	v_mul_f32_e32 v24, v24, v40
	v_mul_f32_e32 v27, v27, v40
	;;#ASMSTART
	v_med3_f32 v25, v25, v6, v7
v_med3_f32 v26, v26, v6, v7
v_cvt_pk_fp8_f32 v28, v25, v26
	;;#ASMEND
	v_perm_b32 v31, v30, v31, 0x1000504
	v_perm_b32 v30, v36, v38, 0x1060504
	;; [unrolled: 1-line block ×3, first 2 shown]
	;;#ASMSTART
	v_med3_f32 v24, v24, v6, v7
v_med3_f32 v27, v27, v6, v7
v_cvt_pk_fp8_f32 v25, v24, v27
	;;#ASMEND
	v_perm_b32 v33, v28, v25, 0x1000504
	buffer_store_b128 v[30:33], v0, s[28:31], 0 offen
	;;#ASMSTART
	s_nop 0
	;;#ASMEND
	s_branch .LBB78_9
.LBB78_18:
	s_nop 0
	s_sendmsg sendmsg(MSG_DEALLOC_VGPRS)
	s_endpgm
.LBB78_19:
                                        ; implicit-def: $sgpr4
	s_branch .LBB78_2
	.section	.rodata,"a",@progbits
	.p2align	6, 0x0
	.amdhsa_kernel _ZN5aiter36smooth_per_token_scaled_quant_kernelIDF16_DB8_Li256ELi16ELb1ELb0ELb0ELi1024EEEvPT0_PfPT_S4_PiS7_iiPKiiiiiiiii
		.amdhsa_group_segment_fixed_size 32
		.amdhsa_private_segment_fixed_size 0
		.amdhsa_kernarg_size 96
		.amdhsa_user_sgpr_count 15
		.amdhsa_user_sgpr_dispatch_ptr 0
		.amdhsa_user_sgpr_queue_ptr 0
		.amdhsa_user_sgpr_kernarg_segment_ptr 1
		.amdhsa_user_sgpr_dispatch_id 0
		.amdhsa_user_sgpr_private_segment_size 0
		.amdhsa_wavefront_size32 1
		.amdhsa_uses_dynamic_stack 0
		.amdhsa_enable_private_segment 0
		.amdhsa_system_sgpr_workgroup_id_x 1
		.amdhsa_system_sgpr_workgroup_id_y 0
		.amdhsa_system_sgpr_workgroup_id_z 0
		.amdhsa_system_sgpr_workgroup_info 0
		.amdhsa_system_vgpr_workitem_id 0
		.amdhsa_next_free_vgpr 48
		.amdhsa_next_free_sgpr 40
		.amdhsa_reserve_vcc 1
		.amdhsa_float_round_mode_32 0
		.amdhsa_float_round_mode_16_64 0
		.amdhsa_float_denorm_mode_32 3
		.amdhsa_float_denorm_mode_16_64 3
		.amdhsa_dx10_clamp 1
		.amdhsa_ieee_mode 1
		.amdhsa_fp16_overflow 0
		.amdhsa_workgroup_processor_mode 1
		.amdhsa_memory_ordered 1
		.amdhsa_forward_progress 0
		.amdhsa_shared_vgpr_count 0
		.amdhsa_exception_fp_ieee_invalid_op 0
		.amdhsa_exception_fp_denorm_src 0
		.amdhsa_exception_fp_ieee_div_zero 0
		.amdhsa_exception_fp_ieee_overflow 0
		.amdhsa_exception_fp_ieee_underflow 0
		.amdhsa_exception_fp_ieee_inexact 0
		.amdhsa_exception_int_div_zero 0
	.end_amdhsa_kernel
	.section	.text._ZN5aiter36smooth_per_token_scaled_quant_kernelIDF16_DB8_Li256ELi16ELb1ELb0ELb0ELi1024EEEvPT0_PfPT_S4_PiS7_iiPKiiiiiiiii,"axG",@progbits,_ZN5aiter36smooth_per_token_scaled_quant_kernelIDF16_DB8_Li256ELi16ELb1ELb0ELb0ELi1024EEEvPT0_PfPT_S4_PiS7_iiPKiiiiiiiii,comdat
.Lfunc_end78:
	.size	_ZN5aiter36smooth_per_token_scaled_quant_kernelIDF16_DB8_Li256ELi16ELb1ELb0ELb0ELi1024EEEvPT0_PfPT_S4_PiS7_iiPKiiiiiiiii, .Lfunc_end78-_ZN5aiter36smooth_per_token_scaled_quant_kernelIDF16_DB8_Li256ELi16ELb1ELb0ELb0ELi1024EEEvPT0_PfPT_S4_PiS7_iiPKiiiiiiiii
                                        ; -- End function
	.section	.AMDGPU.csdata,"",@progbits
; Kernel info:
; codeLenInByte = 2196
; NumSgprs: 42
; NumVgprs: 48
; ScratchSize: 0
; MemoryBound: 0
; FloatMode: 240
; IeeeMode: 1
; LDSByteSize: 32 bytes/workgroup (compile time only)
; SGPRBlocks: 5
; VGPRBlocks: 5
; NumSGPRsForWavesPerEU: 42
; NumVGPRsForWavesPerEU: 48
; Occupancy: 16
; WaveLimiterHint : 0
; COMPUTE_PGM_RSRC2:SCRATCH_EN: 0
; COMPUTE_PGM_RSRC2:USER_SGPR: 15
; COMPUTE_PGM_RSRC2:TRAP_HANDLER: 0
; COMPUTE_PGM_RSRC2:TGID_X_EN: 1
; COMPUTE_PGM_RSRC2:TGID_Y_EN: 0
; COMPUTE_PGM_RSRC2:TGID_Z_EN: 0
; COMPUTE_PGM_RSRC2:TIDIG_COMP_CNT: 0
	.section	.text._ZN5aiter36smooth_per_token_scaled_quant_kernelItDB8_Li256ELi16ELb1ELb0ELb0ELi1024EEEvPT0_PfPT_S4_PiS7_iiPKiiiiiiiii,"axG",@progbits,_ZN5aiter36smooth_per_token_scaled_quant_kernelItDB8_Li256ELi16ELb1ELb0ELb0ELi1024EEEvPT0_PfPT_S4_PiS7_iiPKiiiiiiiii,comdat
	.protected	_ZN5aiter36smooth_per_token_scaled_quant_kernelItDB8_Li256ELi16ELb1ELb0ELb0ELi1024EEEvPT0_PfPT_S4_PiS7_iiPKiiiiiiiii ; -- Begin function _ZN5aiter36smooth_per_token_scaled_quant_kernelItDB8_Li256ELi16ELb1ELb0ELb0ELi1024EEEvPT0_PfPT_S4_PiS7_iiPKiiiiiiiii
	.globl	_ZN5aiter36smooth_per_token_scaled_quant_kernelItDB8_Li256ELi16ELb1ELb0ELb0ELi1024EEEvPT0_PfPT_S4_PiS7_iiPKiiiiiiiii
	.p2align	8
	.type	_ZN5aiter36smooth_per_token_scaled_quant_kernelItDB8_Li256ELi16ELb1ELb0ELb0ELi1024EEEvPT0_PfPT_S4_PiS7_iiPKiiiiiiiii,@function
_ZN5aiter36smooth_per_token_scaled_quant_kernelItDB8_Li256ELi16ELb1ELb0ELb0ELi1024EEEvPT0_PfPT_S4_PiS7_iiPKiiiiiiiii: ; @_ZN5aiter36smooth_per_token_scaled_quant_kernelItDB8_Li256ELi16ELb1ELb0ELb0ELi1024EEEvPT0_PfPT_S4_PiS7_iiPKiiiiiiiii
; %bb.0:
	s_clause 0x1
	s_load_b64 s[2:3], s[0:1], 0x38
	s_load_b256 s[4:11], s[0:1], 0x40
	s_waitcnt lgkmcnt(0)
	s_cmp_lg_u64 s[2:3], 0
	s_cbranch_scc0 .LBB79_19
; %bb.1:
	s_load_b32 s2, s[2:3], 0x0
	s_waitcnt lgkmcnt(0)
	s_mul_i32 s4, s2, s4
	s_cbranch_execnz .LBB79_3
.LBB79_2:
	s_mul_i32 s4, s6, s5
.LBB79_3:
	s_load_b64 s[2:3], s[0:1], 0x30
	s_abs_i32 s14, s4
	s_waitcnt lgkmcnt(0)
	s_abs_i32 s11, s2
	s_delay_alu instid0(SALU_CYCLE_1) | instskip(SKIP_1) | instid1(VALU_DEP_1)
	v_cvt_f32_u32_e32 v1, s11
	s_sub_i32 s13, 0, s11
	v_rcp_iflag_f32_e32 v1, v1
	s_waitcnt_depctr 0xfff
	v_mul_f32_e32 v1, 0x4f7ffffe, v1
	s_delay_alu instid0(VALU_DEP_1) | instskip(NEXT) | instid1(VALU_DEP_1)
	v_cvt_u32_f32_e32 v1, v1
	v_readfirstlane_b32 s12, v1
	s_delay_alu instid0(VALU_DEP_1) | instskip(NEXT) | instid1(SALU_CYCLE_1)
	s_mul_i32 s13, s13, s12
	s_mul_hi_u32 s13, s12, s13
	s_delay_alu instid0(SALU_CYCLE_1) | instskip(SKIP_4) | instid1(SALU_CYCLE_1)
	s_add_i32 s12, s12, s13
	s_xor_b32 s13, s4, s2
	s_mul_hi_u32 s12, s14, s12
	s_ashr_i32 s13, s13, 31
	s_mul_i32 s16, s12, s11
	s_sub_i32 s14, s14, s16
	s_add_i32 s16, s12, 1
	s_sub_i32 s17, s14, s11
	s_cmp_ge_u32 s14, s11
	s_cselect_b32 s12, s16, s12
	s_cselect_b32 s14, s17, s14
	s_add_i32 s16, s12, 1
	s_cmp_ge_u32 s14, s11
	s_cselect_b32 s11, s16, s12
	s_delay_alu instid0(SALU_CYCLE_1) | instskip(NEXT) | instid1(SALU_CYCLE_1)
	s_xor_b32 s11, s11, s13
	s_sub_i32 s11, s11, s13
	s_mov_b32 s13, 0
	s_mul_i32 s2, s11, s2
	s_delay_alu instid0(SALU_CYCLE_1) | instskip(NEXT) | instid1(SALU_CYCLE_1)
	s_sub_i32 s4, s4, s2
	s_cmp_lt_u32 s15, s4
	s_cselect_b32 s2, -1, 0
	s_add_i32 s12, s11, 1
	s_cmp_ge_u32 s15, s4
	s_cbranch_scc0 .LBB79_5
; %bb.4:
	s_sub_i32 s14, s15, s4
	s_mul_i32 s4, s4, s12
	s_mul_i32 s14, s14, s11
	s_delay_alu instid0(SALU_CYCLE_1)
	s_add_i32 s4, s14, s4
	s_and_not1_b32 vcc_lo, exec_lo, s13
	s_cbranch_vccz .LBB79_6
	s_branch .LBB79_7
.LBB79_5:
                                        ; implicit-def: $sgpr4
.LBB79_6:
	s_mul_i32 s4, s12, s15
.LBB79_7:
	v_cndmask_b32_e64 v1, 0, 1, s2
	s_delay_alu instid0(VALU_DEP_1) | instskip(NEXT) | instid1(VALU_DEP_1)
	v_readfirstlane_b32 s2, v1
	s_add_i32 s11, s11, s2
	s_delay_alu instid0(SALU_CYCLE_1)
	s_cmp_lt_i32 s11, 1
	s_cbranch_scc1 .LBB79_18
; %bb.8:
	s_abs_i32 s34, s6
	s_abs_i32 s35, s5
	v_cvt_f32_u32_e32 v6, s34
	v_cvt_f32_u32_e32 v7, s35
	v_and_b32_e32 v3, 31, v0
	v_lshrrev_b32_e32 v4, 3, v0
	v_and_b32_e32 v5, 7, v0
	v_rcp_iflag_f32_e32 v6, v6
	v_rcp_iflag_f32_e32 v7, v7
	s_load_b256 s[12:19], s[0:1], 0x0
	s_add_i32 s1, s3, 15
	v_lshlrev_b32_e32 v2, 6, v0
	s_ashr_i32 s0, s1, 31
	v_cmp_eq_u32_e32 vcc_lo, 31, v3
	v_and_b32_e32 v3, 0x7c, v4
	v_lshlrev_b32_e32 v4, 2, v5
	s_lshr_b32 s2, s0, 28
	s_waitcnt_depctr 0xfff
	v_mul_f32_e32 v5, 0x4f7ffffe, v6
	v_dual_mul_f32 v6, 0x4f7ffffe, v7 :: v_dual_lshlrev_b32 v1, 5, v0
	s_add_i32 s1, s1, s2
	s_add_i32 s2, s3, 3
	s_mov_b32 s33, s3
	s_lshl_b32 s22, s3, 1
	s_lshl_b32 s26, s3, 2
	s_ashr_i32 s3, s2, 31
	v_cvt_u32_f32_e32 v5, v5
	s_lshr_b32 s3, s3, 30
	v_cvt_u32_f32_e32 v6, v6
	s_add_i32 s2, s2, s3
	s_sub_i32 s3, 0, s34
	s_and_b32 s30, s2, -4
	v_readfirstlane_b32 s2, v5
	v_readfirstlane_b32 s20, v6
	s_sub_i32 s21, 0, s35
	s_ashr_i32 s1, s1, 4
	v_cmp_eq_u32_e64 s0, 0, v0
	s_mul_i32 s3, s3, s2
	s_mul_i32 s21, s21, s20
	s_mul_hi_u32 s3, s2, s3
	v_cmp_gt_u32_e64 s1, s1, v0
	v_dual_mov_b32 v7, 0x43e00000 :: v_dual_lshlrev_b32 v0, 4, v0
	v_dual_mov_b32 v5, 0 :: v_dual_mov_b32 v6, 0xc3e00000
	s_mov_b32 s23, -1
	s_waitcnt lgkmcnt(0)
	s_and_b32 s19, s19, 0xffff
	s_add_i32 s37, s2, s3
	s_mul_hi_u32 s2, s20, s21
	s_mov_b32 s27, s23
	s_ashr_i32 s36, s6, 31
	s_ashr_i32 s38, s5, 31
	s_add_i32 s39, s20, s2
	s_mov_b32 s24, s18
	s_mov_b32 s25, s19
	s_mov_b32 s18, 0x76543210
	s_mov_b32 s19, s23
                                        ; implicit-def: $vgpr8
                                        ; implicit-def: $vgpr9
                                        ; implicit-def: $vgpr10
                                        ; implicit-def: $vgpr11
                                        ; implicit-def: $vgpr12
                                        ; implicit-def: $vgpr13
                                        ; implicit-def: $vgpr14
                                        ; implicit-def: $vgpr15
                                        ; implicit-def: $vgpr16
                                        ; implicit-def: $vgpr17
                                        ; implicit-def: $vgpr18
                                        ; implicit-def: $vgpr19
                                        ; implicit-def: $vgpr20
                                        ; implicit-def: $vgpr21
                                        ; implicit-def: $vgpr22
                                        ; implicit-def: $vgpr23
	s_branch .LBB79_10
.LBB79_9:                               ;   in Loop: Header=BB79_10 Depth=1
	s_or_b32 exec_lo, exec_lo, s3
	s_add_i32 s11, s11, -1
	s_add_i32 s4, s4, 1
	s_cmp_eq_u32 s11, 0
	s_cbranch_scc1 .LBB79_18
.LBB79_10:                              ; =>This Inner Loop Header: Depth=1
	s_abs_i32 s3, s4
	s_ashr_i32 s28, s4, 31
	s_mul_hi_u32 s2, s3, s37
	s_xor_b32 s21, s28, s36
	s_mul_i32 s20, s2, s34
	s_add_i32 s29, s2, 1
	s_sub_i32 s20, s3, s20
	s_delay_alu instid0(SALU_CYCLE_1)
	s_sub_i32 s31, s20, s34
	s_cmp_ge_u32 s20, s34
	s_cselect_b32 s2, s29, s2
	s_cselect_b32 s20, s31, s20
	s_add_i32 s29, s2, 1
	s_cmp_ge_u32 s20, s34
	s_cselect_b32 s2, s29, s2
	s_delay_alu instid0(SALU_CYCLE_1) | instskip(NEXT) | instid1(SALU_CYCLE_1)
	s_xor_b32 s2, s2, s21
	s_sub_i32 s2, s2, s21
	s_delay_alu instid0(SALU_CYCLE_1) | instskip(SKIP_2) | instid1(SALU_CYCLE_1)
	s_mul_i32 s20, s2, s6
	s_mul_i32 s2, s2, s7
	s_sub_i32 s20, s4, s20
	s_mul_i32 s20, s20, s8
	s_delay_alu instid0(SALU_CYCLE_1) | instskip(NEXT) | instid1(SALU_CYCLE_1)
	s_add_i32 s2, s20, s2
	s_cmp_eq_u32 s2, s19
	s_cbranch_scc1 .LBB79_12
; %bb.11:                               ;   in Loop: Header=BB79_10 Depth=1
	s_mul_hi_i32 s21, s2, s33
	s_mul_i32 s20, s2, s33
	s_delay_alu instid0(SALU_CYCLE_1) | instskip(NEXT) | instid1(SALU_CYCLE_1)
	s_lshl_b64 s[20:21], s[20:21], 1
	s_add_u32 s20, s16, s20
	s_addc_u32 s19, s17, s21
	s_delay_alu instid0(SALU_CYCLE_1)
	s_and_b32 s21, s19, 0xffff
	s_clause 0x1
	buffer_load_b128 v[8:11], v1, s[20:23], 0 offen
	buffer_load_b128 v[12:15], v1, s[20:23], 16 offen
	s_mov_b32 s19, s2
	s_waitcnt vmcnt(1)
	v_and_b32_e32 v16, 0xffff, v8
	v_lshrrev_b32_e32 v17, 16, v8
	v_and_b32_e32 v18, 0xffff, v9
	v_lshrrev_b32_e32 v19, 16, v9
	;; [unrolled: 2-line block ×4, first 2 shown]
	s_waitcnt vmcnt(0)
	v_and_b32_e32 v24, 0xffff, v12
	v_lshrrev_b32_e32 v25, 16, v12
	v_and_b32_e32 v26, 0xffff, v13
	v_lshrrev_b32_e32 v27, 16, v13
	;; [unrolled: 2-line block ×4, first 2 shown]
	v_cvt_f32_u32_e32 v8, v16
	v_cvt_f32_u32_e32 v9, v17
	;; [unrolled: 1-line block ×16, first 2 shown]
.LBB79_12:                              ;   in Loop: Header=BB79_10 Depth=1
	s_clause 0x3
	buffer_load_b128 v[24:27], v2, s[24:27], 0 offen
	buffer_load_b128 v[28:31], v2, s[24:27], 16 offen
	;; [unrolled: 1-line block ×4, first 2 shown]
	s_waitcnt vmcnt(3)
	v_dual_mul_f32 v38, v8, v24 :: v_dual_mul_f32 v39, v9, v25
	v_dual_mul_f32 v36, v10, v26 :: v_dual_mul_f32 v37, v11, v27
	s_waitcnt vmcnt(2)
	v_dual_mul_f32 v34, v12, v28 :: v_dual_mul_f32 v35, v13, v29
	s_delay_alu instid0(VALU_DEP_3) | instskip(SKIP_3) | instid1(VALU_DEP_3)
	v_max3_f32 v24, |v38|, 0x2edbe6ff, |v39|
	v_dual_mul_f32 v32, v14, v30 :: v_dual_mul_f32 v33, v15, v31
	s_waitcnt vmcnt(1)
	v_dual_mul_f32 v31, v16, v40 :: v_dual_mul_f32 v30, v17, v41
	v_max3_f32 v24, v24, |v36|, |v37|
	v_dual_mul_f32 v28, v18, v42 :: v_dual_mul_f32 v29, v19, v43
	s_waitcnt vmcnt(0)
	v_dual_mul_f32 v25, v20, v44 :: v_dual_mul_f32 v26, v21, v45
	s_delay_alu instid0(VALU_DEP_3) | instskip(SKIP_1) | instid1(VALU_DEP_2)
	v_max3_f32 v24, v24, |v34|, |v35|
	v_mul_f32_e32 v27, v23, v47
	v_max3_f32 v24, v24, |v32|, |v33|
	s_delay_alu instid0(VALU_DEP_1) | instskip(NEXT) | instid1(VALU_DEP_1)
	v_max3_f32 v24, v24, |v31|, |v30|
	v_max3_f32 v40, v24, |v28|, |v29|
	v_mul_f32_e32 v24, v22, v46
	s_delay_alu instid0(VALU_DEP_2) | instskip(NEXT) | instid1(VALU_DEP_1)
	v_max3_f32 v40, v40, |v25|, |v26|
	v_max3_f32 v40, v40, |v24|, |v27|
	s_delay_alu instid0(VALU_DEP_1) | instskip(NEXT) | instid1(VALU_DEP_1)
	v_mov_b32_dpp v41, v40 quad_perm:[1,0,3,2] row_mask:0xf bank_mask:0xf
	v_cmp_gt_f32_e64 s2, v40, v41
	s_delay_alu instid0(VALU_DEP_1) | instskip(NEXT) | instid1(VALU_DEP_1)
	v_cndmask_b32_e64 v40, v41, v40, s2
	v_mov_b32_dpp v41, v40 quad_perm:[2,3,0,1] row_mask:0xf bank_mask:0xf
	s_delay_alu instid0(VALU_DEP_1) | instskip(NEXT) | instid1(VALU_DEP_1)
	v_cmp_gt_f32_e64 s2, v40, v41
	v_cndmask_b32_e64 v40, v41, v40, s2
	s_delay_alu instid0(VALU_DEP_1) | instskip(NEXT) | instid1(VALU_DEP_1)
	v_mov_b32_dpp v41, v40 row_xmask:7 row_mask:0xf bank_mask:0xf
	v_cmp_gt_f32_e64 s2, v40, v41
	s_delay_alu instid0(VALU_DEP_1) | instskip(NEXT) | instid1(VALU_DEP_1)
	v_cndmask_b32_e64 v40, v41, v40, s2
	v_mov_b32_dpp v41, v40 row_xmask:15 row_mask:0xf bank_mask:0xf
	s_delay_alu instid0(VALU_DEP_1)
	v_cmp_gt_f32_e64 s2, v40, v41
	s_and_saveexec_b32 s20, vcc_lo
	s_cbranch_execz .LBB79_14
; %bb.13:                               ;   in Loop: Header=BB79_10 Depth=1
	s_delay_alu instid0(VALU_DEP_1) | instskip(NEXT) | instid1(VALU_DEP_1)
	v_cndmask_b32_e64 v40, v41, v40, s2
	v_permlanex16_b32 v41, v40, s18, 0xfedcba98 op_sel:[1,1]
	s_delay_alu instid0(VALU_DEP_1) | instskip(NEXT) | instid1(VALU_DEP_1)
	v_cmp_gt_f32_e64 s2, v40, v41
	v_cndmask_b32_e64 v40, v41, v40, s2
	ds_store_b32 v3, v40
.LBB79_14:                              ;   in Loop: Header=BB79_10 Depth=1
	s_or_b32 exec_lo, exec_lo, s20
	s_waitcnt lgkmcnt(0)
	s_waitcnt_vscnt null, 0x0
	s_barrier
	buffer_gl0_inv
	ds_load_b32 v40, v4
	s_mul_hi_u32 s20, s3, s39
	s_xor_b32 s28, s28, s38
	s_mul_i32 s21, s20, s35
	s_waitcnt lgkmcnt(0)
	v_mov_b32_dpp v41, v40 quad_perm:[1,0,3,2] row_mask:0xf bank_mask:0xf
	s_delay_alu instid0(VALU_DEP_1) | instskip(NEXT) | instid1(VALU_DEP_1)
	v_cmp_gt_f32_e64 s2, v40, v41
	v_cndmask_b32_e64 v40, v41, v40, s2
	s_sub_i32 s2, s3, s21
	s_add_i32 s3, s20, 1
	s_sub_i32 s21, s2, s35
	s_cmp_ge_u32 s2, s35
	v_mov_b32_dpp v41, v40 quad_perm:[2,3,0,1] row_mask:0xf bank_mask:0xf
	s_cselect_b32 s3, s3, s20
	s_cselect_b32 s20, s21, s2
	s_delay_alu instid0(VALU_DEP_1) | instskip(NEXT) | instid1(VALU_DEP_1)
	v_cmp_gt_f32_e64 s2, v40, v41
	v_cndmask_b32_e64 v40, v41, v40, s2
	s_add_i32 s2, s3, 1
	s_cmp_ge_u32 s20, s35
	s_cselect_b32 s2, s2, s3
	s_delay_alu instid0(VALU_DEP_1) | instskip(SKIP_1) | instid1(SALU_CYCLE_1)
	v_mov_b32_dpp v41, v40 row_xmask:7 row_mask:0xf bank_mask:0xf
	s_xor_b32 s2, s2, s28
	s_sub_i32 s3, s2, s28
	s_delay_alu instid0(VALU_DEP_1) | instskip(NEXT) | instid1(VALU_DEP_1)
	v_cmp_gt_f32_e64 s2, v40, v41
	v_cndmask_b32_e64 v40, v41, v40, s2
	s_mul_i32 s2, s3, s5
	s_mul_i32 s3, s3, s9
	s_sub_i32 s2, s4, s2
	s_delay_alu instid0(VALU_DEP_1) | instskip(SKIP_1) | instid1(SALU_CYCLE_1)
	v_mul_f32_e32 v40, 0x3b124925, v40
	s_mul_i32 s2, s2, s10
	s_add_i32 s2, s2, s3
	s_and_saveexec_b32 s20, s0
	s_cbranch_execz .LBB79_16
; %bb.15:                               ;   in Loop: Header=BB79_10 Depth=1
	s_ashr_i32 s3, s2, 31
	s_delay_alu instid0(SALU_CYCLE_1) | instskip(NEXT) | instid1(SALU_CYCLE_1)
	s_lshl_b64 s[28:29], s[2:3], 2
	s_add_u32 s28, s14, s28
	s_addc_u32 s29, s15, s29
	global_store_b32 v5, v40, s[28:29]
.LBB79_16:                              ;   in Loop: Header=BB79_10 Depth=1
	s_or_b32 exec_lo, exec_lo, s20
	s_and_saveexec_b32 s3, s1
	s_cbranch_execz .LBB79_9
; %bb.17:                               ;   in Loop: Header=BB79_10 Depth=1
	v_rcp_f32_e32 v40, v40
	s_mul_i32 s20, s2, s33
	s_mul_hi_i32 s2, s2, s33
	s_add_u32 s28, s12, s20
	s_addc_u32 s2, s13, s2
	s_mov_b32 s31, s23
	s_and_b32 s29, s2, 0xffff
	s_waitcnt_depctr 0xfff
	v_mul_f32_e32 v38, v38, v40
	v_mul_f32_e32 v39, v39, v40
	;; [unrolled: 1-line block ×5, first 2 shown]
	;;#ASMSTART
	v_med3_f32 v38, v38, v6, v7
v_med3_f32 v39, v39, v6, v7
v_cvt_pk_fp8_f32 v31, v38, v39
	;;#ASMEND
	;;#ASMSTART
	v_med3_f32 v36, v36, v6, v7
v_med3_f32 v37, v37, v6, v7
v_cvt_pk_fp8_f32 v38, v36, v37
	;;#ASMEND
	v_perm_b32 v36, v38, v31, 0x5040100
	v_mul_f32_e32 v34, v34, v40
	v_mul_f32_e32 v35, v35, v40
	;; [unrolled: 1-line block ×5, first 2 shown]
	;;#ASMSTART
	v_med3_f32 v34, v34, v6, v7
v_med3_f32 v35, v35, v6, v7
v_cvt_pk_fp8_f32 v30, v34, v35
	;;#ASMEND
	;;#ASMSTART
	v_med3_f32 v32, v32, v6, v7
v_med3_f32 v33, v33, v6, v7
v_cvt_pk_fp8_f32 v31, v32, v33
	;;#ASMEND
	v_mul_f32_e32 v28, v28, v40
	v_mul_f32_e32 v29, v29, v40
	;; [unrolled: 1-line block ×4, first 2 shown]
	;;#ASMSTART
	v_med3_f32 v41, v41, v6, v7
v_med3_f32 v37, v37, v6, v7
v_cvt_pk_fp8_f32 v32, v41, v37
	;;#ASMEND
	;;#ASMSTART
	v_med3_f32 v28, v28, v6, v7
v_med3_f32 v29, v29, v6, v7
v_cvt_pk_fp8_f32 v33, v28, v29
	;;#ASMEND
	v_mul_f32_e32 v24, v24, v40
	v_mul_f32_e32 v27, v27, v40
	;;#ASMSTART
	v_med3_f32 v25, v25, v6, v7
v_med3_f32 v26, v26, v6, v7
v_cvt_pk_fp8_f32 v28, v25, v26
	;;#ASMEND
	v_perm_b32 v31, v30, v31, 0x1000504
	v_perm_b32 v30, v36, v38, 0x1060504
	;; [unrolled: 1-line block ×3, first 2 shown]
	;;#ASMSTART
	v_med3_f32 v24, v24, v6, v7
v_med3_f32 v27, v27, v6, v7
v_cvt_pk_fp8_f32 v25, v24, v27
	;;#ASMEND
	v_perm_b32 v33, v28, v25, 0x1000504
	buffer_store_b128 v[30:33], v0, s[28:31], 0 offen
	;;#ASMSTART
	s_nop 0
	;;#ASMEND
	s_branch .LBB79_9
.LBB79_18:
	s_nop 0
	s_sendmsg sendmsg(MSG_DEALLOC_VGPRS)
	s_endpgm
.LBB79_19:
                                        ; implicit-def: $sgpr4
	s_branch .LBB79_2
	.section	.rodata,"a",@progbits
	.p2align	6, 0x0
	.amdhsa_kernel _ZN5aiter36smooth_per_token_scaled_quant_kernelItDB8_Li256ELi16ELb1ELb0ELb0ELi1024EEEvPT0_PfPT_S4_PiS7_iiPKiiiiiiiii
		.amdhsa_group_segment_fixed_size 32
		.amdhsa_private_segment_fixed_size 0
		.amdhsa_kernarg_size 96
		.amdhsa_user_sgpr_count 15
		.amdhsa_user_sgpr_dispatch_ptr 0
		.amdhsa_user_sgpr_queue_ptr 0
		.amdhsa_user_sgpr_kernarg_segment_ptr 1
		.amdhsa_user_sgpr_dispatch_id 0
		.amdhsa_user_sgpr_private_segment_size 0
		.amdhsa_wavefront_size32 1
		.amdhsa_uses_dynamic_stack 0
		.amdhsa_enable_private_segment 0
		.amdhsa_system_sgpr_workgroup_id_x 1
		.amdhsa_system_sgpr_workgroup_id_y 0
		.amdhsa_system_sgpr_workgroup_id_z 0
		.amdhsa_system_sgpr_workgroup_info 0
		.amdhsa_system_vgpr_workitem_id 0
		.amdhsa_next_free_vgpr 48
		.amdhsa_next_free_sgpr 40
		.amdhsa_reserve_vcc 1
		.amdhsa_float_round_mode_32 0
		.amdhsa_float_round_mode_16_64 0
		.amdhsa_float_denorm_mode_32 3
		.amdhsa_float_denorm_mode_16_64 3
		.amdhsa_dx10_clamp 1
		.amdhsa_ieee_mode 1
		.amdhsa_fp16_overflow 0
		.amdhsa_workgroup_processor_mode 1
		.amdhsa_memory_ordered 1
		.amdhsa_forward_progress 0
		.amdhsa_shared_vgpr_count 0
		.amdhsa_exception_fp_ieee_invalid_op 0
		.amdhsa_exception_fp_denorm_src 0
		.amdhsa_exception_fp_ieee_div_zero 0
		.amdhsa_exception_fp_ieee_overflow 0
		.amdhsa_exception_fp_ieee_underflow 0
		.amdhsa_exception_fp_ieee_inexact 0
		.amdhsa_exception_int_div_zero 0
	.end_amdhsa_kernel
	.section	.text._ZN5aiter36smooth_per_token_scaled_quant_kernelItDB8_Li256ELi16ELb1ELb0ELb0ELi1024EEEvPT0_PfPT_S4_PiS7_iiPKiiiiiiiii,"axG",@progbits,_ZN5aiter36smooth_per_token_scaled_quant_kernelItDB8_Li256ELi16ELb1ELb0ELb0ELi1024EEEvPT0_PfPT_S4_PiS7_iiPKiiiiiiiii,comdat
.Lfunc_end79:
	.size	_ZN5aiter36smooth_per_token_scaled_quant_kernelItDB8_Li256ELi16ELb1ELb0ELb0ELi1024EEEvPT0_PfPT_S4_PiS7_iiPKiiiiiiiii, .Lfunc_end79-_ZN5aiter36smooth_per_token_scaled_quant_kernelItDB8_Li256ELi16ELb1ELb0ELb0ELi1024EEEvPT0_PfPT_S4_PiS7_iiPKiiiiiiiii
                                        ; -- End function
	.section	.AMDGPU.csdata,"",@progbits
; Kernel info:
; codeLenInByte = 2260
; NumSgprs: 42
; NumVgprs: 48
; ScratchSize: 0
; MemoryBound: 0
; FloatMode: 240
; IeeeMode: 1
; LDSByteSize: 32 bytes/workgroup (compile time only)
; SGPRBlocks: 5
; VGPRBlocks: 5
; NumSGPRsForWavesPerEU: 42
; NumVGPRsForWavesPerEU: 48
; Occupancy: 16
; WaveLimiterHint : 0
; COMPUTE_PGM_RSRC2:SCRATCH_EN: 0
; COMPUTE_PGM_RSRC2:USER_SGPR: 15
; COMPUTE_PGM_RSRC2:TRAP_HANDLER: 0
; COMPUTE_PGM_RSRC2:TGID_X_EN: 1
; COMPUTE_PGM_RSRC2:TGID_Y_EN: 0
; COMPUTE_PGM_RSRC2:TGID_Z_EN: 0
; COMPUTE_PGM_RSRC2:TIDIG_COMP_CNT: 0
	.section	.text._ZN5aiter36smooth_per_token_scaled_quant_kernelIDF16_DB8_Li256ELi16ELb0ELb1ELb1ELi1024EEEvPT0_PfPT_S4_PiS7_iiPKiiiiiiiii,"axG",@progbits,_ZN5aiter36smooth_per_token_scaled_quant_kernelIDF16_DB8_Li256ELi16ELb0ELb1ELb1ELi1024EEEvPT0_PfPT_S4_PiS7_iiPKiiiiiiiii,comdat
	.protected	_ZN5aiter36smooth_per_token_scaled_quant_kernelIDF16_DB8_Li256ELi16ELb0ELb1ELb1ELi1024EEEvPT0_PfPT_S4_PiS7_iiPKiiiiiiiii ; -- Begin function _ZN5aiter36smooth_per_token_scaled_quant_kernelIDF16_DB8_Li256ELi16ELb0ELb1ELb1ELi1024EEEvPT0_PfPT_S4_PiS7_iiPKiiiiiiiii
	.globl	_ZN5aiter36smooth_per_token_scaled_quant_kernelIDF16_DB8_Li256ELi16ELb0ELb1ELb1ELi1024EEEvPT0_PfPT_S4_PiS7_iiPKiiiiiiiii
	.p2align	8
	.type	_ZN5aiter36smooth_per_token_scaled_quant_kernelIDF16_DB8_Li256ELi16ELb0ELb1ELb1ELi1024EEEvPT0_PfPT_S4_PiS7_iiPKiiiiiiiii,@function
_ZN5aiter36smooth_per_token_scaled_quant_kernelIDF16_DB8_Li256ELi16ELb0ELb1ELb1ELi1024EEEvPT0_PfPT_S4_PiS7_iiPKiiiiiiiii: ; @_ZN5aiter36smooth_per_token_scaled_quant_kernelIDF16_DB8_Li256ELi16ELb0ELb1ELb1ELi1024EEEvPT0_PfPT_S4_PiS7_iiPKiiiiiiiii
; %bb.0:
	s_clause 0x2
	s_load_b64 s[2:3], s[0:1], 0x38
	s_load_b64 s[16:17], s[0:1], 0x28
	s_load_b256 s[4:11], s[0:1], 0x40
	s_waitcnt lgkmcnt(0)
	s_cmp_lg_u64 s[2:3], 0
	s_cbranch_scc0 .LBB80_11
; %bb.1:
	s_load_b32 s2, s[2:3], 0x0
	s_waitcnt lgkmcnt(0)
	s_mul_i32 s4, s2, s4
	s_cbranch_execnz .LBB80_3
.LBB80_2:
	s_mul_i32 s4, s6, s5
.LBB80_3:
	s_load_b64 s[2:3], s[0:1], 0x30
	s_lshl_b32 s18, s11, 2
	s_and_b32 s17, s17, 0xffff
	s_mov_b32 s19, -1
	s_abs_i32 s13, s4
	s_waitcnt lgkmcnt(0)
	s_abs_i32 s5, s2
	s_delay_alu instid0(SALU_CYCLE_1) | instskip(SKIP_1) | instid1(VALU_DEP_1)
	v_cvt_f32_u32_e32 v6, s5
	s_sub_i32 s12, 0, s5
	v_rcp_iflag_f32_e32 v6, v6
	s_waitcnt_depctr 0xfff
	v_dual_mul_f32 v6, 0x4f7ffffe, v6 :: v_dual_lshlrev_b32 v1, 2, v0
	s_clause 0x3
	buffer_load_b32 v2, v1, s[16:19], 0 offen
	buffer_load_b32 v3, v1, s[16:19], 0 offen offset:1024
	buffer_load_b32 v4, v1, s[16:19], 0 offen offset:2048
	;; [unrolled: 1-line block ×3, first 2 shown]
	s_waitcnt vmcnt(2)
	ds_store_2addr_stride64_b32 v1, v2, v3 offset1:4
	s_waitcnt vmcnt(0)
	ds_store_2addr_stride64_b32 v1, v4, v5 offset0:8 offset1:12
	v_cvt_u32_f32_e32 v6, v6
	s_delay_alu instid0(VALU_DEP_1) | instskip(NEXT) | instid1(VALU_DEP_1)
	v_readfirstlane_b32 s11, v6
	s_mul_i32 s12, s12, s11
	s_delay_alu instid0(SALU_CYCLE_1) | instskip(NEXT) | instid1(SALU_CYCLE_1)
	s_mul_hi_u32 s12, s11, s12
	s_add_i32 s11, s11, s12
	s_xor_b32 s12, s4, s2
	s_mul_hi_u32 s11, s13, s11
	s_ashr_i32 s12, s12, 31
	s_mul_i32 s14, s11, s5
	s_delay_alu instid0(SALU_CYCLE_1)
	s_sub_i32 s13, s13, s14
	s_add_i32 s14, s11, 1
	s_sub_i32 s16, s13, s5
	s_cmp_ge_u32 s13, s5
	s_cselect_b32 s11, s14, s11
	s_cselect_b32 s13, s16, s13
	s_add_i32 s14, s11, 1
	s_cmp_ge_u32 s13, s5
	s_cselect_b32 s5, s14, s11
	s_delay_alu instid0(SALU_CYCLE_1) | instskip(NEXT) | instid1(SALU_CYCLE_1)
	s_xor_b32 s5, s5, s12
	s_sub_i32 s11, s5, s12
	s_delay_alu instid0(SALU_CYCLE_1) | instskip(NEXT) | instid1(SALU_CYCLE_1)
	s_mul_i32 s2, s11, s2
	s_sub_i32 s12, s4, s2
                                        ; implicit-def: $sgpr4
	s_delay_alu instid0(SALU_CYCLE_1)
	s_cmp_lt_u32 s15, s12
	s_cselect_b32 s2, -1, 0
	s_add_i32 s5, s11, 1
	s_cmp_ge_u32 s15, s12
	s_cbranch_scc0 .LBB80_5
; %bb.4:
	s_sub_i32 s4, s15, s12
	s_mul_i32 s12, s12, s5
	s_mul_i32 s4, s4, s11
	s_mov_b32 s19, 0
	s_add_i32 s4, s4, s12
.LBB80_5:
	s_and_not1_b32 vcc_lo, exec_lo, s19
	s_cbranch_vccnz .LBB80_7
; %bb.6:
	s_mul_i32 s4, s5, s15
.LBB80_7:
	v_cndmask_b32_e64 v1, 0, 1, s2
	s_delay_alu instid0(VALU_DEP_1) | instskip(NEXT) | instid1(VALU_DEP_1)
	v_readfirstlane_b32 s2, v1
	s_add_i32 s11, s11, s2
	s_delay_alu instid0(SALU_CYCLE_1)
	s_cmp_lt_i32 s11, 1
	s_cbranch_scc1 .LBB80_35
; %bb.8:
	s_load_b64 s[12:13], s[0:1], 0x20
	s_ashr_i32 s5, s4, 31
	v_and_b32_e32 v1, 31, v0
	s_lshl_b64 s[14:15], s[4:5], 2
	s_mov_b32 s34, -1
	v_and_b32_e32 v4, 7, v0
	s_mov_b32 s23, s34
	v_cmp_eq_u32_e32 vcc_lo, 31, v1
	v_lshlrev_b32_e32 v16, 5, v0
	v_lshlrev_b32_e32 v17, 6, v0
	v_lshl_or_b32 v19, v4, 2, 0x1000
	v_lshlrev_b32_e32 v21, 4, v0
	s_mov_b32 s41, s3
	s_waitcnt lgkmcnt(0)
	s_add_u32 s20, s12, s14
	s_addc_u32 s2, s13, s15
	s_abs_i32 s33, s6
	s_lshl_b32 s22, s11, 2
	v_cvt_f32_u32_e32 v3, s33
	s_and_b32 s21, s2, 0xffff
	s_load_b256 s[12:19], s[0:1], 0x0
	s_movk_i32 s0, 0x7c
	s_add_i32 s1, s3, 15
	v_rcp_iflag_f32_e32 v3, v3
	v_lshlrev_b32_e32 v22, 2, v1
	v_lshrrev_b32_e32 v1, 3, v0
	s_ashr_i32 s2, s1, 31
	s_lshl_b32 s26, s3, 1
	s_lshr_b32 s2, s2, 28
	s_lshl_b32 s30, s3, 2
	v_and_or_b32 v18, v1, s0, 0x1000
	s_add_i32 s1, s1, s2
	v_cmp_eq_u32_e64 s0, 0, v0
	s_waitcnt_depctr 0xfff
	v_mul_f32_e32 v1, 0x4f7ffffe, v3
	buffer_load_b32 v2, v22, s[20:23], 0 offen
	s_waitcnt vmcnt(0) expcnt(0) lgkmcnt(0)
	s_barrier
	buffer_gl0_inv
	v_cvt_u32_f32_e32 v1, v1
	s_add_i32 s23, s3, 3
	s_ashr_i32 s1, s1, 4
	s_ashr_i32 s2, s23, 31
	v_cmp_gt_u32_e64 s1, s1, v0
	v_readfirstlane_b32 s40, v1
	s_lshr_b32 s2, s2, 30
	s_ashr_i32 s35, s6, 31
	s_add_i32 s23, s23, s2
	s_sub_i32 s2, 0, s33
	s_and_b32 s38, s23, -4
	s_mul_i32 s23, s2, s40
	s_delay_alu instid0(SALU_CYCLE_1) | instskip(NEXT) | instid1(SALU_CYCLE_1)
	s_mul_hi_u32 s23, s40, s23
	s_add_i32 s40, s40, s23
	v_lshlrev_b32_e32 v2, 2, v2
	ds_load_b32 v20, v2
	s_waitcnt lgkmcnt(0)
	v_readlane_b32 s2, v20, 0
	s_delay_alu instid0(VALU_DEP_1)
	s_cmp_lt_i32 s2, 0
	s_cbranch_scc1 .LBB80_12
; %bb.9:
	s_abs_i32 s23, s4
	s_xor_b32 s5, s5, s35
	s_mul_hi_u32 s24, s23, s40
	s_mov_b32 s31, -1
	s_mul_i32 s25, s24, s33
	s_delay_alu instid0(SALU_CYCLE_1)
	s_sub_i32 s23, s23, s25
	s_add_i32 s25, s24, 1
	s_sub_i32 s27, s23, s33
	s_cmp_ge_u32 s23, s33
	s_cselect_b32 s24, s25, s24
	s_cselect_b32 s23, s27, s23
	s_add_i32 s25, s24, 1
	s_cmp_ge_u32 s23, s33
	s_cselect_b32 s23, s25, s24
	s_delay_alu instid0(SALU_CYCLE_1) | instskip(NEXT) | instid1(SALU_CYCLE_1)
	s_xor_b32 s23, s23, s5
	s_sub_i32 s5, s23, s5
	s_delay_alu instid0(SALU_CYCLE_1) | instskip(SKIP_2) | instid1(SALU_CYCLE_1)
	s_mul_i32 s23, s5, s6
	s_mul_i32 s25, s5, s7
	s_sub_i32 s23, s4, s23
	s_mul_i32 s24, s23, s8
	s_delay_alu instid0(SALU_CYCLE_1) | instskip(NEXT) | instid1(SALU_CYCLE_1)
	s_add_i32 s34, s24, s25
	s_cmp_eq_u32 s34, -1
	s_cbranch_scc1 .LBB80_13
; %bb.10:
	s_mul_hi_i32 s25, s34, s41
	s_mul_i32 s24, s34, s41
	s_mov_b32 s27, s31
	s_lshl_b64 s[24:25], s[24:25], 1
	s_delay_alu instid0(SALU_CYCLE_1) | instskip(SKIP_1) | instid1(SALU_CYCLE_1)
	s_add_u32 s24, s16, s24
	s_addc_u32 s25, s17, s25
	s_and_b32 s25, s25, 0xffff
	s_clause 0x1
	buffer_load_b128 v[4:7], v16, s[24:27], 0 offen
	buffer_load_b128 v[12:15], v16, s[24:27], 16 offen
	s_waitcnt vmcnt(1)
	v_cvt_f32_f16_e32 v0, v4
	v_lshrrev_b32_e32 v1, 16, v4
	v_cvt_f32_f16_e32 v2, v5
	v_lshrrev_b32_e32 v3, 16, v5
	;; [unrolled: 2-line block ×4, first 2 shown]
	s_waitcnt vmcnt(0)
	v_cvt_f32_f16_e32 v8, v12
	v_lshrrev_b32_e32 v9, 16, v12
	v_cvt_f32_f16_e32 v10, v13
	v_lshrrev_b32_e32 v11, 16, v13
	;; [unrolled: 2-line block ×4, first 2 shown]
	v_cvt_f32_f16_e32 v1, v1
	v_cvt_f32_f16_e32 v3, v3
	;; [unrolled: 1-line block ×8, first 2 shown]
	s_branch .LBB80_14
.LBB80_11:
                                        ; implicit-def: $sgpr4
	s_branch .LBB80_2
.LBB80_12:
                                        ; implicit-def: $vgpr0_vgpr1_vgpr2_vgpr3_vgpr4_vgpr5_vgpr6_vgpr7_vgpr8_vgpr9_vgpr10_vgpr11_vgpr12_vgpr13_vgpr14_vgpr15
	s_cmp_eq_u32 s11, 1
	s_mov_b32 s5, 1
	s_cbranch_scc0 .LBB80_21
	s_branch .LBB80_35
.LBB80_13:
                                        ; implicit-def: $vgpr0_vgpr1_vgpr2_vgpr3_vgpr4_vgpr5_vgpr6_vgpr7_vgpr8_vgpr9_vgpr10_vgpr11_vgpr12_vgpr13_vgpr14_vgpr15
.LBB80_14:
	s_mul_i32 s24, s2, s3
	s_delay_alu instid0(SALU_CYCLE_1) | instskip(NEXT) | instid1(SALU_CYCLE_1)
	s_ashr_i32 s25, s24, 31
	s_lshl_b64 s[24:25], s[24:25], 2
	s_delay_alu instid0(SALU_CYCLE_1) | instskip(SKIP_1) | instid1(SALU_CYCLE_1)
	s_add_u32 s28, s18, s24
	s_addc_u32 s2, s19, s25
	s_and_b32 s29, s2, 0xffff
	s_clause 0x3
	buffer_load_b128 v[23:26], v17, s[28:31], 0 offen
	buffer_load_b128 v[27:30], v17, s[28:31], 16 offen
	;; [unrolled: 1-line block ×4, first 2 shown]
	s_waitcnt vmcnt(3)
	v_dual_mul_f32 v37, v0, v23 :: v_dual_mul_f32 v38, v1, v24
	v_dual_mul_f32 v35, v2, v25 :: v_dual_mul_f32 v36, v3, v26
	s_waitcnt vmcnt(2)
	v_dual_mul_f32 v33, v4, v27 :: v_dual_mul_f32 v34, v5, v28
	s_delay_alu instid0(VALU_DEP_3) | instskip(SKIP_3) | instid1(VALU_DEP_3)
	v_max3_f32 v23, |v37|, 0x2edbe6ff, |v38|
	v_dual_mul_f32 v31, v6, v29 :: v_dual_mul_f32 v32, v7, v30
	s_waitcnt vmcnt(1)
	v_dual_mul_f32 v29, v8, v39 :: v_dual_mul_f32 v30, v9, v40
	v_max3_f32 v23, v23, |v35|, |v36|
	v_dual_mul_f32 v27, v10, v41 :: v_dual_mul_f32 v28, v11, v42
	s_waitcnt vmcnt(0)
	v_dual_mul_f32 v25, v12, v43 :: v_dual_mul_f32 v26, v13, v44
	s_delay_alu instid0(VALU_DEP_3) | instskip(SKIP_1) | instid1(VALU_DEP_2)
	v_max3_f32 v23, v23, |v33|, |v34|
	v_mul_f32_e32 v24, v15, v46
	v_max3_f32 v23, v23, |v31|, |v32|
	s_delay_alu instid0(VALU_DEP_1) | instskip(NEXT) | instid1(VALU_DEP_1)
	v_max3_f32 v23, v23, |v29|, |v30|
	v_max3_f32 v39, v23, |v27|, |v28|
	v_mul_f32_e32 v23, v14, v45
	s_delay_alu instid0(VALU_DEP_2) | instskip(NEXT) | instid1(VALU_DEP_1)
	v_max3_f32 v39, v39, |v25|, |v26|
	v_max3_f32 v39, v39, |v23|, |v24|
	s_delay_alu instid0(VALU_DEP_1) | instskip(NEXT) | instid1(VALU_DEP_1)
	v_mov_b32_dpp v40, v39 quad_perm:[1,0,3,2] row_mask:0xf bank_mask:0xf
	v_cmp_gt_f32_e64 s2, v39, v40
	s_delay_alu instid0(VALU_DEP_1) | instskip(NEXT) | instid1(VALU_DEP_1)
	v_cndmask_b32_e64 v39, v40, v39, s2
	v_mov_b32_dpp v40, v39 quad_perm:[2,3,0,1] row_mask:0xf bank_mask:0xf
	s_delay_alu instid0(VALU_DEP_1) | instskip(NEXT) | instid1(VALU_DEP_1)
	v_cmp_gt_f32_e64 s2, v39, v40
	v_cndmask_b32_e64 v39, v40, v39, s2
	s_delay_alu instid0(VALU_DEP_1) | instskip(NEXT) | instid1(VALU_DEP_1)
	v_mov_b32_dpp v40, v39 row_xmask:7 row_mask:0xf bank_mask:0xf
	v_cmp_gt_f32_e64 s2, v39, v40
	s_delay_alu instid0(VALU_DEP_1) | instskip(NEXT) | instid1(VALU_DEP_1)
	v_cndmask_b32_e64 v39, v40, v39, s2
	v_mov_b32_dpp v40, v39 row_xmask:15 row_mask:0xf bank_mask:0xf
	s_delay_alu instid0(VALU_DEP_1)
	v_cmp_gt_f32_e64 s2, v39, v40
	s_and_saveexec_b32 s24, vcc_lo
	s_cbranch_execz .LBB80_16
; %bb.15:
	s_delay_alu instid0(VALU_DEP_1)
	v_cndmask_b32_e64 v39, v40, v39, s2
	s_mov_b32 s2, 0x76543210
	s_delay_alu instid0(VALU_DEP_1) | instid1(SALU_CYCLE_1)
	v_permlanex16_b32 v40, v39, s2, 0xfedcba98 op_sel:[1,1]
	s_delay_alu instid0(VALU_DEP_1) | instskip(NEXT) | instid1(VALU_DEP_1)
	v_cmp_gt_f32_e64 s2, v39, v40
	v_cndmask_b32_e64 v39, v40, v39, s2
	ds_store_b32 v18, v39
.LBB80_16:
	s_or_b32 exec_lo, exec_lo, s24
	s_waitcnt lgkmcnt(0)
	s_barrier
	buffer_gl0_inv
	ds_load_b32 v39, v19
	s_mul_i32 s5, s5, s9
	s_waitcnt lgkmcnt(0)
	v_mov_b32_dpp v40, v39 quad_perm:[1,0,3,2] row_mask:0xf bank_mask:0xf
	s_delay_alu instid0(VALU_DEP_1) | instskip(NEXT) | instid1(VALU_DEP_1)
	v_cmp_gt_f32_e64 s2, v39, v40
	v_cndmask_b32_e64 v39, v40, v39, s2
	s_delay_alu instid0(VALU_DEP_1) | instskip(NEXT) | instid1(VALU_DEP_1)
	v_mov_b32_dpp v40, v39 quad_perm:[2,3,0,1] row_mask:0xf bank_mask:0xf
	v_cmp_gt_f32_e64 s2, v39, v40
	s_delay_alu instid0(VALU_DEP_1) | instskip(NEXT) | instid1(VALU_DEP_1)
	v_cndmask_b32_e64 v39, v40, v39, s2
	v_mov_b32_dpp v40, v39 row_xmask:7 row_mask:0xf bank_mask:0xf
	s_delay_alu instid0(VALU_DEP_1) | instskip(NEXT) | instid1(VALU_DEP_1)
	v_cmp_gt_f32_e64 s2, v39, v40
	v_cndmask_b32_e64 v39, v40, v39, s2
	s_mul_i32 s2, s23, s10
	s_delay_alu instid0(SALU_CYCLE_1) | instskip(NEXT) | instid1(VALU_DEP_1)
	s_add_i32 s24, s2, s5
	v_mul_f32_e32 v39, 0x3b124925, v39
	s_and_saveexec_b32 s2, s0
	s_cbranch_execz .LBB80_18
; %bb.17:
	s_ashr_i32 s25, s24, 31
	v_mov_b32_e32 v40, 0
	s_lshl_b64 s[28:29], s[24:25], 2
	s_delay_alu instid0(SALU_CYCLE_1)
	s_add_u32 s28, s14, s28
	s_addc_u32 s29, s15, s29
	global_store_b32 v40, v39, s[28:29]
.LBB80_18:
	s_or_b32 exec_lo, exec_lo, s2
	s_and_saveexec_b32 s2, s1
	s_cbranch_execz .LBB80_20
; %bb.19:
	v_rcp_f32_e32 v39, v39
	v_mov_b32_e32 v40, 0xc3e00000
	v_mov_b32_e32 v41, 0x43e00000
	s_mul_i32 s23, s24, s41
	s_mul_hi_i32 s5, s24, s41
	s_add_u32 s36, s12, s23
	s_addc_u32 s5, s13, s5
	s_mov_b32 s39, -1
	s_and_b32 s37, s5, 0xffff
	s_waitcnt_depctr 0xfff
	v_mul_f32_e32 v38, v38, v39
	v_mul_f32_e32 v37, v37, v39
	;; [unrolled: 1-line block ×4, first 2 shown]
	;;#ASMSTART
	v_med3_f32 v37, v37, v40, v41
v_med3_f32 v38, v38, v40, v41
v_cvt_pk_fp8_f32 v42, v37, v38
	;;#ASMEND
	v_mul_f32_e32 v33, v33, v39
	v_mul_f32_e32 v34, v34, v39
	;;#ASMSTART
	v_med3_f32 v35, v35, v40, v41
v_med3_f32 v36, v36, v40, v41
v_cvt_pk_fp8_f32 v37, v35, v36
	;;#ASMEND
	v_mul_f32_e32 v31, v31, v39
	v_mul_f32_e32 v32, v32, v39
	v_perm_b32 v35, v37, v42, 0x5040100
	;;#ASMSTART
	v_med3_f32 v33, v33, v40, v41
v_med3_f32 v34, v34, v40, v41
v_cvt_pk_fp8_f32 v36, v33, v34
	;;#ASMEND
	;;#ASMSTART
	v_med3_f32 v31, v31, v40, v41
v_med3_f32 v32, v32, v40, v41
v_cvt_pk_fp8_f32 v33, v31, v32
	;;#ASMEND
	v_mul_f32_e32 v29, v29, v39
	v_mul_f32_e32 v30, v30, v39
	v_perm_b32 v32, v36, v33, 0x1000504
	v_mul_f32_e32 v27, v27, v39
	v_mul_f32_e32 v28, v28, v39
	;;#ASMSTART
	v_med3_f32 v29, v29, v40, v41
v_med3_f32 v30, v30, v40, v41
v_cvt_pk_fp8_f32 v33, v29, v30
	;;#ASMEND
	v_mul_f32_e32 v25, v25, v39
	v_mul_f32_e32 v26, v26, v39
	;;#ASMSTART
	v_med3_f32 v27, v27, v40, v41
v_med3_f32 v28, v28, v40, v41
v_cvt_pk_fp8_f32 v29, v27, v28
	;;#ASMEND
	;; [unrolled: 7-line block ×3, first 2 shown]
	v_perm_b32 v31, v35, v37, 0x1060504
	v_perm_b32 v33, v33, v29, 0x1000504
	;;#ASMSTART
	v_med3_f32 v23, v23, v40, v41
v_med3_f32 v24, v24, v40, v41
v_cvt_pk_fp8_f32 v25, v23, v24
	;;#ASMEND
	v_perm_b32 v34, v27, v25, 0x1000504
	buffer_store_b128 v[31:34], v21, s[36:39], 0 offen
	;;#ASMSTART
	s_nop 0
	;;#ASMEND
.LBB80_20:
	s_or_b32 exec_lo, exec_lo, s2
	s_cmp_eq_u32 s11, 1
	s_mov_b32 s5, 1
	s_cbranch_scc1 .LBB80_35
.LBB80_21:
	v_dual_mov_b32 v23, 0 :: v_dual_add_nc_u32 v22, 4, v22
	v_mov_b32_e32 v24, 0xc3e00000
	v_mov_b32_e32 v25, 0x43e00000
	s_mov_b32 s31, -1
	s_mov_b32 s42, 0x76543210
	s_branch .LBB80_24
.LBB80_22:                              ;   in Loop: Header=BB80_24 Depth=1
	s_or_b32 exec_lo, exec_lo, s2
.LBB80_23:                              ;   in Loop: Header=BB80_24 Depth=1
	v_add_nc_u32_e32 v22, 4, v22
	s_add_i32 s5, s5, 1
	s_delay_alu instid0(SALU_CYCLE_1)
	s_cmp_eq_u32 s11, s5
	s_cbranch_scc1 .LBB80_35
.LBB80_24:                              ; =>This Inner Loop Header: Depth=1
	s_and_b32 s2, s5, 31
	s_delay_alu instid0(SALU_CYCLE_1)
	s_cmp_lg_u32 s2, 0
	s_cbranch_scc1 .LBB80_26
; %bb.25:                               ;   in Loop: Header=BB80_24 Depth=1
	s_mov_b32 s23, s31
	buffer_load_b32 v20, v22, s[20:23], 0 offen
	s_waitcnt vmcnt(0) expcnt(0) lgkmcnt(55)
	v_lshlrev_b32_e32 v20, 2, v20
	ds_load_b32 v20, v20
.LBB80_26:                              ;   in Loop: Header=BB80_24 Depth=1
	s_waitcnt lgkmcnt(0)
	v_readlane_b32 s2, v20, s2
	s_delay_alu instid0(VALU_DEP_1)
	s_cmp_lt_i32 s2, 0
	s_cbranch_scc1 .LBB80_23
; %bb.27:                               ;   in Loop: Header=BB80_24 Depth=1
	s_add_i32 s24, s4, s5
	s_delay_alu instid0(SALU_CYCLE_1) | instskip(SKIP_4) | instid1(SALU_CYCLE_1)
	s_abs_i32 s23, s24
	s_ashr_i32 s27, s24, 31
	s_mul_hi_u32 s25, s23, s40
	s_xor_b32 s27, s27, s35
	s_mul_i32 s28, s25, s33
	s_sub_i32 s23, s23, s28
	s_add_i32 s28, s25, 1
	s_sub_i32 s29, s23, s33
	s_cmp_ge_u32 s23, s33
	s_cselect_b32 s25, s28, s25
	s_cselect_b32 s23, s29, s23
	s_add_i32 s28, s25, 1
	s_cmp_ge_u32 s23, s33
	s_cselect_b32 s23, s28, s25
	s_delay_alu instid0(SALU_CYCLE_1) | instskip(NEXT) | instid1(SALU_CYCLE_1)
	s_xor_b32 s23, s23, s27
	s_sub_i32 s23, s23, s27
	s_delay_alu instid0(SALU_CYCLE_1) | instskip(NEXT) | instid1(SALU_CYCLE_1)
	s_mul_i32 s25, s23, s6
	s_sub_i32 s36, s24, s25
	s_mul_i32 s24, s23, s7
	s_mul_i32 s28, s36, s8
	s_delay_alu instid0(SALU_CYCLE_1) | instskip(NEXT) | instid1(SALU_CYCLE_1)
	s_add_i32 s28, s28, s24
	s_cmp_eq_u32 s28, s34
	s_cbranch_scc1 .LBB80_29
; %bb.28:                               ;   in Loop: Header=BB80_24 Depth=1
	s_mul_hi_i32 s25, s28, s41
	s_mul_i32 s24, s28, s41
	s_mov_b32 s27, s31
	s_lshl_b64 s[24:25], s[24:25], 1
	s_mov_b32 s34, s28
	s_add_u32 s24, s16, s24
	s_addc_u32 s25, s17, s25
	s_delay_alu instid0(SALU_CYCLE_1)
	s_and_b32 s25, s25, 0xffff
	s_clause 0x1
	buffer_load_b128 v[4:7], v16, s[24:27], 0 offen
	buffer_load_b128 v[12:15], v16, s[24:27], 16 offen
	s_waitcnt vmcnt(1)
	v_cvt_f32_f16_e32 v0, v4
	v_lshrrev_b32_e32 v1, 16, v4
	v_cvt_f32_f16_e32 v2, v5
	v_lshrrev_b32_e32 v3, 16, v5
	v_cvt_f32_f16_e32 v4, v6
	v_lshrrev_b32_e32 v5, 16, v6
	v_cvt_f32_f16_e32 v6, v7
	v_lshrrev_b32_e32 v7, 16, v7
	s_waitcnt vmcnt(0)
	v_cvt_f32_f16_e32 v8, v12
	v_lshrrev_b32_e32 v9, 16, v12
	v_cvt_f32_f16_e32 v10, v13
	v_lshrrev_b32_e32 v11, 16, v13
	;; [unrolled: 2-line block ×4, first 2 shown]
	v_cvt_f32_f16_e32 v1, v1
	v_cvt_f32_f16_e32 v3, v3
	;; [unrolled: 1-line block ×8, first 2 shown]
.LBB80_29:                              ;   in Loop: Header=BB80_24 Depth=1
	s_mul_i32 s24, s2, s3
	s_delay_alu instid0(SALU_CYCLE_1) | instskip(NEXT) | instid1(SALU_CYCLE_1)
	s_ashr_i32 s25, s24, 31
	s_lshl_b64 s[24:25], s[24:25], 2
	s_delay_alu instid0(SALU_CYCLE_1) | instskip(SKIP_1) | instid1(SALU_CYCLE_1)
	s_add_u32 s28, s18, s24
	s_addc_u32 s2, s19, s25
	s_and_b32 s29, s2, 0xffff
	s_clause 0x3
	buffer_load_b128 v[26:29], v17, s[28:31], 0 offen
	buffer_load_b128 v[30:33], v17, s[28:31], 16 offen
	;; [unrolled: 1-line block ×4, first 2 shown]
	s_waitcnt vmcnt(3)
	v_dual_mul_f32 v40, v0, v26 :: v_dual_mul_f32 v41, v1, v27
	v_dual_mul_f32 v38, v2, v28 :: v_dual_mul_f32 v39, v3, v29
	s_waitcnt vmcnt(2)
	v_dual_mul_f32 v36, v4, v30 :: v_dual_mul_f32 v37, v5, v31
	s_delay_alu instid0(VALU_DEP_3) | instskip(SKIP_3) | instid1(VALU_DEP_3)
	v_max3_f32 v26, |v40|, 0x2edbe6ff, |v41|
	v_dual_mul_f32 v34, v6, v32 :: v_dual_mul_f32 v35, v7, v33
	s_waitcnt vmcnt(1)
	v_dual_mul_f32 v33, v8, v42 :: v_dual_mul_f32 v32, v9, v43
	v_max3_f32 v26, v26, |v38|, |v39|
	v_dual_mul_f32 v30, v10, v44 :: v_dual_mul_f32 v31, v11, v45
	s_waitcnt vmcnt(0)
	v_dual_mul_f32 v28, v12, v46 :: v_dual_mul_f32 v29, v13, v47
	s_delay_alu instid0(VALU_DEP_3) | instskip(SKIP_1) | instid1(VALU_DEP_2)
	v_max3_f32 v26, v26, |v36|, |v37|
	v_mul_f32_e32 v27, v15, v49
	v_max3_f32 v26, v26, |v34|, |v35|
	s_delay_alu instid0(VALU_DEP_1) | instskip(NEXT) | instid1(VALU_DEP_1)
	v_max3_f32 v26, v26, |v33|, |v32|
	v_max3_f32 v42, v26, |v30|, |v31|
	v_mul_f32_e32 v26, v14, v48
	s_delay_alu instid0(VALU_DEP_2) | instskip(NEXT) | instid1(VALU_DEP_1)
	v_max3_f32 v42, v42, |v28|, |v29|
	v_max3_f32 v42, v42, |v26|, |v27|
	s_delay_alu instid0(VALU_DEP_1) | instskip(NEXT) | instid1(VALU_DEP_1)
	v_mov_b32_dpp v43, v42 quad_perm:[1,0,3,2] row_mask:0xf bank_mask:0xf
	v_cmp_gt_f32_e64 s2, v42, v43
	s_delay_alu instid0(VALU_DEP_1) | instskip(NEXT) | instid1(VALU_DEP_1)
	v_cndmask_b32_e64 v42, v43, v42, s2
	v_mov_b32_dpp v43, v42 quad_perm:[2,3,0,1] row_mask:0xf bank_mask:0xf
	s_delay_alu instid0(VALU_DEP_1) | instskip(NEXT) | instid1(VALU_DEP_1)
	v_cmp_gt_f32_e64 s2, v42, v43
	v_cndmask_b32_e64 v42, v43, v42, s2
	s_delay_alu instid0(VALU_DEP_1) | instskip(NEXT) | instid1(VALU_DEP_1)
	v_mov_b32_dpp v43, v42 row_xmask:7 row_mask:0xf bank_mask:0xf
	v_cmp_gt_f32_e64 s2, v42, v43
	s_delay_alu instid0(VALU_DEP_1) | instskip(NEXT) | instid1(VALU_DEP_1)
	v_cndmask_b32_e64 v42, v43, v42, s2
	v_mov_b32_dpp v43, v42 row_xmask:15 row_mask:0xf bank_mask:0xf
	s_delay_alu instid0(VALU_DEP_1)
	v_cmp_gt_f32_e64 s2, v42, v43
	s_and_saveexec_b32 s24, vcc_lo
	s_cbranch_execz .LBB80_31
; %bb.30:                               ;   in Loop: Header=BB80_24 Depth=1
	s_delay_alu instid0(VALU_DEP_1) | instskip(NEXT) | instid1(VALU_DEP_1)
	v_cndmask_b32_e64 v42, v43, v42, s2
	v_permlanex16_b32 v43, v42, s42, 0xfedcba98 op_sel:[1,1]
	s_delay_alu instid0(VALU_DEP_1) | instskip(NEXT) | instid1(VALU_DEP_1)
	v_cmp_gt_f32_e64 s2, v42, v43
	v_cndmask_b32_e64 v42, v43, v42, s2
	ds_store_b32 v18, v42
.LBB80_31:                              ;   in Loop: Header=BB80_24 Depth=1
	s_or_b32 exec_lo, exec_lo, s24
	s_waitcnt lgkmcnt(0)
	s_waitcnt_vscnt null, 0x0
	s_barrier
	buffer_gl0_inv
	ds_load_b32 v42, v19
	s_mul_i32 s23, s23, s9
	s_waitcnt lgkmcnt(0)
	v_mov_b32_dpp v43, v42 quad_perm:[1,0,3,2] row_mask:0xf bank_mask:0xf
	s_delay_alu instid0(VALU_DEP_1) | instskip(NEXT) | instid1(VALU_DEP_1)
	v_cmp_gt_f32_e64 s2, v42, v43
	v_cndmask_b32_e64 v42, v43, v42, s2
	s_delay_alu instid0(VALU_DEP_1) | instskip(NEXT) | instid1(VALU_DEP_1)
	v_mov_b32_dpp v43, v42 quad_perm:[2,3,0,1] row_mask:0xf bank_mask:0xf
	v_cmp_gt_f32_e64 s2, v42, v43
	s_delay_alu instid0(VALU_DEP_1) | instskip(NEXT) | instid1(VALU_DEP_1)
	v_cndmask_b32_e64 v42, v43, v42, s2
	v_mov_b32_dpp v43, v42 row_xmask:7 row_mask:0xf bank_mask:0xf
	s_delay_alu instid0(VALU_DEP_1) | instskip(NEXT) | instid1(VALU_DEP_1)
	v_cmp_gt_f32_e64 s2, v42, v43
	v_cndmask_b32_e64 v42, v43, v42, s2
	s_mul_i32 s2, s36, s10
	s_delay_alu instid0(SALU_CYCLE_1) | instskip(NEXT) | instid1(VALU_DEP_1)
	s_add_i32 s24, s2, s23
	v_mul_f32_e32 v42, 0x3b124925, v42
	s_and_saveexec_b32 s2, s0
	s_cbranch_execz .LBB80_33
; %bb.32:                               ;   in Loop: Header=BB80_24 Depth=1
	s_ashr_i32 s25, s24, 31
	s_delay_alu instid0(SALU_CYCLE_1) | instskip(NEXT) | instid1(SALU_CYCLE_1)
	s_lshl_b64 s[28:29], s[24:25], 2
	s_add_u32 s28, s14, s28
	s_addc_u32 s29, s15, s29
	global_store_b32 v23, v42, s[28:29]
.LBB80_33:                              ;   in Loop: Header=BB80_24 Depth=1
	s_or_b32 exec_lo, exec_lo, s2
	s_and_saveexec_b32 s2, s1
	s_cbranch_execz .LBB80_22
; %bb.34:                               ;   in Loop: Header=BB80_24 Depth=1
	v_rcp_f32_e32 v42, v42
	s_mul_i32 s23, s24, s41
	s_mul_hi_i32 s24, s24, s41
	s_add_u32 s36, s12, s23
	s_addc_u32 s23, s13, s24
	s_mov_b32 s39, s31
	s_and_b32 s37, s23, 0xffff
	s_waitcnt_depctr 0xfff
	v_mul_f32_e32 v40, v40, v42
	v_mul_f32_e32 v41, v41, v42
	v_mul_f32_e32 v38, v38, v42
	v_mul_f32_e32 v39, v39, v42
	v_mul_f32_e32 v43, v33, v42
	;;#ASMSTART
	v_med3_f32 v40, v40, v24, v25
v_med3_f32 v41, v41, v24, v25
v_cvt_pk_fp8_f32 v33, v40, v41
	;;#ASMEND
	;;#ASMSTART
	v_med3_f32 v38, v38, v24, v25
v_med3_f32 v39, v39, v24, v25
v_cvt_pk_fp8_f32 v40, v38, v39
	;;#ASMEND
	v_perm_b32 v38, v40, v33, 0x5040100
	v_mul_f32_e32 v36, v36, v42
	v_mul_f32_e32 v37, v37, v42
	;; [unrolled: 1-line block ×5, first 2 shown]
	;;#ASMSTART
	v_med3_f32 v36, v36, v24, v25
v_med3_f32 v37, v37, v24, v25
v_cvt_pk_fp8_f32 v32, v36, v37
	;;#ASMEND
	;;#ASMSTART
	v_med3_f32 v34, v34, v24, v25
v_med3_f32 v35, v35, v24, v25
v_cvt_pk_fp8_f32 v33, v34, v35
	;;#ASMEND
	v_mul_f32_e32 v30, v30, v42
	v_mul_f32_e32 v31, v31, v42
	;; [unrolled: 1-line block ×4, first 2 shown]
	;;#ASMSTART
	v_med3_f32 v43, v43, v24, v25
v_med3_f32 v39, v39, v24, v25
v_cvt_pk_fp8_f32 v34, v43, v39
	;;#ASMEND
	;;#ASMSTART
	v_med3_f32 v30, v30, v24, v25
v_med3_f32 v31, v31, v24, v25
v_cvt_pk_fp8_f32 v35, v30, v31
	;;#ASMEND
	v_mul_f32_e32 v26, v26, v42
	v_mul_f32_e32 v27, v27, v42
	;;#ASMSTART
	v_med3_f32 v28, v28, v24, v25
v_med3_f32 v29, v29, v24, v25
v_cvt_pk_fp8_f32 v30, v28, v29
	;;#ASMEND
	v_perm_b32 v33, v32, v33, 0x1000504
	v_perm_b32 v32, v38, v40, 0x1060504
	v_perm_b32 v34, v34, v35, 0x1000504
	;;#ASMSTART
	v_med3_f32 v26, v26, v24, v25
v_med3_f32 v27, v27, v24, v25
v_cvt_pk_fp8_f32 v28, v26, v27
	;;#ASMEND
	v_perm_b32 v35, v30, v28, 0x1000504
	buffer_store_b128 v[32:35], v21, s[36:39], 0 offen
	;;#ASMSTART
	s_nop 0
	;;#ASMEND
	s_branch .LBB80_22
.LBB80_35:
	s_nop 0
	s_sendmsg sendmsg(MSG_DEALLOC_VGPRS)
	s_endpgm
	.section	.rodata,"a",@progbits
	.p2align	6, 0x0
	.amdhsa_kernel _ZN5aiter36smooth_per_token_scaled_quant_kernelIDF16_DB8_Li256ELi16ELb0ELb1ELb1ELi1024EEEvPT0_PfPT_S4_PiS7_iiPKiiiiiiiii
		.amdhsa_group_segment_fixed_size 4128
		.amdhsa_private_segment_fixed_size 0
		.amdhsa_kernarg_size 96
		.amdhsa_user_sgpr_count 15
		.amdhsa_user_sgpr_dispatch_ptr 0
		.amdhsa_user_sgpr_queue_ptr 0
		.amdhsa_user_sgpr_kernarg_segment_ptr 1
		.amdhsa_user_sgpr_dispatch_id 0
		.amdhsa_user_sgpr_private_segment_size 0
		.amdhsa_wavefront_size32 1
		.amdhsa_uses_dynamic_stack 0
		.amdhsa_enable_private_segment 0
		.amdhsa_system_sgpr_workgroup_id_x 1
		.amdhsa_system_sgpr_workgroup_id_y 0
		.amdhsa_system_sgpr_workgroup_id_z 0
		.amdhsa_system_sgpr_workgroup_info 0
		.amdhsa_system_vgpr_workitem_id 0
		.amdhsa_next_free_vgpr 50
		.amdhsa_next_free_sgpr 43
		.amdhsa_reserve_vcc 1
		.amdhsa_float_round_mode_32 0
		.amdhsa_float_round_mode_16_64 0
		.amdhsa_float_denorm_mode_32 3
		.amdhsa_float_denorm_mode_16_64 3
		.amdhsa_dx10_clamp 1
		.amdhsa_ieee_mode 1
		.amdhsa_fp16_overflow 0
		.amdhsa_workgroup_processor_mode 1
		.amdhsa_memory_ordered 1
		.amdhsa_forward_progress 0
		.amdhsa_shared_vgpr_count 0
		.amdhsa_exception_fp_ieee_invalid_op 0
		.amdhsa_exception_fp_denorm_src 0
		.amdhsa_exception_fp_ieee_div_zero 0
		.amdhsa_exception_fp_ieee_overflow 0
		.amdhsa_exception_fp_ieee_underflow 0
		.amdhsa_exception_fp_ieee_inexact 0
		.amdhsa_exception_int_div_zero 0
	.end_amdhsa_kernel
	.section	.text._ZN5aiter36smooth_per_token_scaled_quant_kernelIDF16_DB8_Li256ELi16ELb0ELb1ELb1ELi1024EEEvPT0_PfPT_S4_PiS7_iiPKiiiiiiiii,"axG",@progbits,_ZN5aiter36smooth_per_token_scaled_quant_kernelIDF16_DB8_Li256ELi16ELb0ELb1ELb1ELi1024EEEvPT0_PfPT_S4_PiS7_iiPKiiiiiiiii,comdat
.Lfunc_end80:
	.size	_ZN5aiter36smooth_per_token_scaled_quant_kernelIDF16_DB8_Li256ELi16ELb0ELb1ELb1ELi1024EEEvPT0_PfPT_S4_PiS7_iiPKiiiiiiiii, .Lfunc_end80-_ZN5aiter36smooth_per_token_scaled_quant_kernelIDF16_DB8_Li256ELi16ELb0ELb1ELb1ELi1024EEEvPT0_PfPT_S4_PiS7_iiPKiiiiiiiii
                                        ; -- End function
	.section	.AMDGPU.csdata,"",@progbits
; Kernel info:
; codeLenInByte = 3992
; NumSgprs: 45
; NumVgprs: 50
; ScratchSize: 0
; MemoryBound: 0
; FloatMode: 240
; IeeeMode: 1
; LDSByteSize: 4128 bytes/workgroup (compile time only)
; SGPRBlocks: 5
; VGPRBlocks: 6
; NumSGPRsForWavesPerEU: 45
; NumVGPRsForWavesPerEU: 50
; Occupancy: 16
; WaveLimiterHint : 0
; COMPUTE_PGM_RSRC2:SCRATCH_EN: 0
; COMPUTE_PGM_RSRC2:USER_SGPR: 15
; COMPUTE_PGM_RSRC2:TRAP_HANDLER: 0
; COMPUTE_PGM_RSRC2:TGID_X_EN: 1
; COMPUTE_PGM_RSRC2:TGID_Y_EN: 0
; COMPUTE_PGM_RSRC2:TGID_Z_EN: 0
; COMPUTE_PGM_RSRC2:TIDIG_COMP_CNT: 0
	.section	.text._ZN5aiter36smooth_per_token_scaled_quant_kernelItDB8_Li256ELi16ELb0ELb1ELb1ELi1024EEEvPT0_PfPT_S4_PiS7_iiPKiiiiiiiii,"axG",@progbits,_ZN5aiter36smooth_per_token_scaled_quant_kernelItDB8_Li256ELi16ELb0ELb1ELb1ELi1024EEEvPT0_PfPT_S4_PiS7_iiPKiiiiiiiii,comdat
	.protected	_ZN5aiter36smooth_per_token_scaled_quant_kernelItDB8_Li256ELi16ELb0ELb1ELb1ELi1024EEEvPT0_PfPT_S4_PiS7_iiPKiiiiiiiii ; -- Begin function _ZN5aiter36smooth_per_token_scaled_quant_kernelItDB8_Li256ELi16ELb0ELb1ELb1ELi1024EEEvPT0_PfPT_S4_PiS7_iiPKiiiiiiiii
	.globl	_ZN5aiter36smooth_per_token_scaled_quant_kernelItDB8_Li256ELi16ELb0ELb1ELb1ELi1024EEEvPT0_PfPT_S4_PiS7_iiPKiiiiiiiii
	.p2align	8
	.type	_ZN5aiter36smooth_per_token_scaled_quant_kernelItDB8_Li256ELi16ELb0ELb1ELb1ELi1024EEEvPT0_PfPT_S4_PiS7_iiPKiiiiiiiii,@function
_ZN5aiter36smooth_per_token_scaled_quant_kernelItDB8_Li256ELi16ELb0ELb1ELb1ELi1024EEEvPT0_PfPT_S4_PiS7_iiPKiiiiiiiii: ; @_ZN5aiter36smooth_per_token_scaled_quant_kernelItDB8_Li256ELi16ELb0ELb1ELb1ELi1024EEEvPT0_PfPT_S4_PiS7_iiPKiiiiiiiii
; %bb.0:
	s_clause 0x2
	s_load_b64 s[2:3], s[0:1], 0x38
	s_load_b64 s[16:17], s[0:1], 0x28
	s_load_b256 s[4:11], s[0:1], 0x40
	s_waitcnt lgkmcnt(0)
	s_cmp_lg_u64 s[2:3], 0
	s_cbranch_scc0 .LBB81_11
; %bb.1:
	s_load_b32 s2, s[2:3], 0x0
	s_waitcnt lgkmcnt(0)
	s_mul_i32 s4, s2, s4
	s_cbranch_execnz .LBB81_3
.LBB81_2:
	s_mul_i32 s4, s6, s5
.LBB81_3:
	s_load_b64 s[2:3], s[0:1], 0x30
	s_lshl_b32 s18, s11, 2
	s_and_b32 s17, s17, 0xffff
	s_mov_b32 s19, -1
	s_abs_i32 s13, s4
	s_waitcnt lgkmcnt(0)
	s_abs_i32 s5, s2
	s_delay_alu instid0(SALU_CYCLE_1) | instskip(SKIP_1) | instid1(VALU_DEP_1)
	v_cvt_f32_u32_e32 v6, s5
	s_sub_i32 s12, 0, s5
	v_rcp_iflag_f32_e32 v6, v6
	s_waitcnt_depctr 0xfff
	v_dual_mul_f32 v6, 0x4f7ffffe, v6 :: v_dual_lshlrev_b32 v1, 2, v0
	s_clause 0x3
	buffer_load_b32 v2, v1, s[16:19], 0 offen
	buffer_load_b32 v3, v1, s[16:19], 0 offen offset:1024
	buffer_load_b32 v4, v1, s[16:19], 0 offen offset:2048
	;; [unrolled: 1-line block ×3, first 2 shown]
	s_waitcnt vmcnt(2)
	ds_store_2addr_stride64_b32 v1, v2, v3 offset1:4
	s_waitcnt vmcnt(0)
	ds_store_2addr_stride64_b32 v1, v4, v5 offset0:8 offset1:12
	v_cvt_u32_f32_e32 v6, v6
	s_delay_alu instid0(VALU_DEP_1) | instskip(NEXT) | instid1(VALU_DEP_1)
	v_readfirstlane_b32 s11, v6
	s_mul_i32 s12, s12, s11
	s_delay_alu instid0(SALU_CYCLE_1) | instskip(NEXT) | instid1(SALU_CYCLE_1)
	s_mul_hi_u32 s12, s11, s12
	s_add_i32 s11, s11, s12
	s_xor_b32 s12, s4, s2
	s_mul_hi_u32 s11, s13, s11
	s_ashr_i32 s12, s12, 31
	s_mul_i32 s14, s11, s5
	s_delay_alu instid0(SALU_CYCLE_1)
	s_sub_i32 s13, s13, s14
	s_add_i32 s14, s11, 1
	s_sub_i32 s16, s13, s5
	s_cmp_ge_u32 s13, s5
	s_cselect_b32 s11, s14, s11
	s_cselect_b32 s13, s16, s13
	s_add_i32 s14, s11, 1
	s_cmp_ge_u32 s13, s5
	s_cselect_b32 s5, s14, s11
	s_delay_alu instid0(SALU_CYCLE_1) | instskip(NEXT) | instid1(SALU_CYCLE_1)
	s_xor_b32 s5, s5, s12
	s_sub_i32 s11, s5, s12
	s_delay_alu instid0(SALU_CYCLE_1) | instskip(NEXT) | instid1(SALU_CYCLE_1)
	s_mul_i32 s2, s11, s2
	s_sub_i32 s12, s4, s2
                                        ; implicit-def: $sgpr4
	s_delay_alu instid0(SALU_CYCLE_1)
	s_cmp_lt_u32 s15, s12
	s_cselect_b32 s2, -1, 0
	s_add_i32 s5, s11, 1
	s_cmp_ge_u32 s15, s12
	s_cbranch_scc0 .LBB81_5
; %bb.4:
	s_sub_i32 s4, s15, s12
	s_mul_i32 s12, s12, s5
	s_mul_i32 s4, s4, s11
	s_mov_b32 s19, 0
	s_add_i32 s4, s4, s12
.LBB81_5:
	s_and_not1_b32 vcc_lo, exec_lo, s19
	s_cbranch_vccnz .LBB81_7
; %bb.6:
	s_mul_i32 s4, s5, s15
.LBB81_7:
	v_cndmask_b32_e64 v1, 0, 1, s2
	s_delay_alu instid0(VALU_DEP_1) | instskip(NEXT) | instid1(VALU_DEP_1)
	v_readfirstlane_b32 s2, v1
	s_add_i32 s11, s11, s2
	s_delay_alu instid0(SALU_CYCLE_1)
	s_cmp_lt_i32 s11, 1
	s_cbranch_scc1 .LBB81_35
; %bb.8:
	s_load_b64 s[12:13], s[0:1], 0x20
	s_ashr_i32 s5, s4, 31
	v_and_b32_e32 v1, 31, v0
	s_lshl_b64 s[14:15], s[4:5], 2
	s_mov_b32 s41, -1
	v_and_b32_e32 v4, 7, v0
	s_mov_b32 s23, s41
	v_cmp_eq_u32_e32 vcc_lo, 31, v1
	v_lshlrev_b32_e32 v16, 5, v0
	v_lshlrev_b32_e32 v17, 6, v0
	v_lshl_or_b32 v19, v4, 2, 0x1000
	v_lshlrev_b32_e32 v21, 4, v0
	s_mov_b32 s40, s3
	s_waitcnt lgkmcnt(0)
	s_add_u32 s20, s12, s14
	s_addc_u32 s2, s13, s15
	s_abs_i32 s33, s6
	s_lshl_b32 s22, s11, 2
	v_cvt_f32_u32_e32 v3, s33
	s_and_b32 s21, s2, 0xffff
	s_load_b256 s[12:19], s[0:1], 0x0
	s_movk_i32 s0, 0x7c
	s_add_i32 s1, s3, 15
	v_rcp_iflag_f32_e32 v3, v3
	v_lshlrev_b32_e32 v22, 2, v1
	v_lshrrev_b32_e32 v1, 3, v0
	s_ashr_i32 s2, s1, 31
	s_lshl_b32 s26, s3, 1
	s_lshr_b32 s2, s2, 28
	s_lshl_b32 s30, s3, 2
	v_and_or_b32 v18, v1, s0, 0x1000
	s_add_i32 s1, s1, s2
	v_cmp_eq_u32_e64 s0, 0, v0
	s_waitcnt_depctr 0xfff
	v_mul_f32_e32 v1, 0x4f7ffffe, v3
	buffer_load_b32 v2, v22, s[20:23], 0 offen
	s_waitcnt vmcnt(0) expcnt(0) lgkmcnt(0)
	s_barrier
	buffer_gl0_inv
	v_cvt_u32_f32_e32 v1, v1
	s_add_i32 s23, s3, 3
	s_ashr_i32 s1, s1, 4
	s_ashr_i32 s2, s23, 31
	v_cmp_gt_u32_e64 s1, s1, v0
	v_readfirstlane_b32 s35, v1
	s_lshr_b32 s2, s2, 30
	s_ashr_i32 s34, s6, 31
	s_add_i32 s23, s23, s2
	s_sub_i32 s2, 0, s33
	s_and_b32 s38, s23, -4
	s_mul_i32 s23, s2, s35
	s_delay_alu instid0(SALU_CYCLE_1) | instskip(NEXT) | instid1(SALU_CYCLE_1)
	s_mul_hi_u32 s23, s35, s23
	s_add_i32 s35, s35, s23
	v_lshlrev_b32_e32 v2, 2, v2
	ds_load_b32 v20, v2
	s_waitcnt lgkmcnt(0)
	v_readlane_b32 s2, v20, 0
	s_delay_alu instid0(VALU_DEP_1)
	s_cmp_lt_i32 s2, 0
	s_cbranch_scc1 .LBB81_12
; %bb.9:
	s_abs_i32 s23, s4
	s_xor_b32 s5, s5, s34
	s_mul_hi_u32 s24, s23, s35
	s_mov_b32 s31, -1
	s_mul_i32 s25, s24, s33
	s_delay_alu instid0(SALU_CYCLE_1)
	s_sub_i32 s23, s23, s25
	s_add_i32 s25, s24, 1
	s_sub_i32 s27, s23, s33
	s_cmp_ge_u32 s23, s33
	s_cselect_b32 s24, s25, s24
	s_cselect_b32 s23, s27, s23
	s_add_i32 s25, s24, 1
	s_cmp_ge_u32 s23, s33
	s_cselect_b32 s23, s25, s24
	s_delay_alu instid0(SALU_CYCLE_1) | instskip(NEXT) | instid1(SALU_CYCLE_1)
	s_xor_b32 s23, s23, s5
	s_sub_i32 s5, s23, s5
	s_delay_alu instid0(SALU_CYCLE_1) | instskip(SKIP_2) | instid1(SALU_CYCLE_1)
	s_mul_i32 s23, s5, s6
	s_mul_i32 s25, s5, s7
	s_sub_i32 s23, s4, s23
	s_mul_i32 s24, s23, s8
	s_delay_alu instid0(SALU_CYCLE_1) | instskip(NEXT) | instid1(SALU_CYCLE_1)
	s_add_i32 s41, s24, s25
	s_cmp_eq_u32 s41, -1
	s_cbranch_scc1 .LBB81_13
; %bb.10:
	s_mul_hi_i32 s25, s41, s40
	s_mul_i32 s24, s41, s40
	s_mov_b32 s27, s31
	s_lshl_b64 s[24:25], s[24:25], 1
	s_delay_alu instid0(SALU_CYCLE_1) | instskip(SKIP_1) | instid1(SALU_CYCLE_1)
	s_add_u32 s24, s16, s24
	s_addc_u32 s25, s17, s25
	s_and_b32 s25, s25, 0xffff
	s_clause 0x1
	buffer_load_b128 v[0:3], v16, s[24:27], 0 offen
	buffer_load_b128 v[4:7], v16, s[24:27], 16 offen
	s_waitcnt vmcnt(1)
	v_lshrrev_b32_e32 v8, 16, v0
	v_and_b32_e32 v0, 0xffff, v0
	v_lshrrev_b32_e32 v9, 16, v1
	v_and_b32_e32 v10, 0xffff, v1
	;; [unrolled: 2-line block ×4, first 2 shown]
	s_waitcnt vmcnt(0)
	v_lshrrev_b32_e32 v15, 16, v4
	v_and_b32_e32 v23, 0xffff, v4
	v_lshrrev_b32_e32 v24, 16, v5
	v_and_b32_e32 v25, 0xffff, v5
	;; [unrolled: 2-line block ×4, first 2 shown]
	v_cvt_f32_u32_e32 v1, v8
	v_cvt_f32_u32_e32 v0, v0
	;; [unrolled: 1-line block ×16, first 2 shown]
	s_branch .LBB81_14
.LBB81_11:
                                        ; implicit-def: $sgpr4
	s_branch .LBB81_2
.LBB81_12:
                                        ; implicit-def: $vgpr0_vgpr1_vgpr2_vgpr3_vgpr4_vgpr5_vgpr6_vgpr7_vgpr8_vgpr9_vgpr10_vgpr11_vgpr12_vgpr13_vgpr14_vgpr15
	s_cmp_eq_u32 s11, 1
	s_mov_b32 s5, 1
	s_cbranch_scc0 .LBB81_21
	s_branch .LBB81_35
.LBB81_13:
                                        ; implicit-def: $vgpr0_vgpr1_vgpr2_vgpr3_vgpr4_vgpr5_vgpr6_vgpr7_vgpr8_vgpr9_vgpr10_vgpr11_vgpr12_vgpr13_vgpr14_vgpr15
.LBB81_14:
	s_mul_i32 s24, s2, s3
	s_delay_alu instid0(SALU_CYCLE_1) | instskip(NEXT) | instid1(SALU_CYCLE_1)
	s_ashr_i32 s25, s24, 31
	s_lshl_b64 s[24:25], s[24:25], 2
	s_delay_alu instid0(SALU_CYCLE_1) | instskip(SKIP_1) | instid1(SALU_CYCLE_1)
	s_add_u32 s28, s18, s24
	s_addc_u32 s2, s19, s25
	s_and_b32 s29, s2, 0xffff
	s_clause 0x3
	buffer_load_b128 v[23:26], v17, s[28:31], 0 offen
	buffer_load_b128 v[27:30], v17, s[28:31], 16 offen
	;; [unrolled: 1-line block ×4, first 2 shown]
	s_waitcnt vmcnt(3)
	v_dual_mul_f32 v37, v0, v23 :: v_dual_mul_f32 v38, v1, v24
	v_dual_mul_f32 v35, v2, v25 :: v_dual_mul_f32 v36, v3, v26
	s_waitcnt vmcnt(2)
	v_dual_mul_f32 v33, v4, v27 :: v_dual_mul_f32 v34, v5, v28
	s_delay_alu instid0(VALU_DEP_3) | instskip(SKIP_3) | instid1(VALU_DEP_3)
	v_max3_f32 v23, |v37|, 0x2edbe6ff, |v38|
	v_dual_mul_f32 v31, v6, v29 :: v_dual_mul_f32 v32, v7, v30
	s_waitcnt vmcnt(1)
	v_dual_mul_f32 v29, v8, v39 :: v_dual_mul_f32 v30, v9, v40
	v_max3_f32 v23, v23, |v35|, |v36|
	v_dual_mul_f32 v27, v10, v41 :: v_dual_mul_f32 v28, v11, v42
	s_waitcnt vmcnt(0)
	v_dual_mul_f32 v25, v12, v43 :: v_dual_mul_f32 v26, v13, v44
	s_delay_alu instid0(VALU_DEP_3) | instskip(SKIP_1) | instid1(VALU_DEP_2)
	v_max3_f32 v23, v23, |v33|, |v34|
	v_mul_f32_e32 v24, v15, v46
	v_max3_f32 v23, v23, |v31|, |v32|
	s_delay_alu instid0(VALU_DEP_1) | instskip(NEXT) | instid1(VALU_DEP_1)
	v_max3_f32 v23, v23, |v29|, |v30|
	v_max3_f32 v39, v23, |v27|, |v28|
	v_mul_f32_e32 v23, v14, v45
	s_delay_alu instid0(VALU_DEP_2) | instskip(NEXT) | instid1(VALU_DEP_1)
	v_max3_f32 v39, v39, |v25|, |v26|
	v_max3_f32 v39, v39, |v23|, |v24|
	s_delay_alu instid0(VALU_DEP_1) | instskip(NEXT) | instid1(VALU_DEP_1)
	v_mov_b32_dpp v40, v39 quad_perm:[1,0,3,2] row_mask:0xf bank_mask:0xf
	v_cmp_gt_f32_e64 s2, v39, v40
	s_delay_alu instid0(VALU_DEP_1) | instskip(NEXT) | instid1(VALU_DEP_1)
	v_cndmask_b32_e64 v39, v40, v39, s2
	v_mov_b32_dpp v40, v39 quad_perm:[2,3,0,1] row_mask:0xf bank_mask:0xf
	s_delay_alu instid0(VALU_DEP_1) | instskip(NEXT) | instid1(VALU_DEP_1)
	v_cmp_gt_f32_e64 s2, v39, v40
	v_cndmask_b32_e64 v39, v40, v39, s2
	s_delay_alu instid0(VALU_DEP_1) | instskip(NEXT) | instid1(VALU_DEP_1)
	v_mov_b32_dpp v40, v39 row_xmask:7 row_mask:0xf bank_mask:0xf
	v_cmp_gt_f32_e64 s2, v39, v40
	s_delay_alu instid0(VALU_DEP_1) | instskip(NEXT) | instid1(VALU_DEP_1)
	v_cndmask_b32_e64 v39, v40, v39, s2
	v_mov_b32_dpp v40, v39 row_xmask:15 row_mask:0xf bank_mask:0xf
	s_delay_alu instid0(VALU_DEP_1)
	v_cmp_gt_f32_e64 s2, v39, v40
	s_and_saveexec_b32 s24, vcc_lo
	s_cbranch_execz .LBB81_16
; %bb.15:
	s_delay_alu instid0(VALU_DEP_1)
	v_cndmask_b32_e64 v39, v40, v39, s2
	s_mov_b32 s2, 0x76543210
	s_delay_alu instid0(VALU_DEP_1) | instid1(SALU_CYCLE_1)
	v_permlanex16_b32 v40, v39, s2, 0xfedcba98 op_sel:[1,1]
	s_delay_alu instid0(VALU_DEP_1) | instskip(NEXT) | instid1(VALU_DEP_1)
	v_cmp_gt_f32_e64 s2, v39, v40
	v_cndmask_b32_e64 v39, v40, v39, s2
	ds_store_b32 v18, v39
.LBB81_16:
	s_or_b32 exec_lo, exec_lo, s24
	s_waitcnt lgkmcnt(0)
	s_barrier
	buffer_gl0_inv
	ds_load_b32 v39, v19
	s_mul_i32 s5, s5, s9
	s_waitcnt lgkmcnt(0)
	v_mov_b32_dpp v40, v39 quad_perm:[1,0,3,2] row_mask:0xf bank_mask:0xf
	s_delay_alu instid0(VALU_DEP_1) | instskip(NEXT) | instid1(VALU_DEP_1)
	v_cmp_gt_f32_e64 s2, v39, v40
	v_cndmask_b32_e64 v39, v40, v39, s2
	s_delay_alu instid0(VALU_DEP_1) | instskip(NEXT) | instid1(VALU_DEP_1)
	v_mov_b32_dpp v40, v39 quad_perm:[2,3,0,1] row_mask:0xf bank_mask:0xf
	v_cmp_gt_f32_e64 s2, v39, v40
	s_delay_alu instid0(VALU_DEP_1) | instskip(NEXT) | instid1(VALU_DEP_1)
	v_cndmask_b32_e64 v39, v40, v39, s2
	v_mov_b32_dpp v40, v39 row_xmask:7 row_mask:0xf bank_mask:0xf
	s_delay_alu instid0(VALU_DEP_1) | instskip(NEXT) | instid1(VALU_DEP_1)
	v_cmp_gt_f32_e64 s2, v39, v40
	v_cndmask_b32_e64 v39, v40, v39, s2
	s_mul_i32 s2, s23, s10
	s_delay_alu instid0(SALU_CYCLE_1) | instskip(NEXT) | instid1(VALU_DEP_1)
	s_add_i32 s24, s2, s5
	v_mul_f32_e32 v39, 0x3b124925, v39
	s_and_saveexec_b32 s2, s0
	s_cbranch_execz .LBB81_18
; %bb.17:
	s_ashr_i32 s25, s24, 31
	v_mov_b32_e32 v40, 0
	s_lshl_b64 s[28:29], s[24:25], 2
	s_delay_alu instid0(SALU_CYCLE_1)
	s_add_u32 s28, s14, s28
	s_addc_u32 s29, s15, s29
	global_store_b32 v40, v39, s[28:29]
.LBB81_18:
	s_or_b32 exec_lo, exec_lo, s2
	s_and_saveexec_b32 s2, s1
	s_cbranch_execz .LBB81_20
; %bb.19:
	v_rcp_f32_e32 v39, v39
	v_mov_b32_e32 v40, 0xc3e00000
	v_mov_b32_e32 v41, 0x43e00000
	s_mul_i32 s23, s24, s40
	s_mul_hi_i32 s5, s24, s40
	s_add_u32 s36, s12, s23
	s_addc_u32 s5, s13, s5
	s_mov_b32 s39, -1
	s_and_b32 s37, s5, 0xffff
	s_waitcnt_depctr 0xfff
	v_mul_f32_e32 v38, v38, v39
	v_mul_f32_e32 v37, v37, v39
	;; [unrolled: 1-line block ×4, first 2 shown]
	;;#ASMSTART
	v_med3_f32 v37, v37, v40, v41
v_med3_f32 v38, v38, v40, v41
v_cvt_pk_fp8_f32 v42, v37, v38
	;;#ASMEND
	v_mul_f32_e32 v33, v33, v39
	v_mul_f32_e32 v34, v34, v39
	;;#ASMSTART
	v_med3_f32 v35, v35, v40, v41
v_med3_f32 v36, v36, v40, v41
v_cvt_pk_fp8_f32 v37, v35, v36
	;;#ASMEND
	v_mul_f32_e32 v31, v31, v39
	v_mul_f32_e32 v32, v32, v39
	v_perm_b32 v35, v37, v42, 0x5040100
	;;#ASMSTART
	v_med3_f32 v33, v33, v40, v41
v_med3_f32 v34, v34, v40, v41
v_cvt_pk_fp8_f32 v36, v33, v34
	;;#ASMEND
	;;#ASMSTART
	v_med3_f32 v31, v31, v40, v41
v_med3_f32 v32, v32, v40, v41
v_cvt_pk_fp8_f32 v33, v31, v32
	;;#ASMEND
	v_mul_f32_e32 v29, v29, v39
	v_mul_f32_e32 v30, v30, v39
	v_perm_b32 v32, v36, v33, 0x1000504
	v_mul_f32_e32 v27, v27, v39
	v_mul_f32_e32 v28, v28, v39
	;;#ASMSTART
	v_med3_f32 v29, v29, v40, v41
v_med3_f32 v30, v30, v40, v41
v_cvt_pk_fp8_f32 v33, v29, v30
	;;#ASMEND
	v_mul_f32_e32 v25, v25, v39
	v_mul_f32_e32 v26, v26, v39
	;;#ASMSTART
	v_med3_f32 v27, v27, v40, v41
v_med3_f32 v28, v28, v40, v41
v_cvt_pk_fp8_f32 v29, v27, v28
	;;#ASMEND
	;; [unrolled: 7-line block ×3, first 2 shown]
	v_perm_b32 v31, v35, v37, 0x1060504
	v_perm_b32 v33, v33, v29, 0x1000504
	;;#ASMSTART
	v_med3_f32 v23, v23, v40, v41
v_med3_f32 v24, v24, v40, v41
v_cvt_pk_fp8_f32 v25, v23, v24
	;;#ASMEND
	v_perm_b32 v34, v27, v25, 0x1000504
	buffer_store_b128 v[31:34], v21, s[36:39], 0 offen
	;;#ASMSTART
	s_nop 0
	;;#ASMEND
.LBB81_20:
	s_or_b32 exec_lo, exec_lo, s2
	s_cmp_eq_u32 s11, 1
	s_mov_b32 s5, 1
	s_cbranch_scc1 .LBB81_35
.LBB81_21:
	v_dual_mov_b32 v23, 0 :: v_dual_add_nc_u32 v22, 4, v22
	v_mov_b32_e32 v24, 0xc3e00000
	v_mov_b32_e32 v25, 0x43e00000
	s_mov_b32 s31, -1
	s_mov_b32 s42, 0x76543210
	s_branch .LBB81_24
.LBB81_22:                              ;   in Loop: Header=BB81_24 Depth=1
	s_or_b32 exec_lo, exec_lo, s2
.LBB81_23:                              ;   in Loop: Header=BB81_24 Depth=1
	v_add_nc_u32_e32 v22, 4, v22
	s_add_i32 s5, s5, 1
	s_delay_alu instid0(SALU_CYCLE_1)
	s_cmp_eq_u32 s11, s5
	s_cbranch_scc1 .LBB81_35
.LBB81_24:                              ; =>This Inner Loop Header: Depth=1
	s_and_b32 s2, s5, 31
	s_delay_alu instid0(SALU_CYCLE_1)
	s_cmp_lg_u32 s2, 0
	s_cbranch_scc1 .LBB81_26
; %bb.25:                               ;   in Loop: Header=BB81_24 Depth=1
	s_mov_b32 s23, s31
	buffer_load_b32 v20, v22, s[20:23], 0 offen
	s_waitcnt vmcnt(0) expcnt(0) lgkmcnt(55)
	v_lshlrev_b32_e32 v20, 2, v20
	ds_load_b32 v20, v20
.LBB81_26:                              ;   in Loop: Header=BB81_24 Depth=1
	s_waitcnt lgkmcnt(0)
	v_readlane_b32 s2, v20, s2
	s_delay_alu instid0(VALU_DEP_1)
	s_cmp_lt_i32 s2, 0
	s_cbranch_scc1 .LBB81_23
; %bb.27:                               ;   in Loop: Header=BB81_24 Depth=1
	s_add_i32 s24, s4, s5
	s_delay_alu instid0(SALU_CYCLE_1) | instskip(SKIP_4) | instid1(SALU_CYCLE_1)
	s_abs_i32 s23, s24
	s_ashr_i32 s27, s24, 31
	s_mul_hi_u32 s25, s23, s35
	s_xor_b32 s27, s27, s34
	s_mul_i32 s28, s25, s33
	s_sub_i32 s23, s23, s28
	s_add_i32 s28, s25, 1
	s_sub_i32 s29, s23, s33
	s_cmp_ge_u32 s23, s33
	s_cselect_b32 s25, s28, s25
	s_cselect_b32 s23, s29, s23
	s_add_i32 s28, s25, 1
	s_cmp_ge_u32 s23, s33
	s_cselect_b32 s23, s28, s25
	s_delay_alu instid0(SALU_CYCLE_1) | instskip(NEXT) | instid1(SALU_CYCLE_1)
	s_xor_b32 s23, s23, s27
	s_sub_i32 s23, s23, s27
	s_delay_alu instid0(SALU_CYCLE_1) | instskip(NEXT) | instid1(SALU_CYCLE_1)
	s_mul_i32 s25, s23, s6
	s_sub_i32 s36, s24, s25
	s_mul_i32 s24, s23, s7
	s_mul_i32 s28, s36, s8
	s_delay_alu instid0(SALU_CYCLE_1) | instskip(NEXT) | instid1(SALU_CYCLE_1)
	s_add_i32 s28, s28, s24
	s_cmp_eq_u32 s28, s41
	s_cbranch_scc1 .LBB81_29
; %bb.28:                               ;   in Loop: Header=BB81_24 Depth=1
	s_mul_hi_i32 s25, s28, s40
	s_mul_i32 s24, s28, s40
	s_mov_b32 s27, s31
	s_lshl_b64 s[24:25], s[24:25], 1
	s_mov_b32 s41, s28
	s_add_u32 s24, s16, s24
	s_addc_u32 s25, s17, s25
	s_delay_alu instid0(SALU_CYCLE_1)
	s_and_b32 s25, s25, 0xffff
	s_clause 0x1
	buffer_load_b128 v[0:3], v16, s[24:27], 0 offen
	buffer_load_b128 v[4:7], v16, s[24:27], 16 offen
	s_waitcnt vmcnt(1)
	v_lshrrev_b32_e32 v8, 16, v0
	v_and_b32_e32 v0, 0xffff, v0
	v_lshrrev_b32_e32 v9, 16, v1
	v_and_b32_e32 v10, 0xffff, v1
	v_lshrrev_b32_e32 v11, 16, v2
	v_and_b32_e32 v12, 0xffff, v2
	v_lshrrev_b32_e32 v13, 16, v3
	v_and_b32_e32 v14, 0xffff, v3
	s_waitcnt vmcnt(0)
	v_lshrrev_b32_e32 v15, 16, v4
	v_and_b32_e32 v26, 0xffff, v4
	v_lshrrev_b32_e32 v27, 16, v5
	v_and_b32_e32 v28, 0xffff, v5
	;; [unrolled: 2-line block ×4, first 2 shown]
	v_cvt_f32_u32_e32 v1, v8
	v_cvt_f32_u32_e32 v0, v0
	;; [unrolled: 1-line block ×16, first 2 shown]
.LBB81_29:                              ;   in Loop: Header=BB81_24 Depth=1
	s_mul_i32 s24, s2, s3
	s_delay_alu instid0(SALU_CYCLE_1) | instskip(NEXT) | instid1(SALU_CYCLE_1)
	s_ashr_i32 s25, s24, 31
	s_lshl_b64 s[24:25], s[24:25], 2
	s_delay_alu instid0(SALU_CYCLE_1) | instskip(SKIP_1) | instid1(SALU_CYCLE_1)
	s_add_u32 s28, s18, s24
	s_addc_u32 s2, s19, s25
	s_and_b32 s29, s2, 0xffff
	s_clause 0x3
	buffer_load_b128 v[26:29], v17, s[28:31], 0 offen
	buffer_load_b128 v[30:33], v17, s[28:31], 16 offen
	;; [unrolled: 1-line block ×4, first 2 shown]
	s_waitcnt vmcnt(3)
	v_dual_mul_f32 v40, v0, v26 :: v_dual_mul_f32 v41, v1, v27
	v_dual_mul_f32 v38, v2, v28 :: v_dual_mul_f32 v39, v3, v29
	s_waitcnt vmcnt(2)
	v_dual_mul_f32 v36, v4, v30 :: v_dual_mul_f32 v37, v5, v31
	s_delay_alu instid0(VALU_DEP_3) | instskip(SKIP_3) | instid1(VALU_DEP_3)
	v_max3_f32 v26, |v40|, 0x2edbe6ff, |v41|
	v_dual_mul_f32 v34, v6, v32 :: v_dual_mul_f32 v35, v7, v33
	s_waitcnt vmcnt(1)
	v_dual_mul_f32 v33, v8, v42 :: v_dual_mul_f32 v32, v9, v43
	v_max3_f32 v26, v26, |v38|, |v39|
	v_dual_mul_f32 v30, v10, v44 :: v_dual_mul_f32 v31, v11, v45
	s_waitcnt vmcnt(0)
	v_dual_mul_f32 v28, v12, v46 :: v_dual_mul_f32 v29, v13, v47
	s_delay_alu instid0(VALU_DEP_3) | instskip(SKIP_1) | instid1(VALU_DEP_2)
	v_max3_f32 v26, v26, |v36|, |v37|
	v_mul_f32_e32 v27, v15, v49
	v_max3_f32 v26, v26, |v34|, |v35|
	s_delay_alu instid0(VALU_DEP_1) | instskip(NEXT) | instid1(VALU_DEP_1)
	v_max3_f32 v26, v26, |v33|, |v32|
	v_max3_f32 v42, v26, |v30|, |v31|
	v_mul_f32_e32 v26, v14, v48
	s_delay_alu instid0(VALU_DEP_2) | instskip(NEXT) | instid1(VALU_DEP_1)
	v_max3_f32 v42, v42, |v28|, |v29|
	v_max3_f32 v42, v42, |v26|, |v27|
	s_delay_alu instid0(VALU_DEP_1) | instskip(NEXT) | instid1(VALU_DEP_1)
	v_mov_b32_dpp v43, v42 quad_perm:[1,0,3,2] row_mask:0xf bank_mask:0xf
	v_cmp_gt_f32_e64 s2, v42, v43
	s_delay_alu instid0(VALU_DEP_1) | instskip(NEXT) | instid1(VALU_DEP_1)
	v_cndmask_b32_e64 v42, v43, v42, s2
	v_mov_b32_dpp v43, v42 quad_perm:[2,3,0,1] row_mask:0xf bank_mask:0xf
	s_delay_alu instid0(VALU_DEP_1) | instskip(NEXT) | instid1(VALU_DEP_1)
	v_cmp_gt_f32_e64 s2, v42, v43
	v_cndmask_b32_e64 v42, v43, v42, s2
	s_delay_alu instid0(VALU_DEP_1) | instskip(NEXT) | instid1(VALU_DEP_1)
	v_mov_b32_dpp v43, v42 row_xmask:7 row_mask:0xf bank_mask:0xf
	v_cmp_gt_f32_e64 s2, v42, v43
	s_delay_alu instid0(VALU_DEP_1) | instskip(NEXT) | instid1(VALU_DEP_1)
	v_cndmask_b32_e64 v42, v43, v42, s2
	v_mov_b32_dpp v43, v42 row_xmask:15 row_mask:0xf bank_mask:0xf
	s_delay_alu instid0(VALU_DEP_1)
	v_cmp_gt_f32_e64 s2, v42, v43
	s_and_saveexec_b32 s24, vcc_lo
	s_cbranch_execz .LBB81_31
; %bb.30:                               ;   in Loop: Header=BB81_24 Depth=1
	s_delay_alu instid0(VALU_DEP_1) | instskip(NEXT) | instid1(VALU_DEP_1)
	v_cndmask_b32_e64 v42, v43, v42, s2
	v_permlanex16_b32 v43, v42, s42, 0xfedcba98 op_sel:[1,1]
	s_delay_alu instid0(VALU_DEP_1) | instskip(NEXT) | instid1(VALU_DEP_1)
	v_cmp_gt_f32_e64 s2, v42, v43
	v_cndmask_b32_e64 v42, v43, v42, s2
	ds_store_b32 v18, v42
.LBB81_31:                              ;   in Loop: Header=BB81_24 Depth=1
	s_or_b32 exec_lo, exec_lo, s24
	s_waitcnt lgkmcnt(0)
	s_waitcnt_vscnt null, 0x0
	s_barrier
	buffer_gl0_inv
	ds_load_b32 v42, v19
	s_mul_i32 s23, s23, s9
	s_waitcnt lgkmcnt(0)
	v_mov_b32_dpp v43, v42 quad_perm:[1,0,3,2] row_mask:0xf bank_mask:0xf
	s_delay_alu instid0(VALU_DEP_1) | instskip(NEXT) | instid1(VALU_DEP_1)
	v_cmp_gt_f32_e64 s2, v42, v43
	v_cndmask_b32_e64 v42, v43, v42, s2
	s_delay_alu instid0(VALU_DEP_1) | instskip(NEXT) | instid1(VALU_DEP_1)
	v_mov_b32_dpp v43, v42 quad_perm:[2,3,0,1] row_mask:0xf bank_mask:0xf
	v_cmp_gt_f32_e64 s2, v42, v43
	s_delay_alu instid0(VALU_DEP_1) | instskip(NEXT) | instid1(VALU_DEP_1)
	v_cndmask_b32_e64 v42, v43, v42, s2
	v_mov_b32_dpp v43, v42 row_xmask:7 row_mask:0xf bank_mask:0xf
	s_delay_alu instid0(VALU_DEP_1) | instskip(NEXT) | instid1(VALU_DEP_1)
	v_cmp_gt_f32_e64 s2, v42, v43
	v_cndmask_b32_e64 v42, v43, v42, s2
	s_mul_i32 s2, s36, s10
	s_delay_alu instid0(SALU_CYCLE_1) | instskip(NEXT) | instid1(VALU_DEP_1)
	s_add_i32 s24, s2, s23
	v_mul_f32_e32 v42, 0x3b124925, v42
	s_and_saveexec_b32 s2, s0
	s_cbranch_execz .LBB81_33
; %bb.32:                               ;   in Loop: Header=BB81_24 Depth=1
	s_ashr_i32 s25, s24, 31
	s_delay_alu instid0(SALU_CYCLE_1) | instskip(NEXT) | instid1(SALU_CYCLE_1)
	s_lshl_b64 s[28:29], s[24:25], 2
	s_add_u32 s28, s14, s28
	s_addc_u32 s29, s15, s29
	global_store_b32 v23, v42, s[28:29]
.LBB81_33:                              ;   in Loop: Header=BB81_24 Depth=1
	s_or_b32 exec_lo, exec_lo, s2
	s_and_saveexec_b32 s2, s1
	s_cbranch_execz .LBB81_22
; %bb.34:                               ;   in Loop: Header=BB81_24 Depth=1
	v_rcp_f32_e32 v42, v42
	s_mul_i32 s23, s24, s40
	s_mul_hi_i32 s24, s24, s40
	s_add_u32 s36, s12, s23
	s_addc_u32 s23, s13, s24
	s_mov_b32 s39, s31
	s_and_b32 s37, s23, 0xffff
	s_waitcnt_depctr 0xfff
	v_mul_f32_e32 v40, v40, v42
	v_mul_f32_e32 v41, v41, v42
	;; [unrolled: 1-line block ×5, first 2 shown]
	;;#ASMSTART
	v_med3_f32 v40, v40, v24, v25
v_med3_f32 v41, v41, v24, v25
v_cvt_pk_fp8_f32 v33, v40, v41
	;;#ASMEND
	;;#ASMSTART
	v_med3_f32 v38, v38, v24, v25
v_med3_f32 v39, v39, v24, v25
v_cvt_pk_fp8_f32 v40, v38, v39
	;;#ASMEND
	v_perm_b32 v38, v40, v33, 0x5040100
	v_mul_f32_e32 v36, v36, v42
	v_mul_f32_e32 v37, v37, v42
	;; [unrolled: 1-line block ×5, first 2 shown]
	;;#ASMSTART
	v_med3_f32 v36, v36, v24, v25
v_med3_f32 v37, v37, v24, v25
v_cvt_pk_fp8_f32 v32, v36, v37
	;;#ASMEND
	;;#ASMSTART
	v_med3_f32 v34, v34, v24, v25
v_med3_f32 v35, v35, v24, v25
v_cvt_pk_fp8_f32 v33, v34, v35
	;;#ASMEND
	v_mul_f32_e32 v30, v30, v42
	v_mul_f32_e32 v31, v31, v42
	;; [unrolled: 1-line block ×4, first 2 shown]
	;;#ASMSTART
	v_med3_f32 v43, v43, v24, v25
v_med3_f32 v39, v39, v24, v25
v_cvt_pk_fp8_f32 v34, v43, v39
	;;#ASMEND
	;;#ASMSTART
	v_med3_f32 v30, v30, v24, v25
v_med3_f32 v31, v31, v24, v25
v_cvt_pk_fp8_f32 v35, v30, v31
	;;#ASMEND
	v_mul_f32_e32 v26, v26, v42
	v_mul_f32_e32 v27, v27, v42
	;;#ASMSTART
	v_med3_f32 v28, v28, v24, v25
v_med3_f32 v29, v29, v24, v25
v_cvt_pk_fp8_f32 v30, v28, v29
	;;#ASMEND
	v_perm_b32 v33, v32, v33, 0x1000504
	v_perm_b32 v32, v38, v40, 0x1060504
	;; [unrolled: 1-line block ×3, first 2 shown]
	;;#ASMSTART
	v_med3_f32 v26, v26, v24, v25
v_med3_f32 v27, v27, v24, v25
v_cvt_pk_fp8_f32 v28, v26, v27
	;;#ASMEND
	v_perm_b32 v35, v30, v28, 0x1000504
	buffer_store_b128 v[32:35], v21, s[36:39], 0 offen
	;;#ASMSTART
	s_nop 0
	;;#ASMEND
	s_branch .LBB81_22
.LBB81_35:
	s_nop 0
	s_sendmsg sendmsg(MSG_DEALLOC_VGPRS)
	s_endpgm
	.section	.rodata,"a",@progbits
	.p2align	6, 0x0
	.amdhsa_kernel _ZN5aiter36smooth_per_token_scaled_quant_kernelItDB8_Li256ELi16ELb0ELb1ELb1ELi1024EEEvPT0_PfPT_S4_PiS7_iiPKiiiiiiiii
		.amdhsa_group_segment_fixed_size 4128
		.amdhsa_private_segment_fixed_size 0
		.amdhsa_kernarg_size 96
		.amdhsa_user_sgpr_count 15
		.amdhsa_user_sgpr_dispatch_ptr 0
		.amdhsa_user_sgpr_queue_ptr 0
		.amdhsa_user_sgpr_kernarg_segment_ptr 1
		.amdhsa_user_sgpr_dispatch_id 0
		.amdhsa_user_sgpr_private_segment_size 0
		.amdhsa_wavefront_size32 1
		.amdhsa_uses_dynamic_stack 0
		.amdhsa_enable_private_segment 0
		.amdhsa_system_sgpr_workgroup_id_x 1
		.amdhsa_system_sgpr_workgroup_id_y 0
		.amdhsa_system_sgpr_workgroup_id_z 0
		.amdhsa_system_sgpr_workgroup_info 0
		.amdhsa_system_vgpr_workitem_id 0
		.amdhsa_next_free_vgpr 50
		.amdhsa_next_free_sgpr 43
		.amdhsa_reserve_vcc 1
		.amdhsa_float_round_mode_32 0
		.amdhsa_float_round_mode_16_64 0
		.amdhsa_float_denorm_mode_32 3
		.amdhsa_float_denorm_mode_16_64 3
		.amdhsa_dx10_clamp 1
		.amdhsa_ieee_mode 1
		.amdhsa_fp16_overflow 0
		.amdhsa_workgroup_processor_mode 1
		.amdhsa_memory_ordered 1
		.amdhsa_forward_progress 0
		.amdhsa_shared_vgpr_count 0
		.amdhsa_exception_fp_ieee_invalid_op 0
		.amdhsa_exception_fp_denorm_src 0
		.amdhsa_exception_fp_ieee_div_zero 0
		.amdhsa_exception_fp_ieee_overflow 0
		.amdhsa_exception_fp_ieee_underflow 0
		.amdhsa_exception_fp_ieee_inexact 0
		.amdhsa_exception_int_div_zero 0
	.end_amdhsa_kernel
	.section	.text._ZN5aiter36smooth_per_token_scaled_quant_kernelItDB8_Li256ELi16ELb0ELb1ELb1ELi1024EEEvPT0_PfPT_S4_PiS7_iiPKiiiiiiiii,"axG",@progbits,_ZN5aiter36smooth_per_token_scaled_quant_kernelItDB8_Li256ELi16ELb0ELb1ELb1ELi1024EEEvPT0_PfPT_S4_PiS7_iiPKiiiiiiiii,comdat
.Lfunc_end81:
	.size	_ZN5aiter36smooth_per_token_scaled_quant_kernelItDB8_Li256ELi16ELb0ELb1ELb1ELi1024EEEvPT0_PfPT_S4_PiS7_iiPKiiiiiiiii, .Lfunc_end81-_ZN5aiter36smooth_per_token_scaled_quant_kernelItDB8_Li256ELi16ELb0ELb1ELb1ELi1024EEEvPT0_PfPT_S4_PiS7_iiPKiiiiiiiii
                                        ; -- End function
	.section	.AMDGPU.csdata,"",@progbits
; Kernel info:
; codeLenInByte = 4120
; NumSgprs: 45
; NumVgprs: 50
; ScratchSize: 0
; MemoryBound: 0
; FloatMode: 240
; IeeeMode: 1
; LDSByteSize: 4128 bytes/workgroup (compile time only)
; SGPRBlocks: 5
; VGPRBlocks: 6
; NumSGPRsForWavesPerEU: 45
; NumVGPRsForWavesPerEU: 50
; Occupancy: 16
; WaveLimiterHint : 0
; COMPUTE_PGM_RSRC2:SCRATCH_EN: 0
; COMPUTE_PGM_RSRC2:USER_SGPR: 15
; COMPUTE_PGM_RSRC2:TRAP_HANDLER: 0
; COMPUTE_PGM_RSRC2:TGID_X_EN: 1
; COMPUTE_PGM_RSRC2:TGID_Y_EN: 0
; COMPUTE_PGM_RSRC2:TGID_Z_EN: 0
; COMPUTE_PGM_RSRC2:TIDIG_COMP_CNT: 0
	.section	.text._ZN5aiter36smooth_per_token_scaled_quant_kernelIDF16_DB8_Li256ELi16ELb0ELb1ELb0ELi1024EEEvPT0_PfPT_S4_PiS7_iiPKiiiiiiiii,"axG",@progbits,_ZN5aiter36smooth_per_token_scaled_quant_kernelIDF16_DB8_Li256ELi16ELb0ELb1ELb0ELi1024EEEvPT0_PfPT_S4_PiS7_iiPKiiiiiiiii,comdat
	.protected	_ZN5aiter36smooth_per_token_scaled_quant_kernelIDF16_DB8_Li256ELi16ELb0ELb1ELb0ELi1024EEEvPT0_PfPT_S4_PiS7_iiPKiiiiiiiii ; -- Begin function _ZN5aiter36smooth_per_token_scaled_quant_kernelIDF16_DB8_Li256ELi16ELb0ELb1ELb0ELi1024EEEvPT0_PfPT_S4_PiS7_iiPKiiiiiiiii
	.globl	_ZN5aiter36smooth_per_token_scaled_quant_kernelIDF16_DB8_Li256ELi16ELb0ELb1ELb0ELi1024EEEvPT0_PfPT_S4_PiS7_iiPKiiiiiiiii
	.p2align	8
	.type	_ZN5aiter36smooth_per_token_scaled_quant_kernelIDF16_DB8_Li256ELi16ELb0ELb1ELb0ELi1024EEEvPT0_PfPT_S4_PiS7_iiPKiiiiiiiii,@function
_ZN5aiter36smooth_per_token_scaled_quant_kernelIDF16_DB8_Li256ELi16ELb0ELb1ELb0ELi1024EEEvPT0_PfPT_S4_PiS7_iiPKiiiiiiiii: ; @_ZN5aiter36smooth_per_token_scaled_quant_kernelIDF16_DB8_Li256ELi16ELb0ELb1ELb0ELi1024EEEvPT0_PfPT_S4_PiS7_iiPKiiiiiiiii
; %bb.0:
	s_clause 0x1
	s_load_b64 s[2:3], s[0:1], 0x38
	s_load_b256 s[4:11], s[0:1], 0x40
	s_waitcnt lgkmcnt(0)
	s_cmp_lg_u64 s[2:3], 0
	s_cbranch_scc0 .LBB82_24
; %bb.1:
	s_load_b32 s2, s[2:3], 0x0
	s_waitcnt lgkmcnt(0)
	s_mul_i32 s4, s2, s4
	s_cbranch_execnz .LBB82_3
.LBB82_2:
	s_mul_i32 s4, s6, s5
.LBB82_3:
	s_load_b64 s[2:3], s[0:1], 0x30
	s_abs_i32 s13, s4
	s_waitcnt lgkmcnt(0)
	s_abs_i32 s5, s2
	s_delay_alu instid0(SALU_CYCLE_1) | instskip(SKIP_1) | instid1(VALU_DEP_1)
	v_cvt_f32_u32_e32 v1, s5
	s_sub_i32 s12, 0, s5
	v_rcp_iflag_f32_e32 v1, v1
	s_waitcnt_depctr 0xfff
	v_mul_f32_e32 v1, 0x4f7ffffe, v1
	s_delay_alu instid0(VALU_DEP_1) | instskip(NEXT) | instid1(VALU_DEP_1)
	v_cvt_u32_f32_e32 v1, v1
	v_readfirstlane_b32 s11, v1
	s_delay_alu instid0(VALU_DEP_1) | instskip(NEXT) | instid1(SALU_CYCLE_1)
	s_mul_i32 s12, s12, s11
	s_mul_hi_u32 s12, s11, s12
	s_delay_alu instid0(SALU_CYCLE_1) | instskip(SKIP_4) | instid1(SALU_CYCLE_1)
	s_add_i32 s11, s11, s12
	s_xor_b32 s12, s4, s2
	s_mul_hi_u32 s11, s13, s11
	s_ashr_i32 s12, s12, 31
	s_mul_i32 s14, s11, s5
	s_sub_i32 s13, s13, s14
	s_add_i32 s14, s11, 1
	s_sub_i32 s16, s13, s5
	s_cmp_ge_u32 s13, s5
	s_cselect_b32 s11, s14, s11
	s_cselect_b32 s13, s16, s13
	s_add_i32 s14, s11, 1
	s_cmp_ge_u32 s13, s5
	s_cselect_b32 s5, s14, s11
	s_delay_alu instid0(SALU_CYCLE_1) | instskip(NEXT) | instid1(SALU_CYCLE_1)
	s_xor_b32 s5, s5, s12
	s_sub_i32 s11, s5, s12
	s_mov_b32 s12, 0
	s_mul_i32 s2, s11, s2
	s_delay_alu instid0(SALU_CYCLE_1) | instskip(NEXT) | instid1(SALU_CYCLE_1)
	s_sub_i32 s4, s4, s2
	s_cmp_lt_u32 s15, s4
	s_cselect_b32 s2, -1, 0
	s_add_i32 s5, s11, 1
	s_cmp_ge_u32 s15, s4
	s_cbranch_scc0 .LBB82_5
; %bb.4:
	s_sub_i32 s13, s15, s4
	s_mul_i32 s4, s4, s5
	s_mul_i32 s13, s13, s11
	s_delay_alu instid0(SALU_CYCLE_1)
	s_add_i32 s4, s13, s4
	s_and_not1_b32 vcc_lo, exec_lo, s12
	s_cbranch_vccz .LBB82_6
	s_branch .LBB82_7
.LBB82_5:
                                        ; implicit-def: $sgpr4
.LBB82_6:
	s_mul_i32 s4, s5, s15
.LBB82_7:
	v_cndmask_b32_e64 v1, 0, 1, s2
	s_delay_alu instid0(VALU_DEP_1) | instskip(NEXT) | instid1(VALU_DEP_1)
	v_readfirstlane_b32 s2, v1
	s_add_i32 s11, s11, s2
	s_delay_alu instid0(SALU_CYCLE_1)
	s_cmp_lt_i32 s11, 1
	s_cbranch_scc1 .LBB82_23
; %bb.8:
	s_clause 0x1
	s_load_b64 s[20:21], s[0:1], 0x20
	s_load_b256 s[12:19], s[0:1], 0x0
	s_ashr_i32 s5, s4, 31
	v_dual_mov_b32 v10, 0 :: v_dual_and_b32 v9, 31, v0
	s_lshl_b64 s[0:1], s[4:5], 2
	v_lshrrev_b32_e32 v7, 3, v0
	v_dual_mov_b32 v4, 0 :: v_dual_lshlrev_b32 v1, 5, v0
	v_dual_mov_b32 v5, 0xc3e00000 :: v_dual_lshlrev_b32 v2, 6, v0
	v_cmp_eq_u32_e32 vcc_lo, 0, v0
	v_lshlrev_b32_e32 v3, 4, v0
	v_and_b32_e32 v7, 0x7c, v7
	s_mov_b32 s23, -1
	s_mov_b32 s33, s3
	s_mov_b32 s34, 0
	;; [unrolled: 1-line block ×3, first 2 shown]
                                        ; implicit-def: $vgpr15
                                        ; implicit-def: $vgpr17
                                        ; implicit-def: $vgpr12
                                        ; implicit-def: $vgpr18
                                        ; implicit-def: $vgpr13
                                        ; implicit-def: $vgpr20
                                        ; implicit-def: $vgpr14
                                        ; implicit-def: $vgpr22
                                        ; implicit-def: $vgpr16
                                        ; implicit-def: $vgpr23
                                        ; implicit-def: $vgpr19
                                        ; implicit-def: $vgpr24
                                        ; implicit-def: $vgpr21
                                        ; implicit-def: $vgpr25
	s_waitcnt lgkmcnt(0)
	s_add_u32 s24, s20, s0
	s_addc_u32 s1, s21, s1
	s_abs_i32 s5, s6
	s_add_i32 s2, s3, 15
	v_cvt_f32_u32_e32 v6, s5
	s_and_b32 s25, s1, 0xffff
	s_ashr_i32 s1, s2, 31
	s_add_i32 s20, s3, 3
	s_lshr_b32 s1, s1, 28
	v_rcp_iflag_f32_e32 v11, v6
	v_mov_b32_e32 v6, 0x43e00000
	v_and_b32_e32 v8, 7, v0
	s_add_i32 s2, s2, s1
	s_ashr_i32 s21, s20, 31
	s_sub_i32 s28, 0, s5
	s_ashr_i32 s1, s2, 4
	s_lshr_b32 s21, s21, 30
	v_cmp_eq_u32_e64 s0, 31, v9
	v_lshlrev_b32_e32 v9, 2, v9
	s_waitcnt_depctr 0xfff
	v_dual_mul_f32 v11, 0x4f7ffffe, v11 :: v_dual_lshlrev_b32 v8, 2, v8
	v_cmp_gt_u32_e64 s1, s1, v0
	s_lshl_b32 s22, s11, 2
	s_add_i32 s20, s20, s21
	s_delay_alu instid0(VALU_DEP_2)
	v_cvt_u32_f32_e32 v11, v11
	s_lshl_b32 s30, s3, 1
	s_ashr_i32 s40, s6, 31
	s_mov_b64 s[26:27], s[22:23]
	s_lshl_b32 s22, s3, 2
	v_readfirstlane_b32 s29, v11
	s_and_b32 s38, s20, -4
                                        ; implicit-def: $vgpr0
                                        ; implicit-def: $vgpr11
	s_delay_alu instid0(VALU_DEP_1) | instskip(NEXT) | instid1(SALU_CYCLE_1)
	s_mul_i32 s28, s28, s29
	s_mul_hi_u32 s2, s29, s28
	s_mov_b32 s28, s23
	s_add_i32 s41, s29, s2
	s_branch .LBB82_11
.LBB82_9:                               ;   in Loop: Header=BB82_11 Depth=1
	s_or_b32 exec_lo, exec_lo, s2
.LBB82_10:                              ;   in Loop: Header=BB82_11 Depth=1
	v_add_nc_u32_e32 v9, 4, v9
	s_add_i32 s34, s34, 1
	s_delay_alu instid0(SALU_CYCLE_1)
	s_cmp_eq_u32 s11, s34
	s_cbranch_scc1 .LBB82_23
.LBB82_11:                              ; =>This Inner Loop Header: Depth=1
	s_and_b32 s2, s34, 31
	s_delay_alu instid0(SALU_CYCLE_1)
	s_cmp_lg_u32 s2, 0
	s_cbranch_scc1 .LBB82_14
; %bb.12:                               ;   in Loop: Header=BB82_11 Depth=1
	buffer_load_b32 v10, v9, s[24:27], 0 offen
	s_cmp_lg_u32 s34, 0
	s_waitcnt vmcnt(3) expcnt(0) lgkmcnt(55)
	s_cbranch_scc1 .LBB82_14
; %bb.13:                               ;   in Loop: Header=BB82_11 Depth=1
	s_waitcnt vmcnt(0)
	s_waitcnt_vscnt null, 0x0
	s_barrier
	buffer_gl0_inv
.LBB82_14:                              ;   in Loop: Header=BB82_11 Depth=1
	s_waitcnt vmcnt(0)
	v_readlane_b32 s2, v10, s2
	s_delay_alu instid0(VALU_DEP_1)
	s_cmp_lt_i32 s2, 0
	s_cbranch_scc1 .LBB82_10
; %bb.15:                               ;   in Loop: Header=BB82_11 Depth=1
	s_add_i32 s20, s4, s34
	s_delay_alu instid0(SALU_CYCLE_1) | instskip(SKIP_4) | instid1(SALU_CYCLE_1)
	s_abs_i32 s21, s20
	s_ashr_i32 s31, s20, 31
	s_mul_hi_u32 s29, s21, s41
	s_xor_b32 s31, s31, s40
	s_mul_i32 s36, s29, s5
	s_sub_i32 s21, s21, s36
	s_add_i32 s36, s29, 1
	s_sub_i32 s37, s21, s5
	s_cmp_ge_u32 s21, s5
	s_cselect_b32 s29, s36, s29
	s_cselect_b32 s21, s37, s21
	s_add_i32 s36, s29, 1
	s_cmp_ge_u32 s21, s5
	s_cselect_b32 s21, s36, s29
	s_delay_alu instid0(SALU_CYCLE_1) | instskip(NEXT) | instid1(SALU_CYCLE_1)
	s_xor_b32 s21, s21, s31
	s_sub_i32 s36, s21, s31
	s_delay_alu instid0(SALU_CYCLE_1) | instskip(NEXT) | instid1(SALU_CYCLE_1)
	s_mul_i32 s21, s36, s6
	s_sub_i32 s37, s20, s21
	s_mul_i32 s21, s36, s7
	s_mul_i32 s20, s37, s8
	s_delay_alu instid0(SALU_CYCLE_1) | instskip(NEXT) | instid1(SALU_CYCLE_1)
	s_add_i32 s20, s20, s21
	s_cmp_eq_u32 s20, s28
	s_cbranch_scc1 .LBB82_17
; %bb.16:                               ;   in Loop: Header=BB82_11 Depth=1
	s_mul_hi_i32 s29, s20, s33
	s_mul_i32 s28, s20, s33
	s_mov_b32 s31, s23
	s_lshl_b64 s[28:29], s[28:29], 1
	s_delay_alu instid0(SALU_CYCLE_1) | instskip(SKIP_1) | instid1(SALU_CYCLE_1)
	s_add_u32 s28, s16, s28
	s_addc_u32 s21, s17, s29
	s_and_b32 s29, s21, 0xffff
	s_clause 0x1
	buffer_load_b128 v[11:14], v1, s[28:31], 0 offen
	buffer_load_b128 v[19:22], v1, s[28:31], 16 offen
	s_mov_b32 s28, s20
	s_waitcnt vmcnt(1)
	v_lshrrev_b32_e32 v15, 16, v11
	v_lshrrev_b32_e32 v17, 16, v12
	;; [unrolled: 1-line block ×4, first 2 shown]
	s_waitcnt vmcnt(0)
	v_lshrrev_b32_e32 v24, 16, v19
	v_lshrrev_b32_e32 v25, 16, v20
	;; [unrolled: 1-line block ×4, first 2 shown]
	v_cvt_f32_f16_e32 v0, v11
	v_cvt_f32_f16_e32 v11, v12
	;; [unrolled: 1-line block ×16, first 2 shown]
.LBB82_17:                              ;   in Loop: Header=BB82_11 Depth=1
	s_mul_i32 s20, s2, s3
	s_delay_alu instid0(SALU_CYCLE_1) | instskip(NEXT) | instid1(SALU_CYCLE_1)
	s_ashr_i32 s21, s20, 31
	s_lshl_b64 s[20:21], s[20:21], 2
	s_delay_alu instid0(SALU_CYCLE_1) | instskip(SKIP_1) | instid1(SALU_CYCLE_1)
	s_add_u32 s20, s18, s20
	s_addc_u32 s2, s19, s21
	s_and_b32 s21, s2, 0xffff
	s_clause 0x3
	buffer_load_b128 v[26:29], v2, s[20:23], 0 offen
	buffer_load_b128 v[30:33], v2, s[20:23], 16 offen
	buffer_load_b128 v[42:45], v2, s[20:23], 32 offen
	buffer_load_b128 v[46:49], v2, s[20:23], 48 offen
	s_waitcnt vmcnt(3)
	v_dual_mul_f32 v40, v0, v26 :: v_dual_mul_f32 v41, v15, v27
	v_dual_mul_f32 v38, v11, v28 :: v_dual_mul_f32 v39, v17, v29
	s_waitcnt vmcnt(2)
	v_dual_mul_f32 v36, v12, v30 :: v_dual_mul_f32 v37, v18, v31
	s_delay_alu instid0(VALU_DEP_3) | instskip(SKIP_3) | instid1(VALU_DEP_3)
	v_max3_f32 v26, |v40|, 0x2edbe6ff, |v41|
	v_dual_mul_f32 v34, v13, v32 :: v_dual_mul_f32 v35, v20, v33
	s_waitcnt vmcnt(1)
	v_dual_mul_f32 v33, v14, v42 :: v_dual_mul_f32 v30, v16, v44
	v_max3_f32 v26, v26, |v38|, |v39|
	v_dual_mul_f32 v32, v22, v43 :: v_dual_mul_f32 v31, v23, v45
	s_waitcnt vmcnt(0)
	v_dual_mul_f32 v27, v19, v46 :: v_dual_mul_f32 v28, v24, v47
	s_delay_alu instid0(VALU_DEP_3) | instskip(SKIP_1) | instid1(VALU_DEP_2)
	v_max3_f32 v26, v26, |v36|, |v37|
	v_mul_f32_e32 v29, v25, v49
	v_max3_f32 v26, v26, |v34|, |v35|
	s_delay_alu instid0(VALU_DEP_1) | instskip(NEXT) | instid1(VALU_DEP_1)
	v_max3_f32 v26, v26, |v33|, |v32|
	v_max3_f32 v42, v26, |v30|, |v31|
	v_mul_f32_e32 v26, v21, v48
	s_delay_alu instid0(VALU_DEP_2) | instskip(NEXT) | instid1(VALU_DEP_1)
	v_max3_f32 v42, v42, |v27|, |v28|
	v_max3_f32 v42, v42, |v26|, |v29|
	s_delay_alu instid0(VALU_DEP_1) | instskip(NEXT) | instid1(VALU_DEP_1)
	v_mov_b32_dpp v43, v42 quad_perm:[1,0,3,2] row_mask:0xf bank_mask:0xf
	v_cmp_gt_f32_e64 s2, v42, v43
	s_delay_alu instid0(VALU_DEP_1) | instskip(NEXT) | instid1(VALU_DEP_1)
	v_cndmask_b32_e64 v42, v43, v42, s2
	v_mov_b32_dpp v43, v42 quad_perm:[2,3,0,1] row_mask:0xf bank_mask:0xf
	s_delay_alu instid0(VALU_DEP_1) | instskip(NEXT) | instid1(VALU_DEP_1)
	v_cmp_gt_f32_e64 s2, v42, v43
	v_cndmask_b32_e64 v42, v43, v42, s2
	s_delay_alu instid0(VALU_DEP_1) | instskip(NEXT) | instid1(VALU_DEP_1)
	v_mov_b32_dpp v43, v42 row_xmask:7 row_mask:0xf bank_mask:0xf
	v_cmp_gt_f32_e64 s2, v42, v43
	s_delay_alu instid0(VALU_DEP_1) | instskip(NEXT) | instid1(VALU_DEP_1)
	v_cndmask_b32_e64 v42, v43, v42, s2
	v_mov_b32_dpp v43, v42 row_xmask:15 row_mask:0xf bank_mask:0xf
	s_delay_alu instid0(VALU_DEP_1)
	v_cmp_gt_f32_e64 s2, v42, v43
	s_and_saveexec_b32 s20, s0
	s_cbranch_execz .LBB82_19
; %bb.18:                               ;   in Loop: Header=BB82_11 Depth=1
	s_delay_alu instid0(VALU_DEP_1) | instskip(NEXT) | instid1(VALU_DEP_1)
	v_cndmask_b32_e64 v42, v43, v42, s2
	v_permlanex16_b32 v43, v42, s35, 0xfedcba98 op_sel:[1,1]
	s_delay_alu instid0(VALU_DEP_1) | instskip(NEXT) | instid1(VALU_DEP_1)
	v_cmp_gt_f32_e64 s2, v42, v43
	v_cndmask_b32_e64 v42, v43, v42, s2
	ds_store_b32 v7, v42
.LBB82_19:                              ;   in Loop: Header=BB82_11 Depth=1
	s_or_b32 exec_lo, exec_lo, s20
	s_waitcnt lgkmcnt(0)
	s_waitcnt_vscnt null, 0x0
	s_barrier
	buffer_gl0_inv
	ds_load_b32 v42, v8
	s_mul_i32 s36, s36, s9
	s_waitcnt lgkmcnt(0)
	v_mov_b32_dpp v43, v42 quad_perm:[1,0,3,2] row_mask:0xf bank_mask:0xf
	s_delay_alu instid0(VALU_DEP_1) | instskip(NEXT) | instid1(VALU_DEP_1)
	v_cmp_gt_f32_e64 s2, v42, v43
	v_cndmask_b32_e64 v42, v43, v42, s2
	s_delay_alu instid0(VALU_DEP_1) | instskip(NEXT) | instid1(VALU_DEP_1)
	v_mov_b32_dpp v43, v42 quad_perm:[2,3,0,1] row_mask:0xf bank_mask:0xf
	v_cmp_gt_f32_e64 s2, v42, v43
	s_delay_alu instid0(VALU_DEP_1) | instskip(NEXT) | instid1(VALU_DEP_1)
	v_cndmask_b32_e64 v42, v43, v42, s2
	v_mov_b32_dpp v43, v42 row_xmask:7 row_mask:0xf bank_mask:0xf
	s_delay_alu instid0(VALU_DEP_1) | instskip(NEXT) | instid1(VALU_DEP_1)
	v_cmp_gt_f32_e64 s2, v42, v43
	v_cndmask_b32_e64 v42, v43, v42, s2
	s_mul_i32 s2, s37, s10
	s_delay_alu instid0(SALU_CYCLE_1) | instskip(NEXT) | instid1(VALU_DEP_1)
	s_add_i32 s20, s2, s36
	v_mul_f32_e32 v42, 0x3b124925, v42
	s_and_saveexec_b32 s2, vcc_lo
	s_cbranch_execz .LBB82_21
; %bb.20:                               ;   in Loop: Header=BB82_11 Depth=1
	s_ashr_i32 s21, s20, 31
	s_delay_alu instid0(SALU_CYCLE_1) | instskip(NEXT) | instid1(SALU_CYCLE_1)
	s_lshl_b64 s[36:37], s[20:21], 2
	s_add_u32 s36, s14, s36
	s_addc_u32 s37, s15, s37
	global_store_b32 v4, v42, s[36:37]
.LBB82_21:                              ;   in Loop: Header=BB82_11 Depth=1
	s_or_b32 exec_lo, exec_lo, s2
	s_and_saveexec_b32 s2, s1
	s_cbranch_execz .LBB82_9
; %bb.22:                               ;   in Loop: Header=BB82_11 Depth=1
	v_rcp_f32_e32 v42, v42
	s_mul_i32 s21, s20, s33
	s_mul_hi_i32 s20, s20, s33
	s_add_u32 s36, s12, s21
	s_addc_u32 s20, s13, s20
	s_mov_b32 s39, s23
	s_and_b32 s37, s20, 0xffff
	s_waitcnt_depctr 0xfff
	v_mul_f32_e32 v40, v40, v42
	v_mul_f32_e32 v41, v41, v42
	;; [unrolled: 1-line block ×5, first 2 shown]
	;;#ASMSTART
	v_med3_f32 v40, v40, v5, v6
v_med3_f32 v41, v41, v5, v6
v_cvt_pk_fp8_f32 v33, v40, v41
	;;#ASMEND
	;;#ASMSTART
	v_med3_f32 v38, v38, v5, v6
v_med3_f32 v39, v39, v5, v6
v_cvt_pk_fp8_f32 v40, v38, v39
	;;#ASMEND
	v_perm_b32 v38, v40, v33, 0x5040100
	v_mul_f32_e32 v36, v36, v42
	v_mul_f32_e32 v37, v37, v42
	;; [unrolled: 1-line block ×5, first 2 shown]
	;;#ASMSTART
	v_med3_f32 v36, v36, v5, v6
v_med3_f32 v37, v37, v5, v6
v_cvt_pk_fp8_f32 v32, v36, v37
	;;#ASMEND
	;;#ASMSTART
	v_med3_f32 v34, v34, v5, v6
v_med3_f32 v35, v35, v5, v6
v_cvt_pk_fp8_f32 v33, v34, v35
	;;#ASMEND
	v_mul_f32_e32 v30, v30, v42
	v_mul_f32_e32 v31, v31, v42
	;; [unrolled: 1-line block ×4, first 2 shown]
	;;#ASMSTART
	v_med3_f32 v43, v43, v5, v6
v_med3_f32 v39, v39, v5, v6
v_cvt_pk_fp8_f32 v34, v43, v39
	;;#ASMEND
	;;#ASMSTART
	v_med3_f32 v30, v30, v5, v6
v_med3_f32 v31, v31, v5, v6
v_cvt_pk_fp8_f32 v35, v30, v31
	;;#ASMEND
	v_mul_f32_e32 v26, v26, v42
	v_mul_f32_e32 v29, v29, v42
	;;#ASMSTART
	v_med3_f32 v27, v27, v5, v6
v_med3_f32 v28, v28, v5, v6
v_cvt_pk_fp8_f32 v30, v27, v28
	;;#ASMEND
	v_perm_b32 v33, v32, v33, 0x1000504
	v_perm_b32 v32, v38, v40, 0x1060504
	;; [unrolled: 1-line block ×3, first 2 shown]
	;;#ASMSTART
	v_med3_f32 v26, v26, v5, v6
v_med3_f32 v29, v29, v5, v6
v_cvt_pk_fp8_f32 v27, v26, v29
	;;#ASMEND
	v_perm_b32 v35, v30, v27, 0x1000504
	buffer_store_b128 v[32:35], v3, s[36:39], 0 offen
	;;#ASMSTART
	s_nop 0
	;;#ASMEND
	s_branch .LBB82_9
.LBB82_23:
	s_nop 0
	s_sendmsg sendmsg(MSG_DEALLOC_VGPRS)
	s_endpgm
.LBB82_24:
                                        ; implicit-def: $sgpr4
	s_branch .LBB82_2
	.section	.rodata,"a",@progbits
	.p2align	6, 0x0
	.amdhsa_kernel _ZN5aiter36smooth_per_token_scaled_quant_kernelIDF16_DB8_Li256ELi16ELb0ELb1ELb0ELi1024EEEvPT0_PfPT_S4_PiS7_iiPKiiiiiiiii
		.amdhsa_group_segment_fixed_size 32
		.amdhsa_private_segment_fixed_size 0
		.amdhsa_kernarg_size 96
		.amdhsa_user_sgpr_count 15
		.amdhsa_user_sgpr_dispatch_ptr 0
		.amdhsa_user_sgpr_queue_ptr 0
		.amdhsa_user_sgpr_kernarg_segment_ptr 1
		.amdhsa_user_sgpr_dispatch_id 0
		.amdhsa_user_sgpr_private_segment_size 0
		.amdhsa_wavefront_size32 1
		.amdhsa_uses_dynamic_stack 0
		.amdhsa_enable_private_segment 0
		.amdhsa_system_sgpr_workgroup_id_x 1
		.amdhsa_system_sgpr_workgroup_id_y 0
		.amdhsa_system_sgpr_workgroup_id_z 0
		.amdhsa_system_sgpr_workgroup_info 0
		.amdhsa_system_vgpr_workitem_id 0
		.amdhsa_next_free_vgpr 50
		.amdhsa_next_free_sgpr 42
		.amdhsa_reserve_vcc 1
		.amdhsa_float_round_mode_32 0
		.amdhsa_float_round_mode_16_64 0
		.amdhsa_float_denorm_mode_32 3
		.amdhsa_float_denorm_mode_16_64 3
		.amdhsa_dx10_clamp 1
		.amdhsa_ieee_mode 1
		.amdhsa_fp16_overflow 0
		.amdhsa_workgroup_processor_mode 1
		.amdhsa_memory_ordered 1
		.amdhsa_forward_progress 0
		.amdhsa_shared_vgpr_count 0
		.amdhsa_exception_fp_ieee_invalid_op 0
		.amdhsa_exception_fp_denorm_src 0
		.amdhsa_exception_fp_ieee_div_zero 0
		.amdhsa_exception_fp_ieee_overflow 0
		.amdhsa_exception_fp_ieee_underflow 0
		.amdhsa_exception_fp_ieee_inexact 0
		.amdhsa_exception_int_div_zero 0
	.end_amdhsa_kernel
	.section	.text._ZN5aiter36smooth_per_token_scaled_quant_kernelIDF16_DB8_Li256ELi16ELb0ELb1ELb0ELi1024EEEvPT0_PfPT_S4_PiS7_iiPKiiiiiiiii,"axG",@progbits,_ZN5aiter36smooth_per_token_scaled_quant_kernelIDF16_DB8_Li256ELi16ELb0ELb1ELb0ELi1024EEEvPT0_PfPT_S4_PiS7_iiPKiiiiiiiii,comdat
.Lfunc_end82:
	.size	_ZN5aiter36smooth_per_token_scaled_quant_kernelIDF16_DB8_Li256ELi16ELb0ELb1ELb0ELi1024EEEvPT0_PfPT_S4_PiS7_iiPKiiiiiiiii, .Lfunc_end82-_ZN5aiter36smooth_per_token_scaled_quant_kernelIDF16_DB8_Li256ELi16ELb0ELb1ELb0ELi1024EEEvPT0_PfPT_S4_PiS7_iiPKiiiiiiiii
                                        ; -- End function
	.section	.AMDGPU.csdata,"",@progbits
; Kernel info:
; codeLenInByte = 2252
; NumSgprs: 44
; NumVgprs: 50
; ScratchSize: 0
; MemoryBound: 0
; FloatMode: 240
; IeeeMode: 1
; LDSByteSize: 32 bytes/workgroup (compile time only)
; SGPRBlocks: 5
; VGPRBlocks: 6
; NumSGPRsForWavesPerEU: 44
; NumVGPRsForWavesPerEU: 50
; Occupancy: 16
; WaveLimiterHint : 0
; COMPUTE_PGM_RSRC2:SCRATCH_EN: 0
; COMPUTE_PGM_RSRC2:USER_SGPR: 15
; COMPUTE_PGM_RSRC2:TRAP_HANDLER: 0
; COMPUTE_PGM_RSRC2:TGID_X_EN: 1
; COMPUTE_PGM_RSRC2:TGID_Y_EN: 0
; COMPUTE_PGM_RSRC2:TGID_Z_EN: 0
; COMPUTE_PGM_RSRC2:TIDIG_COMP_CNT: 0
	.section	.text._ZN5aiter36smooth_per_token_scaled_quant_kernelItDB8_Li256ELi16ELb0ELb1ELb0ELi1024EEEvPT0_PfPT_S4_PiS7_iiPKiiiiiiiii,"axG",@progbits,_ZN5aiter36smooth_per_token_scaled_quant_kernelItDB8_Li256ELi16ELb0ELb1ELb0ELi1024EEEvPT0_PfPT_S4_PiS7_iiPKiiiiiiiii,comdat
	.protected	_ZN5aiter36smooth_per_token_scaled_quant_kernelItDB8_Li256ELi16ELb0ELb1ELb0ELi1024EEEvPT0_PfPT_S4_PiS7_iiPKiiiiiiiii ; -- Begin function _ZN5aiter36smooth_per_token_scaled_quant_kernelItDB8_Li256ELi16ELb0ELb1ELb0ELi1024EEEvPT0_PfPT_S4_PiS7_iiPKiiiiiiiii
	.globl	_ZN5aiter36smooth_per_token_scaled_quant_kernelItDB8_Li256ELi16ELb0ELb1ELb0ELi1024EEEvPT0_PfPT_S4_PiS7_iiPKiiiiiiiii
	.p2align	8
	.type	_ZN5aiter36smooth_per_token_scaled_quant_kernelItDB8_Li256ELi16ELb0ELb1ELb0ELi1024EEEvPT0_PfPT_S4_PiS7_iiPKiiiiiiiii,@function
_ZN5aiter36smooth_per_token_scaled_quant_kernelItDB8_Li256ELi16ELb0ELb1ELb0ELi1024EEEvPT0_PfPT_S4_PiS7_iiPKiiiiiiiii: ; @_ZN5aiter36smooth_per_token_scaled_quant_kernelItDB8_Li256ELi16ELb0ELb1ELb0ELi1024EEEvPT0_PfPT_S4_PiS7_iiPKiiiiiiiii
; %bb.0:
	s_clause 0x1
	s_load_b64 s[2:3], s[0:1], 0x38
	s_load_b256 s[4:11], s[0:1], 0x40
	s_waitcnt lgkmcnt(0)
	s_cmp_lg_u64 s[2:3], 0
	s_cbranch_scc0 .LBB83_11
; %bb.1:
	s_load_b32 s2, s[2:3], 0x0
	s_waitcnt lgkmcnt(0)
	s_mul_i32 s4, s2, s4
	s_cbranch_execnz .LBB83_3
.LBB83_2:
	s_mul_i32 s4, s6, s5
.LBB83_3:
	s_load_b64 s[2:3], s[0:1], 0x30
	s_abs_i32 s13, s4
	s_waitcnt lgkmcnt(0)
	s_abs_i32 s5, s2
	s_delay_alu instid0(SALU_CYCLE_1) | instskip(SKIP_1) | instid1(VALU_DEP_1)
	v_cvt_f32_u32_e32 v1, s5
	s_sub_i32 s12, 0, s5
	v_rcp_iflag_f32_e32 v1, v1
	s_waitcnt_depctr 0xfff
	v_mul_f32_e32 v1, 0x4f7ffffe, v1
	s_delay_alu instid0(VALU_DEP_1) | instskip(NEXT) | instid1(VALU_DEP_1)
	v_cvt_u32_f32_e32 v1, v1
	v_readfirstlane_b32 s11, v1
	s_delay_alu instid0(VALU_DEP_1) | instskip(NEXT) | instid1(SALU_CYCLE_1)
	s_mul_i32 s12, s12, s11
	s_mul_hi_u32 s12, s11, s12
	s_delay_alu instid0(SALU_CYCLE_1) | instskip(SKIP_4) | instid1(SALU_CYCLE_1)
	s_add_i32 s11, s11, s12
	s_xor_b32 s12, s4, s2
	s_mul_hi_u32 s11, s13, s11
	s_ashr_i32 s12, s12, 31
	s_mul_i32 s14, s11, s5
	s_sub_i32 s13, s13, s14
	s_add_i32 s14, s11, 1
	s_sub_i32 s16, s13, s5
	s_cmp_ge_u32 s13, s5
	s_cselect_b32 s11, s14, s11
	s_cselect_b32 s13, s16, s13
	s_add_i32 s14, s11, 1
	s_cmp_ge_u32 s13, s5
	s_cselect_b32 s5, s14, s11
	s_delay_alu instid0(SALU_CYCLE_1) | instskip(NEXT) | instid1(SALU_CYCLE_1)
	s_xor_b32 s5, s5, s12
	s_sub_i32 s11, s5, s12
	s_mov_b32 s12, 0
	s_mul_i32 s2, s11, s2
	s_delay_alu instid0(SALU_CYCLE_1) | instskip(NEXT) | instid1(SALU_CYCLE_1)
	s_sub_i32 s4, s4, s2
	s_cmp_lt_u32 s15, s4
	s_cselect_b32 s2, -1, 0
	s_add_i32 s5, s11, 1
	s_cmp_ge_u32 s15, s4
	s_cbranch_scc0 .LBB83_5
; %bb.4:
	s_sub_i32 s13, s15, s4
	s_mul_i32 s4, s4, s5
	s_mul_i32 s13, s13, s11
	s_delay_alu instid0(SALU_CYCLE_1)
	s_add_i32 s4, s13, s4
	s_and_not1_b32 vcc_lo, exec_lo, s12
	s_cbranch_vccz .LBB83_6
	s_branch .LBB83_7
.LBB83_5:
                                        ; implicit-def: $sgpr4
.LBB83_6:
	s_mul_i32 s4, s5, s15
.LBB83_7:
	v_cndmask_b32_e64 v1, 0, 1, s2
	s_delay_alu instid0(VALU_DEP_1) | instskip(NEXT) | instid1(VALU_DEP_1)
	v_readfirstlane_b32 s2, v1
	s_add_i32 s11, s11, s2
	s_delay_alu instid0(SALU_CYCLE_1)
	s_cmp_lt_i32 s11, 1
	s_cbranch_scc1 .LBB83_35
; %bb.8:
	s_load_b64 s[12:13], s[0:1], 0x20
	s_ashr_i32 s5, s4, 31
	v_and_b32_e32 v1, 31, v0
	s_lshl_b64 s[14:15], s[4:5], 2
	s_mov_b32 s41, -1
	v_lshrrev_b32_e32 v3, 3, v0
	s_mov_b32 s23, s41
	v_cmp_eq_u32_e32 vcc_lo, 31, v1
	v_and_b32_e32 v4, 7, v0
	v_lshlrev_b32_e32 v17, 5, v0
	v_lshlrev_b32_e32 v18, 6, v0
	v_and_b32_e32 v19, 0x7c, v3
	v_lshlrev_b32_e32 v21, 4, v0
	v_lshlrev_b32_e32 v20, 2, v4
	s_mov_b32 s34, s3
	s_waitcnt lgkmcnt(0)
	s_add_u32 s20, s12, s14
	s_addc_u32 s2, s13, s15
	s_abs_i32 s33, s6
	s_lshl_b32 s22, s11, 2
	v_cvt_f32_u32_e32 v2, s33
	s_and_b32 s21, s2, 0xffff
	s_load_b256 s[12:19], s[0:1], 0x0
	s_add_i32 s1, s3, 15
	v_cmp_eq_u32_e64 s0, 0, v0
	v_rcp_iflag_f32_e32 v2, v2
	v_lshlrev_b32_e32 v22, 2, v1
	s_ashr_i32 s2, s1, 31
	s_lshl_b32 s26, s3, 1
	s_lshr_b32 s2, s2, 28
	s_lshl_b32 s30, s3, 2
	s_add_i32 s1, s1, s2
	s_ashr_i32 s35, s6, 31
	s_ashr_i32 s1, s1, 4
	s_waitcnt_depctr 0xfff
	v_mul_f32_e32 v1, 0x4f7ffffe, v2
	buffer_load_b32 v16, v22, s[20:23], 0 offen
	s_add_i32 s23, s3, 3
	v_cmp_gt_u32_e64 s1, s1, v0
	s_ashr_i32 s2, s23, 31
	v_cvt_u32_f32_e32 v1, v1
	s_lshr_b32 s2, s2, 30
	s_waitcnt vmcnt(3) expcnt(0) lgkmcnt(55)
	s_add_i32 s23, s23, s2
	s_sub_i32 s2, 0, s33
	v_readfirstlane_b32 s40, v1
	s_and_b32 s38, s23, -4
	s_waitcnt vmcnt(0) lgkmcnt(0)
	s_barrier
	buffer_gl0_inv
	s_mul_i32 s23, s2, s40
	s_delay_alu instid0(SALU_CYCLE_1) | instskip(NEXT) | instid1(SALU_CYCLE_1)
	s_mul_hi_u32 s23, s40, s23
	s_add_i32 s40, s40, s23
	v_readlane_b32 s2, v16, 0
	s_delay_alu instid0(VALU_DEP_1)
	s_cmp_lt_i32 s2, 0
	s_cbranch_scc1 .LBB83_12
; %bb.9:
	s_abs_i32 s23, s4
	s_xor_b32 s5, s5, s35
	s_mul_hi_u32 s24, s23, s40
	s_mov_b32 s31, -1
	s_mul_i32 s25, s24, s33
	s_delay_alu instid0(SALU_CYCLE_1)
	s_sub_i32 s23, s23, s25
	s_add_i32 s25, s24, 1
	s_sub_i32 s27, s23, s33
	s_cmp_ge_u32 s23, s33
	s_cselect_b32 s24, s25, s24
	s_cselect_b32 s23, s27, s23
	s_add_i32 s25, s24, 1
	s_cmp_ge_u32 s23, s33
	s_cselect_b32 s23, s25, s24
	s_delay_alu instid0(SALU_CYCLE_1) | instskip(NEXT) | instid1(SALU_CYCLE_1)
	s_xor_b32 s23, s23, s5
	s_sub_i32 s5, s23, s5
	s_delay_alu instid0(SALU_CYCLE_1) | instskip(SKIP_2) | instid1(SALU_CYCLE_1)
	s_mul_i32 s23, s5, s6
	s_mul_i32 s25, s5, s7
	s_sub_i32 s23, s4, s23
	s_mul_i32 s24, s23, s8
	s_delay_alu instid0(SALU_CYCLE_1) | instskip(NEXT) | instid1(SALU_CYCLE_1)
	s_add_i32 s41, s24, s25
	s_cmp_eq_u32 s41, -1
	s_cbranch_scc1 .LBB83_13
; %bb.10:
	s_mul_hi_i32 s25, s41, s34
	s_mul_i32 s24, s41, s34
	s_mov_b32 s27, -1
	s_lshl_b64 s[24:25], s[24:25], 1
	s_delay_alu instid0(SALU_CYCLE_1) | instskip(SKIP_1) | instid1(SALU_CYCLE_1)
	s_add_u32 s24, s16, s24
	s_addc_u32 s25, s17, s25
	s_and_b32 s25, s25, 0xffff
	s_clause 0x1
	buffer_load_b128 v[0:3], v17, s[24:27], 0 offen
	buffer_load_b128 v[4:7], v17, s[24:27], 16 offen
	s_waitcnt vmcnt(1)
	v_lshrrev_b32_e32 v8, 16, v0
	v_and_b32_e32 v0, 0xffff, v0
	v_lshrrev_b32_e32 v9, 16, v1
	v_and_b32_e32 v10, 0xffff, v1
	;; [unrolled: 2-line block ×4, first 2 shown]
	s_waitcnt vmcnt(0)
	v_lshrrev_b32_e32 v15, 16, v4
	v_and_b32_e32 v23, 0xffff, v4
	v_lshrrev_b32_e32 v24, 16, v5
	v_and_b32_e32 v25, 0xffff, v5
	;; [unrolled: 2-line block ×4, first 2 shown]
	v_cvt_f32_u32_e32 v1, v8
	v_cvt_f32_u32_e32 v0, v0
	;; [unrolled: 1-line block ×16, first 2 shown]
	s_branch .LBB83_14
.LBB83_11:
                                        ; implicit-def: $sgpr4
	s_branch .LBB83_2
.LBB83_12:
                                        ; implicit-def: $vgpr0_vgpr1_vgpr2_vgpr3_vgpr4_vgpr5_vgpr6_vgpr7_vgpr8_vgpr9_vgpr10_vgpr11_vgpr12_vgpr13_vgpr14_vgpr15
	s_cmp_eq_u32 s11, 1
	s_mov_b32 s5, 1
	s_cbranch_scc0 .LBB83_21
	s_branch .LBB83_35
.LBB83_13:
	s_mov_b32 s41, -1
                                        ; implicit-def: $vgpr0_vgpr1_vgpr2_vgpr3_vgpr4_vgpr5_vgpr6_vgpr7_vgpr8_vgpr9_vgpr10_vgpr11_vgpr12_vgpr13_vgpr14_vgpr15
.LBB83_14:
	s_mul_i32 s24, s2, s3
	s_delay_alu instid0(SALU_CYCLE_1) | instskip(NEXT) | instid1(SALU_CYCLE_1)
	s_ashr_i32 s25, s24, 31
	s_lshl_b64 s[24:25], s[24:25], 2
	s_delay_alu instid0(SALU_CYCLE_1) | instskip(SKIP_1) | instid1(SALU_CYCLE_1)
	s_add_u32 s28, s18, s24
	s_addc_u32 s2, s19, s25
	s_and_b32 s29, s2, 0xffff
	s_clause 0x3
	buffer_load_b128 v[23:26], v18, s[28:31], 0 offen
	buffer_load_b128 v[27:30], v18, s[28:31], 16 offen
	;; [unrolled: 1-line block ×4, first 2 shown]
	s_waitcnt vmcnt(3)
	v_dual_mul_f32 v37, v0, v23 :: v_dual_mul_f32 v38, v1, v24
	v_dual_mul_f32 v35, v2, v25 :: v_dual_mul_f32 v36, v3, v26
	s_waitcnt vmcnt(2)
	v_dual_mul_f32 v33, v4, v27 :: v_dual_mul_f32 v34, v5, v28
	s_delay_alu instid0(VALU_DEP_3) | instskip(SKIP_3) | instid1(VALU_DEP_3)
	v_max3_f32 v23, |v37|, 0x2edbe6ff, |v38|
	v_dual_mul_f32 v31, v6, v29 :: v_dual_mul_f32 v32, v7, v30
	s_waitcnt vmcnt(1)
	v_dual_mul_f32 v29, v8, v39 :: v_dual_mul_f32 v30, v9, v40
	v_max3_f32 v23, v23, |v35|, |v36|
	v_dual_mul_f32 v27, v10, v41 :: v_dual_mul_f32 v28, v11, v42
	s_waitcnt vmcnt(0)
	v_dual_mul_f32 v25, v12, v43 :: v_dual_mul_f32 v26, v13, v44
	s_delay_alu instid0(VALU_DEP_3) | instskip(SKIP_1) | instid1(VALU_DEP_2)
	v_max3_f32 v23, v23, |v33|, |v34|
	v_mul_f32_e32 v24, v15, v46
	v_max3_f32 v23, v23, |v31|, |v32|
	s_delay_alu instid0(VALU_DEP_1) | instskip(NEXT) | instid1(VALU_DEP_1)
	v_max3_f32 v23, v23, |v29|, |v30|
	v_max3_f32 v39, v23, |v27|, |v28|
	v_mul_f32_e32 v23, v14, v45
	s_delay_alu instid0(VALU_DEP_2) | instskip(NEXT) | instid1(VALU_DEP_1)
	v_max3_f32 v39, v39, |v25|, |v26|
	v_max3_f32 v39, v39, |v23|, |v24|
	s_delay_alu instid0(VALU_DEP_1) | instskip(NEXT) | instid1(VALU_DEP_1)
	v_mov_b32_dpp v40, v39 quad_perm:[1,0,3,2] row_mask:0xf bank_mask:0xf
	v_cmp_gt_f32_e64 s2, v39, v40
	s_delay_alu instid0(VALU_DEP_1) | instskip(NEXT) | instid1(VALU_DEP_1)
	v_cndmask_b32_e64 v39, v40, v39, s2
	v_mov_b32_dpp v40, v39 quad_perm:[2,3,0,1] row_mask:0xf bank_mask:0xf
	s_delay_alu instid0(VALU_DEP_1) | instskip(NEXT) | instid1(VALU_DEP_1)
	v_cmp_gt_f32_e64 s2, v39, v40
	v_cndmask_b32_e64 v39, v40, v39, s2
	s_delay_alu instid0(VALU_DEP_1) | instskip(NEXT) | instid1(VALU_DEP_1)
	v_mov_b32_dpp v40, v39 row_xmask:7 row_mask:0xf bank_mask:0xf
	v_cmp_gt_f32_e64 s2, v39, v40
	s_delay_alu instid0(VALU_DEP_1) | instskip(NEXT) | instid1(VALU_DEP_1)
	v_cndmask_b32_e64 v39, v40, v39, s2
	v_mov_b32_dpp v40, v39 row_xmask:15 row_mask:0xf bank_mask:0xf
	s_delay_alu instid0(VALU_DEP_1)
	v_cmp_gt_f32_e64 s2, v39, v40
	s_and_saveexec_b32 s24, vcc_lo
	s_cbranch_execz .LBB83_16
; %bb.15:
	s_delay_alu instid0(VALU_DEP_1)
	v_cndmask_b32_e64 v39, v40, v39, s2
	s_mov_b32 s2, 0x76543210
	s_delay_alu instid0(VALU_DEP_1) | instid1(SALU_CYCLE_1)
	v_permlanex16_b32 v40, v39, s2, 0xfedcba98 op_sel:[1,1]
	s_delay_alu instid0(VALU_DEP_1) | instskip(NEXT) | instid1(VALU_DEP_1)
	v_cmp_gt_f32_e64 s2, v39, v40
	v_cndmask_b32_e64 v39, v40, v39, s2
	ds_store_b32 v19, v39
.LBB83_16:
	s_or_b32 exec_lo, exec_lo, s24
	s_waitcnt lgkmcnt(0)
	s_barrier
	buffer_gl0_inv
	ds_load_b32 v39, v20
	s_mul_i32 s5, s5, s9
	s_waitcnt lgkmcnt(0)
	v_mov_b32_dpp v40, v39 quad_perm:[1,0,3,2] row_mask:0xf bank_mask:0xf
	s_delay_alu instid0(VALU_DEP_1) | instskip(NEXT) | instid1(VALU_DEP_1)
	v_cmp_gt_f32_e64 s2, v39, v40
	v_cndmask_b32_e64 v39, v40, v39, s2
	s_delay_alu instid0(VALU_DEP_1) | instskip(NEXT) | instid1(VALU_DEP_1)
	v_mov_b32_dpp v40, v39 quad_perm:[2,3,0,1] row_mask:0xf bank_mask:0xf
	v_cmp_gt_f32_e64 s2, v39, v40
	s_delay_alu instid0(VALU_DEP_1) | instskip(NEXT) | instid1(VALU_DEP_1)
	v_cndmask_b32_e64 v39, v40, v39, s2
	v_mov_b32_dpp v40, v39 row_xmask:7 row_mask:0xf bank_mask:0xf
	s_delay_alu instid0(VALU_DEP_1) | instskip(NEXT) | instid1(VALU_DEP_1)
	v_cmp_gt_f32_e64 s2, v39, v40
	v_cndmask_b32_e64 v39, v40, v39, s2
	s_mul_i32 s2, s23, s10
	s_delay_alu instid0(SALU_CYCLE_1) | instskip(NEXT) | instid1(VALU_DEP_1)
	s_add_i32 s24, s2, s5
	v_mul_f32_e32 v39, 0x3b124925, v39
	s_and_saveexec_b32 s2, s0
	s_cbranch_execz .LBB83_18
; %bb.17:
	s_ashr_i32 s25, s24, 31
	v_mov_b32_e32 v40, 0
	s_lshl_b64 s[28:29], s[24:25], 2
	s_delay_alu instid0(SALU_CYCLE_1)
	s_add_u32 s28, s14, s28
	s_addc_u32 s29, s15, s29
	global_store_b32 v40, v39, s[28:29]
.LBB83_18:
	s_or_b32 exec_lo, exec_lo, s2
	s_and_saveexec_b32 s2, s1
	s_cbranch_execz .LBB83_20
; %bb.19:
	v_rcp_f32_e32 v39, v39
	v_mov_b32_e32 v40, 0xc3e00000
	v_mov_b32_e32 v41, 0x43e00000
	s_mul_i32 s23, s24, s34
	s_mul_hi_i32 s5, s24, s34
	s_add_u32 s36, s12, s23
	s_addc_u32 s5, s13, s5
	s_mov_b32 s39, -1
	s_and_b32 s37, s5, 0xffff
	s_waitcnt_depctr 0xfff
	v_mul_f32_e32 v38, v38, v39
	v_mul_f32_e32 v37, v37, v39
	;; [unrolled: 1-line block ×4, first 2 shown]
	;;#ASMSTART
	v_med3_f32 v37, v37, v40, v41
v_med3_f32 v38, v38, v40, v41
v_cvt_pk_fp8_f32 v42, v37, v38
	;;#ASMEND
	v_mul_f32_e32 v33, v33, v39
	v_mul_f32_e32 v34, v34, v39
	;;#ASMSTART
	v_med3_f32 v35, v35, v40, v41
v_med3_f32 v36, v36, v40, v41
v_cvt_pk_fp8_f32 v37, v35, v36
	;;#ASMEND
	v_mul_f32_e32 v31, v31, v39
	v_mul_f32_e32 v32, v32, v39
	v_perm_b32 v35, v37, v42, 0x5040100
	;;#ASMSTART
	v_med3_f32 v33, v33, v40, v41
v_med3_f32 v34, v34, v40, v41
v_cvt_pk_fp8_f32 v36, v33, v34
	;;#ASMEND
	;;#ASMSTART
	v_med3_f32 v31, v31, v40, v41
v_med3_f32 v32, v32, v40, v41
v_cvt_pk_fp8_f32 v33, v31, v32
	;;#ASMEND
	v_mul_f32_e32 v29, v29, v39
	v_mul_f32_e32 v30, v30, v39
	v_perm_b32 v32, v36, v33, 0x1000504
	v_mul_f32_e32 v27, v27, v39
	v_mul_f32_e32 v28, v28, v39
	;;#ASMSTART
	v_med3_f32 v29, v29, v40, v41
v_med3_f32 v30, v30, v40, v41
v_cvt_pk_fp8_f32 v33, v29, v30
	;;#ASMEND
	v_mul_f32_e32 v25, v25, v39
	v_mul_f32_e32 v26, v26, v39
	;;#ASMSTART
	v_med3_f32 v27, v27, v40, v41
v_med3_f32 v28, v28, v40, v41
v_cvt_pk_fp8_f32 v29, v27, v28
	;;#ASMEND
	;; [unrolled: 7-line block ×3, first 2 shown]
	v_perm_b32 v31, v35, v37, 0x1060504
	v_perm_b32 v33, v33, v29, 0x1000504
	;;#ASMSTART
	v_med3_f32 v23, v23, v40, v41
v_med3_f32 v24, v24, v40, v41
v_cvt_pk_fp8_f32 v25, v23, v24
	;;#ASMEND
	v_perm_b32 v34, v27, v25, 0x1000504
	buffer_store_b128 v[31:34], v21, s[36:39], 0 offen
	;;#ASMSTART
	s_nop 0
	;;#ASMEND
.LBB83_20:
	s_or_b32 exec_lo, exec_lo, s2
	s_cmp_eq_u32 s11, 1
	s_mov_b32 s5, 1
	s_cbranch_scc1 .LBB83_35
.LBB83_21:
	v_dual_mov_b32 v23, 0 :: v_dual_add_nc_u32 v22, 4, v22
	v_mov_b32_e32 v24, 0xc3e00000
	v_mov_b32_e32 v25, 0x43e00000
	s_mov_b32 s31, -1
	s_mov_b32 s42, 0x76543210
	s_branch .LBB83_24
.LBB83_22:                              ;   in Loop: Header=BB83_24 Depth=1
	s_or_b32 exec_lo, exec_lo, s2
.LBB83_23:                              ;   in Loop: Header=BB83_24 Depth=1
	v_add_nc_u32_e32 v22, 4, v22
	s_add_i32 s5, s5, 1
	s_delay_alu instid0(SALU_CYCLE_1)
	s_cmp_eq_u32 s11, s5
	s_cbranch_scc1 .LBB83_35
.LBB83_24:                              ; =>This Inner Loop Header: Depth=1
	s_and_b32 s2, s5, 31
	s_delay_alu instid0(SALU_CYCLE_1)
	s_cmp_lg_u32 s2, 0
	s_cbranch_scc1 .LBB83_26
; %bb.25:                               ;   in Loop: Header=BB83_24 Depth=1
	s_mov_b32 s23, s31
	buffer_load_b32 v16, v22, s[20:23], 0 offen
	s_waitcnt vmcnt(3) expcnt(0) lgkmcnt(55)
.LBB83_26:                              ;   in Loop: Header=BB83_24 Depth=1
	s_waitcnt vmcnt(0)
	v_readlane_b32 s2, v16, s2
	s_delay_alu instid0(VALU_DEP_1)
	s_cmp_lt_i32 s2, 0
	s_cbranch_scc1 .LBB83_23
; %bb.27:                               ;   in Loop: Header=BB83_24 Depth=1
	s_add_i32 s24, s4, s5
	s_delay_alu instid0(SALU_CYCLE_1) | instskip(SKIP_4) | instid1(SALU_CYCLE_1)
	s_abs_i32 s23, s24
	s_ashr_i32 s27, s24, 31
	s_mul_hi_u32 s25, s23, s40
	s_xor_b32 s27, s27, s35
	s_mul_i32 s28, s25, s33
	s_sub_i32 s23, s23, s28
	s_add_i32 s28, s25, 1
	s_sub_i32 s29, s23, s33
	s_cmp_ge_u32 s23, s33
	s_cselect_b32 s25, s28, s25
	s_cselect_b32 s23, s29, s23
	s_add_i32 s28, s25, 1
	s_cmp_ge_u32 s23, s33
	s_cselect_b32 s23, s28, s25
	s_delay_alu instid0(SALU_CYCLE_1) | instskip(NEXT) | instid1(SALU_CYCLE_1)
	s_xor_b32 s23, s23, s27
	s_sub_i32 s23, s23, s27
	s_delay_alu instid0(SALU_CYCLE_1) | instskip(NEXT) | instid1(SALU_CYCLE_1)
	s_mul_i32 s25, s23, s6
	s_sub_i32 s36, s24, s25
	s_mul_i32 s24, s23, s7
	s_mul_i32 s28, s36, s8
	s_delay_alu instid0(SALU_CYCLE_1) | instskip(NEXT) | instid1(SALU_CYCLE_1)
	s_add_i32 s28, s28, s24
	s_cmp_eq_u32 s28, s41
	s_cbranch_scc1 .LBB83_29
; %bb.28:                               ;   in Loop: Header=BB83_24 Depth=1
	s_mul_hi_i32 s25, s28, s34
	s_mul_i32 s24, s28, s34
	s_mov_b32 s27, s31
	s_lshl_b64 s[24:25], s[24:25], 1
	s_mov_b32 s41, s28
	s_add_u32 s24, s16, s24
	s_addc_u32 s25, s17, s25
	s_delay_alu instid0(SALU_CYCLE_1)
	s_and_b32 s25, s25, 0xffff
	s_clause 0x1
	buffer_load_b128 v[0:3], v17, s[24:27], 0 offen
	buffer_load_b128 v[4:7], v17, s[24:27], 16 offen
	s_waitcnt vmcnt(1)
	v_lshrrev_b32_e32 v8, 16, v0
	v_and_b32_e32 v0, 0xffff, v0
	v_lshrrev_b32_e32 v9, 16, v1
	v_and_b32_e32 v10, 0xffff, v1
	;; [unrolled: 2-line block ×4, first 2 shown]
	s_waitcnt vmcnt(0)
	v_lshrrev_b32_e32 v15, 16, v4
	v_and_b32_e32 v26, 0xffff, v4
	v_lshrrev_b32_e32 v27, 16, v5
	v_and_b32_e32 v28, 0xffff, v5
	;; [unrolled: 2-line block ×4, first 2 shown]
	v_cvt_f32_u32_e32 v1, v8
	v_cvt_f32_u32_e32 v0, v0
	;; [unrolled: 1-line block ×16, first 2 shown]
.LBB83_29:                              ;   in Loop: Header=BB83_24 Depth=1
	s_mul_i32 s24, s2, s3
	s_delay_alu instid0(SALU_CYCLE_1) | instskip(NEXT) | instid1(SALU_CYCLE_1)
	s_ashr_i32 s25, s24, 31
	s_lshl_b64 s[24:25], s[24:25], 2
	s_delay_alu instid0(SALU_CYCLE_1) | instskip(SKIP_1) | instid1(SALU_CYCLE_1)
	s_add_u32 s28, s18, s24
	s_addc_u32 s2, s19, s25
	s_and_b32 s29, s2, 0xffff
	s_clause 0x3
	buffer_load_b128 v[26:29], v18, s[28:31], 0 offen
	buffer_load_b128 v[30:33], v18, s[28:31], 16 offen
	;; [unrolled: 1-line block ×4, first 2 shown]
	s_waitcnt vmcnt(3)
	v_dual_mul_f32 v40, v0, v26 :: v_dual_mul_f32 v41, v1, v27
	v_dual_mul_f32 v38, v2, v28 :: v_dual_mul_f32 v39, v3, v29
	s_waitcnt vmcnt(2)
	v_dual_mul_f32 v36, v4, v30 :: v_dual_mul_f32 v37, v5, v31
	s_delay_alu instid0(VALU_DEP_3) | instskip(SKIP_3) | instid1(VALU_DEP_3)
	v_max3_f32 v26, |v40|, 0x2edbe6ff, |v41|
	v_dual_mul_f32 v34, v6, v32 :: v_dual_mul_f32 v35, v7, v33
	s_waitcnt vmcnt(1)
	v_dual_mul_f32 v33, v8, v42 :: v_dual_mul_f32 v32, v9, v43
	v_max3_f32 v26, v26, |v38|, |v39|
	v_dual_mul_f32 v30, v10, v44 :: v_dual_mul_f32 v31, v11, v45
	s_waitcnt vmcnt(0)
	v_dual_mul_f32 v28, v12, v46 :: v_dual_mul_f32 v29, v13, v47
	s_delay_alu instid0(VALU_DEP_3) | instskip(SKIP_1) | instid1(VALU_DEP_2)
	v_max3_f32 v26, v26, |v36|, |v37|
	v_mul_f32_e32 v27, v15, v49
	v_max3_f32 v26, v26, |v34|, |v35|
	s_delay_alu instid0(VALU_DEP_1) | instskip(NEXT) | instid1(VALU_DEP_1)
	v_max3_f32 v26, v26, |v33|, |v32|
	v_max3_f32 v42, v26, |v30|, |v31|
	v_mul_f32_e32 v26, v14, v48
	s_delay_alu instid0(VALU_DEP_2) | instskip(NEXT) | instid1(VALU_DEP_1)
	v_max3_f32 v42, v42, |v28|, |v29|
	v_max3_f32 v42, v42, |v26|, |v27|
	s_delay_alu instid0(VALU_DEP_1) | instskip(NEXT) | instid1(VALU_DEP_1)
	v_mov_b32_dpp v43, v42 quad_perm:[1,0,3,2] row_mask:0xf bank_mask:0xf
	v_cmp_gt_f32_e64 s2, v42, v43
	s_delay_alu instid0(VALU_DEP_1) | instskip(NEXT) | instid1(VALU_DEP_1)
	v_cndmask_b32_e64 v42, v43, v42, s2
	v_mov_b32_dpp v43, v42 quad_perm:[2,3,0,1] row_mask:0xf bank_mask:0xf
	s_delay_alu instid0(VALU_DEP_1) | instskip(NEXT) | instid1(VALU_DEP_1)
	v_cmp_gt_f32_e64 s2, v42, v43
	v_cndmask_b32_e64 v42, v43, v42, s2
	s_delay_alu instid0(VALU_DEP_1) | instskip(NEXT) | instid1(VALU_DEP_1)
	v_mov_b32_dpp v43, v42 row_xmask:7 row_mask:0xf bank_mask:0xf
	v_cmp_gt_f32_e64 s2, v42, v43
	s_delay_alu instid0(VALU_DEP_1) | instskip(NEXT) | instid1(VALU_DEP_1)
	v_cndmask_b32_e64 v42, v43, v42, s2
	v_mov_b32_dpp v43, v42 row_xmask:15 row_mask:0xf bank_mask:0xf
	s_delay_alu instid0(VALU_DEP_1)
	v_cmp_gt_f32_e64 s2, v42, v43
	s_and_saveexec_b32 s24, vcc_lo
	s_cbranch_execz .LBB83_31
; %bb.30:                               ;   in Loop: Header=BB83_24 Depth=1
	s_delay_alu instid0(VALU_DEP_1) | instskip(NEXT) | instid1(VALU_DEP_1)
	v_cndmask_b32_e64 v42, v43, v42, s2
	v_permlanex16_b32 v43, v42, s42, 0xfedcba98 op_sel:[1,1]
	s_delay_alu instid0(VALU_DEP_1) | instskip(NEXT) | instid1(VALU_DEP_1)
	v_cmp_gt_f32_e64 s2, v42, v43
	v_cndmask_b32_e64 v42, v43, v42, s2
	ds_store_b32 v19, v42
.LBB83_31:                              ;   in Loop: Header=BB83_24 Depth=1
	s_or_b32 exec_lo, exec_lo, s24
	s_waitcnt lgkmcnt(0)
	s_waitcnt_vscnt null, 0x0
	s_barrier
	buffer_gl0_inv
	ds_load_b32 v42, v20
	s_mul_i32 s23, s23, s9
	s_waitcnt lgkmcnt(0)
	v_mov_b32_dpp v43, v42 quad_perm:[1,0,3,2] row_mask:0xf bank_mask:0xf
	s_delay_alu instid0(VALU_DEP_1) | instskip(NEXT) | instid1(VALU_DEP_1)
	v_cmp_gt_f32_e64 s2, v42, v43
	v_cndmask_b32_e64 v42, v43, v42, s2
	s_delay_alu instid0(VALU_DEP_1) | instskip(NEXT) | instid1(VALU_DEP_1)
	v_mov_b32_dpp v43, v42 quad_perm:[2,3,0,1] row_mask:0xf bank_mask:0xf
	v_cmp_gt_f32_e64 s2, v42, v43
	s_delay_alu instid0(VALU_DEP_1) | instskip(NEXT) | instid1(VALU_DEP_1)
	v_cndmask_b32_e64 v42, v43, v42, s2
	v_mov_b32_dpp v43, v42 row_xmask:7 row_mask:0xf bank_mask:0xf
	s_delay_alu instid0(VALU_DEP_1) | instskip(NEXT) | instid1(VALU_DEP_1)
	v_cmp_gt_f32_e64 s2, v42, v43
	v_cndmask_b32_e64 v42, v43, v42, s2
	s_mul_i32 s2, s36, s10
	s_delay_alu instid0(SALU_CYCLE_1) | instskip(NEXT) | instid1(VALU_DEP_1)
	s_add_i32 s24, s2, s23
	v_mul_f32_e32 v42, 0x3b124925, v42
	s_and_saveexec_b32 s2, s0
	s_cbranch_execz .LBB83_33
; %bb.32:                               ;   in Loop: Header=BB83_24 Depth=1
	s_ashr_i32 s25, s24, 31
	s_delay_alu instid0(SALU_CYCLE_1) | instskip(NEXT) | instid1(SALU_CYCLE_1)
	s_lshl_b64 s[28:29], s[24:25], 2
	s_add_u32 s28, s14, s28
	s_addc_u32 s29, s15, s29
	global_store_b32 v23, v42, s[28:29]
.LBB83_33:                              ;   in Loop: Header=BB83_24 Depth=1
	s_or_b32 exec_lo, exec_lo, s2
	s_and_saveexec_b32 s2, s1
	s_cbranch_execz .LBB83_22
; %bb.34:                               ;   in Loop: Header=BB83_24 Depth=1
	v_rcp_f32_e32 v42, v42
	s_mul_i32 s23, s24, s34
	s_mul_hi_i32 s24, s24, s34
	s_add_u32 s36, s12, s23
	s_addc_u32 s23, s13, s24
	s_mov_b32 s39, s31
	s_and_b32 s37, s23, 0xffff
	s_waitcnt_depctr 0xfff
	v_mul_f32_e32 v40, v40, v42
	v_mul_f32_e32 v41, v41, v42
	;; [unrolled: 1-line block ×5, first 2 shown]
	;;#ASMSTART
	v_med3_f32 v40, v40, v24, v25
v_med3_f32 v41, v41, v24, v25
v_cvt_pk_fp8_f32 v33, v40, v41
	;;#ASMEND
	;;#ASMSTART
	v_med3_f32 v38, v38, v24, v25
v_med3_f32 v39, v39, v24, v25
v_cvt_pk_fp8_f32 v40, v38, v39
	;;#ASMEND
	v_perm_b32 v38, v40, v33, 0x5040100
	v_mul_f32_e32 v36, v36, v42
	v_mul_f32_e32 v37, v37, v42
	;; [unrolled: 1-line block ×5, first 2 shown]
	;;#ASMSTART
	v_med3_f32 v36, v36, v24, v25
v_med3_f32 v37, v37, v24, v25
v_cvt_pk_fp8_f32 v32, v36, v37
	;;#ASMEND
	;;#ASMSTART
	v_med3_f32 v34, v34, v24, v25
v_med3_f32 v35, v35, v24, v25
v_cvt_pk_fp8_f32 v33, v34, v35
	;;#ASMEND
	v_mul_f32_e32 v30, v30, v42
	v_mul_f32_e32 v31, v31, v42
	;; [unrolled: 1-line block ×4, first 2 shown]
	;;#ASMSTART
	v_med3_f32 v43, v43, v24, v25
v_med3_f32 v39, v39, v24, v25
v_cvt_pk_fp8_f32 v34, v43, v39
	;;#ASMEND
	;;#ASMSTART
	v_med3_f32 v30, v30, v24, v25
v_med3_f32 v31, v31, v24, v25
v_cvt_pk_fp8_f32 v35, v30, v31
	;;#ASMEND
	v_mul_f32_e32 v26, v26, v42
	v_mul_f32_e32 v27, v27, v42
	;;#ASMSTART
	v_med3_f32 v28, v28, v24, v25
v_med3_f32 v29, v29, v24, v25
v_cvt_pk_fp8_f32 v30, v28, v29
	;;#ASMEND
	v_perm_b32 v33, v32, v33, 0x1000504
	v_perm_b32 v32, v38, v40, 0x1060504
	;; [unrolled: 1-line block ×3, first 2 shown]
	;;#ASMSTART
	v_med3_f32 v26, v26, v24, v25
v_med3_f32 v27, v27, v24, v25
v_cvt_pk_fp8_f32 v28, v26, v27
	;;#ASMEND
	v_perm_b32 v35, v30, v28, 0x1000504
	buffer_store_b128 v[32:35], v21, s[36:39], 0 offen
	;;#ASMSTART
	s_nop 0
	;;#ASMEND
	s_branch .LBB83_22
.LBB83_35:
	s_nop 0
	s_sendmsg sendmsg(MSG_DEALLOC_VGPRS)
	s_endpgm
	.section	.rodata,"a",@progbits
	.p2align	6, 0x0
	.amdhsa_kernel _ZN5aiter36smooth_per_token_scaled_quant_kernelItDB8_Li256ELi16ELb0ELb1ELb0ELi1024EEEvPT0_PfPT_S4_PiS7_iiPKiiiiiiiii
		.amdhsa_group_segment_fixed_size 32
		.amdhsa_private_segment_fixed_size 0
		.amdhsa_kernarg_size 96
		.amdhsa_user_sgpr_count 15
		.amdhsa_user_sgpr_dispatch_ptr 0
		.amdhsa_user_sgpr_queue_ptr 0
		.amdhsa_user_sgpr_kernarg_segment_ptr 1
		.amdhsa_user_sgpr_dispatch_id 0
		.amdhsa_user_sgpr_private_segment_size 0
		.amdhsa_wavefront_size32 1
		.amdhsa_uses_dynamic_stack 0
		.amdhsa_enable_private_segment 0
		.amdhsa_system_sgpr_workgroup_id_x 1
		.amdhsa_system_sgpr_workgroup_id_y 0
		.amdhsa_system_sgpr_workgroup_id_z 0
		.amdhsa_system_sgpr_workgroup_info 0
		.amdhsa_system_vgpr_workitem_id 0
		.amdhsa_next_free_vgpr 50
		.amdhsa_next_free_sgpr 43
		.amdhsa_reserve_vcc 1
		.amdhsa_float_round_mode_32 0
		.amdhsa_float_round_mode_16_64 0
		.amdhsa_float_denorm_mode_32 3
		.amdhsa_float_denorm_mode_16_64 3
		.amdhsa_dx10_clamp 1
		.amdhsa_ieee_mode 1
		.amdhsa_fp16_overflow 0
		.amdhsa_workgroup_processor_mode 1
		.amdhsa_memory_ordered 1
		.amdhsa_forward_progress 0
		.amdhsa_shared_vgpr_count 0
		.amdhsa_exception_fp_ieee_invalid_op 0
		.amdhsa_exception_fp_denorm_src 0
		.amdhsa_exception_fp_ieee_div_zero 0
		.amdhsa_exception_fp_ieee_overflow 0
		.amdhsa_exception_fp_ieee_underflow 0
		.amdhsa_exception_fp_ieee_inexact 0
		.amdhsa_exception_int_div_zero 0
	.end_amdhsa_kernel
	.section	.text._ZN5aiter36smooth_per_token_scaled_quant_kernelItDB8_Li256ELi16ELb0ELb1ELb0ELi1024EEEvPT0_PfPT_S4_PiS7_iiPKiiiiiiiii,"axG",@progbits,_ZN5aiter36smooth_per_token_scaled_quant_kernelItDB8_Li256ELi16ELb0ELb1ELb0ELi1024EEEvPT0_PfPT_S4_PiS7_iiPKiiiiiiiii,comdat
.Lfunc_end83:
	.size	_ZN5aiter36smooth_per_token_scaled_quant_kernelItDB8_Li256ELi16ELb0ELb1ELb0ELi1024EEEvPT0_PfPT_S4_PiS7_iiPKiiiiiiiii, .Lfunc_end83-_ZN5aiter36smooth_per_token_scaled_quant_kernelItDB8_Li256ELi16ELb0ELb1ELb0ELi1024EEEvPT0_PfPT_S4_PiS7_iiPKiiiiiiiii
                                        ; -- End function
	.section	.AMDGPU.csdata,"",@progbits
; Kernel info:
; codeLenInByte = 4000
; NumSgprs: 45
; NumVgprs: 50
; ScratchSize: 0
; MemoryBound: 0
; FloatMode: 240
; IeeeMode: 1
; LDSByteSize: 32 bytes/workgroup (compile time only)
; SGPRBlocks: 5
; VGPRBlocks: 6
; NumSGPRsForWavesPerEU: 45
; NumVGPRsForWavesPerEU: 50
; Occupancy: 16
; WaveLimiterHint : 0
; COMPUTE_PGM_RSRC2:SCRATCH_EN: 0
; COMPUTE_PGM_RSRC2:USER_SGPR: 15
; COMPUTE_PGM_RSRC2:TRAP_HANDLER: 0
; COMPUTE_PGM_RSRC2:TGID_X_EN: 1
; COMPUTE_PGM_RSRC2:TGID_Y_EN: 0
; COMPUTE_PGM_RSRC2:TGID_Z_EN: 0
; COMPUTE_PGM_RSRC2:TIDIG_COMP_CNT: 0
	.section	.text._ZN5aiter36smooth_per_token_scaled_quant_kernelIDF16_DB8_Li256ELi16ELb0ELb0ELb0ELi1024EEEvPT0_PfPT_S4_PiS7_iiPKiiiiiiiii,"axG",@progbits,_ZN5aiter36smooth_per_token_scaled_quant_kernelIDF16_DB8_Li256ELi16ELb0ELb0ELb0ELi1024EEEvPT0_PfPT_S4_PiS7_iiPKiiiiiiiii,comdat
	.protected	_ZN5aiter36smooth_per_token_scaled_quant_kernelIDF16_DB8_Li256ELi16ELb0ELb0ELb0ELi1024EEEvPT0_PfPT_S4_PiS7_iiPKiiiiiiiii ; -- Begin function _ZN5aiter36smooth_per_token_scaled_quant_kernelIDF16_DB8_Li256ELi16ELb0ELb0ELb0ELi1024EEEvPT0_PfPT_S4_PiS7_iiPKiiiiiiiii
	.globl	_ZN5aiter36smooth_per_token_scaled_quant_kernelIDF16_DB8_Li256ELi16ELb0ELb0ELb0ELi1024EEEvPT0_PfPT_S4_PiS7_iiPKiiiiiiiii
	.p2align	8
	.type	_ZN5aiter36smooth_per_token_scaled_quant_kernelIDF16_DB8_Li256ELi16ELb0ELb0ELb0ELi1024EEEvPT0_PfPT_S4_PiS7_iiPKiiiiiiiii,@function
_ZN5aiter36smooth_per_token_scaled_quant_kernelIDF16_DB8_Li256ELi16ELb0ELb0ELb0ELi1024EEEvPT0_PfPT_S4_PiS7_iiPKiiiiiiiii: ; @_ZN5aiter36smooth_per_token_scaled_quant_kernelIDF16_DB8_Li256ELi16ELb0ELb0ELb0ELi1024EEEvPT0_PfPT_S4_PiS7_iiPKiiiiiiiii
; %bb.0:
	s_clause 0x1
	s_load_b64 s[2:3], s[0:1], 0x38
	s_load_b256 s[4:11], s[0:1], 0x40
	s_waitcnt lgkmcnt(0)
	s_cmp_lg_u64 s[2:3], 0
	s_cbranch_scc0 .LBB84_19
; %bb.1:
	s_load_b32 s2, s[2:3], 0x0
	s_waitcnt lgkmcnt(0)
	s_mul_i32 s4, s2, s4
	s_cbranch_execnz .LBB84_3
.LBB84_2:
	s_mul_i32 s4, s6, s5
.LBB84_3:
	s_load_b64 s[2:3], s[0:1], 0x30
	s_abs_i32 s13, s4
	s_waitcnt lgkmcnt(0)
	s_abs_i32 s5, s2
	s_delay_alu instid0(SALU_CYCLE_1) | instskip(SKIP_1) | instid1(VALU_DEP_1)
	v_cvt_f32_u32_e32 v1, s5
	s_sub_i32 s12, 0, s5
	v_rcp_iflag_f32_e32 v1, v1
	s_waitcnt_depctr 0xfff
	v_mul_f32_e32 v1, 0x4f7ffffe, v1
	s_delay_alu instid0(VALU_DEP_1) | instskip(NEXT) | instid1(VALU_DEP_1)
	v_cvt_u32_f32_e32 v1, v1
	v_readfirstlane_b32 s11, v1
	s_delay_alu instid0(VALU_DEP_1) | instskip(NEXT) | instid1(SALU_CYCLE_1)
	s_mul_i32 s12, s12, s11
	s_mul_hi_u32 s12, s11, s12
	s_delay_alu instid0(SALU_CYCLE_1) | instskip(SKIP_4) | instid1(SALU_CYCLE_1)
	s_add_i32 s11, s11, s12
	s_xor_b32 s12, s4, s2
	s_mul_hi_u32 s11, s13, s11
	s_ashr_i32 s12, s12, 31
	s_mul_i32 s14, s11, s5
	s_sub_i32 s13, s13, s14
	s_add_i32 s14, s11, 1
	s_sub_i32 s16, s13, s5
	s_cmp_ge_u32 s13, s5
	s_cselect_b32 s11, s14, s11
	s_cselect_b32 s13, s16, s13
	s_add_i32 s14, s11, 1
	s_cmp_ge_u32 s13, s5
	s_cselect_b32 s5, s14, s11
	s_delay_alu instid0(SALU_CYCLE_1) | instskip(NEXT) | instid1(SALU_CYCLE_1)
	s_xor_b32 s5, s5, s12
	s_sub_i32 s5, s5, s12
	s_mov_b32 s12, 0
	s_mul_i32 s2, s5, s2
	s_delay_alu instid0(SALU_CYCLE_1) | instskip(NEXT) | instid1(SALU_CYCLE_1)
	s_sub_i32 s4, s4, s2
	s_cmp_lt_u32 s15, s4
	s_cselect_b32 s2, -1, 0
	s_add_i32 s11, s5, 1
	s_cmp_ge_u32 s15, s4
	s_cbranch_scc0 .LBB84_5
; %bb.4:
	s_sub_i32 s13, s15, s4
	s_mul_i32 s4, s4, s11
	s_mul_i32 s13, s13, s5
	s_delay_alu instid0(SALU_CYCLE_1)
	s_add_i32 s4, s13, s4
	s_and_not1_b32 vcc_lo, exec_lo, s12
	s_cbranch_vccz .LBB84_6
	s_branch .LBB84_7
.LBB84_5:
                                        ; implicit-def: $sgpr4
.LBB84_6:
	s_mul_i32 s4, s11, s15
.LBB84_7:
	v_cndmask_b32_e64 v1, 0, 1, s2
	s_delay_alu instid0(VALU_DEP_1) | instskip(NEXT) | instid1(VALU_DEP_1)
	v_readfirstlane_b32 s2, v1
	s_add_i32 s5, s5, s2
	s_delay_alu instid0(SALU_CYCLE_1)
	s_cmp_lt_i32 s5, 1
	s_cbranch_scc1 .LBB84_18
; %bb.8:
	s_abs_i32 s33, s6
	s_load_b256 s[12:19], s[0:1], 0x0
	v_cvt_f32_u32_e32 v3, s33
	s_add_i32 s1, s3, 15
	s_mov_b32 s11, s3
	s_ashr_i32 s2, s1, 31
	s_lshl_b32 s22, s3, 1
	v_rcp_iflag_f32_e32 v5, v3
	v_lshlrev_b32_e32 v2, 6, v0
	s_lshl_b32 s26, s3, 2
	s_lshr_b32 s2, s2, 28
	s_add_i32 s3, s3, 3
	s_add_i32 s1, s1, s2
	s_ashr_i32 s2, s3, 31
	v_and_b32_e32 v3, 31, v0
	v_lshrrev_b32_e32 v4, 3, v0
	s_waitcnt_depctr 0xfff
	v_dual_mul_f32 v5, 0x4f7ffffe, v5 :: v_dual_and_b32 v6, 7, v0
	s_lshr_b32 s2, s2, 30
	s_ashr_i32 s1, s1, 4
	s_add_i32 s3, s3, s2
	s_sub_i32 s2, 0, s33
	v_cvt_u32_f32_e32 v5, v5
	v_lshlrev_b32_e32 v1, 5, v0
	v_cmp_eq_u32_e32 vcc_lo, 31, v3
	v_and_b32_e32 v3, 0x7c, v4
	v_cmp_eq_u32_e64 s0, 0, v0
	v_readfirstlane_b32 s20, v5
	v_cmp_gt_u32_e64 s1, s1, v0
	v_dual_mov_b32 v5, 0 :: v_dual_lshlrev_b32 v0, 4, v0
	v_dual_mov_b32 v7, 0x43e00000 :: v_dual_lshlrev_b32 v4, 2, v6
	s_delay_alu instid0(VALU_DEP_4)
	s_mul_i32 s2, s2, s20
	v_mov_b32_e32 v6, 0xc3e00000
	s_mov_b32 s23, -1
	s_waitcnt lgkmcnt(0)
	s_and_b32 s19, s19, 0xffff
	s_mul_hi_u32 s2, s20, s2
	s_mov_b32 s27, s23
	s_and_b32 s30, s3, -4
	s_ashr_i32 s34, s6, 31
	s_add_i32 s35, s20, s2
	s_mov_b32 s24, s18
	s_mov_b32 s25, s19
	;; [unrolled: 1-line block ×4, first 2 shown]
                                        ; implicit-def: $vgpr8
                                        ; implicit-def: $vgpr13
                                        ; implicit-def: $vgpr9
                                        ; implicit-def: $vgpr15
                                        ; implicit-def: $vgpr10
                                        ; implicit-def: $vgpr16
                                        ; implicit-def: $vgpr11
                                        ; implicit-def: $vgpr18
                                        ; implicit-def: $vgpr12
                                        ; implicit-def: $vgpr20
                                        ; implicit-def: $vgpr14
                                        ; implicit-def: $vgpr21
                                        ; implicit-def: $vgpr17
                                        ; implicit-def: $vgpr22
                                        ; implicit-def: $vgpr19
                                        ; implicit-def: $vgpr23
	s_branch .LBB84_10
.LBB84_9:                               ;   in Loop: Header=BB84_10 Depth=1
	s_or_b32 exec_lo, exec_lo, s3
	s_add_i32 s5, s5, -1
	s_add_i32 s4, s4, 1
	s_cmp_eq_u32 s5, 0
	s_cbranch_scc1 .LBB84_18
.LBB84_10:                              ; =>This Inner Loop Header: Depth=1
	s_abs_i32 s2, s4
	s_ashr_i32 s20, s4, 31
	s_mul_hi_u32 s3, s2, s35
	s_xor_b32 s20, s20, s34
	s_mul_i32 s21, s3, s33
	s_delay_alu instid0(SALU_CYCLE_1)
	s_sub_i32 s2, s2, s21
	s_add_i32 s21, s3, 1
	s_sub_i32 s28, s2, s33
	s_cmp_ge_u32 s2, s33
	s_cselect_b32 s3, s21, s3
	s_cselect_b32 s2, s28, s2
	s_add_i32 s21, s3, 1
	s_cmp_ge_u32 s2, s33
	s_cselect_b32 s2, s21, s3
	s_delay_alu instid0(SALU_CYCLE_1) | instskip(NEXT) | instid1(SALU_CYCLE_1)
	s_xor_b32 s2, s2, s20
	s_sub_i32 s3, s2, s20
	s_delay_alu instid0(SALU_CYCLE_1) | instskip(SKIP_2) | instid1(SALU_CYCLE_1)
	s_mul_i32 s2, s3, s6
	s_mul_i32 s20, s3, s7
	s_sub_i32 s28, s4, s2
	s_mul_i32 s2, s28, s8
	s_delay_alu instid0(SALU_CYCLE_1) | instskip(NEXT) | instid1(SALU_CYCLE_1)
	s_add_i32 s2, s2, s20
	s_cmp_eq_u32 s2, s19
	s_cbranch_scc1 .LBB84_12
; %bb.11:                               ;   in Loop: Header=BB84_10 Depth=1
	s_mul_hi_i32 s21, s2, s11
	s_mul_i32 s20, s2, s11
	s_delay_alu instid0(SALU_CYCLE_1) | instskip(NEXT) | instid1(SALU_CYCLE_1)
	s_lshl_b64 s[20:21], s[20:21], 1
	s_add_u32 s20, s16, s20
	s_addc_u32 s19, s17, s21
	s_delay_alu instid0(SALU_CYCLE_1)
	s_and_b32 s21, s19, 0xffff
	s_clause 0x1
	buffer_load_b128 v[9:12], v1, s[20:23], 0 offen
	buffer_load_b128 v[17:20], v1, s[20:23], 16 offen
	s_mov_b32 s19, s2
	s_waitcnt vmcnt(1)
	v_lshrrev_b32_e32 v13, 16, v9
	v_lshrrev_b32_e32 v15, 16, v10
	v_lshrrev_b32_e32 v16, 16, v11
	v_lshrrev_b32_e32 v21, 16, v12
	s_waitcnt vmcnt(0)
	v_lshrrev_b32_e32 v22, 16, v17
	v_lshrrev_b32_e32 v23, 16, v18
	;; [unrolled: 1-line block ×4, first 2 shown]
	v_cvt_f32_f16_e32 v8, v9
	v_cvt_f32_f16_e32 v9, v10
	;; [unrolled: 1-line block ×16, first 2 shown]
.LBB84_12:                              ;   in Loop: Header=BB84_10 Depth=1
	s_clause 0x3
	buffer_load_b128 v[24:27], v2, s[24:27], 0 offen
	buffer_load_b128 v[28:31], v2, s[24:27], 16 offen
	;; [unrolled: 1-line block ×4, first 2 shown]
	s_waitcnt vmcnt(3)
	v_dual_mul_f32 v38, v8, v24 :: v_dual_mul_f32 v39, v13, v25
	v_dual_mul_f32 v36, v9, v26 :: v_dual_mul_f32 v37, v15, v27
	s_waitcnt vmcnt(2)
	v_dual_mul_f32 v34, v10, v28 :: v_dual_mul_f32 v35, v16, v29
	s_delay_alu instid0(VALU_DEP_3) | instskip(SKIP_3) | instid1(VALU_DEP_3)
	v_max3_f32 v24, |v38|, 0x2edbe6ff, |v39|
	v_dual_mul_f32 v32, v11, v30 :: v_dual_mul_f32 v33, v18, v31
	s_waitcnt vmcnt(1)
	v_dual_mul_f32 v31, v12, v40 :: v_dual_mul_f32 v28, v14, v42
	v_max3_f32 v24, v24, |v36|, |v37|
	v_dual_mul_f32 v30, v20, v41 :: v_dual_mul_f32 v29, v21, v43
	s_waitcnt vmcnt(0)
	v_dual_mul_f32 v25, v17, v44 :: v_dual_mul_f32 v26, v22, v45
	s_delay_alu instid0(VALU_DEP_3) | instskip(SKIP_1) | instid1(VALU_DEP_2)
	v_max3_f32 v24, v24, |v34|, |v35|
	v_mul_f32_e32 v27, v23, v47
	v_max3_f32 v24, v24, |v32|, |v33|
	s_delay_alu instid0(VALU_DEP_1) | instskip(NEXT) | instid1(VALU_DEP_1)
	v_max3_f32 v24, v24, |v31|, |v30|
	v_max3_f32 v40, v24, |v28|, |v29|
	v_mul_f32_e32 v24, v19, v46
	s_delay_alu instid0(VALU_DEP_2) | instskip(NEXT) | instid1(VALU_DEP_1)
	v_max3_f32 v40, v40, |v25|, |v26|
	v_max3_f32 v40, v40, |v24|, |v27|
	s_delay_alu instid0(VALU_DEP_1) | instskip(NEXT) | instid1(VALU_DEP_1)
	v_mov_b32_dpp v41, v40 quad_perm:[1,0,3,2] row_mask:0xf bank_mask:0xf
	v_cmp_gt_f32_e64 s2, v40, v41
	s_delay_alu instid0(VALU_DEP_1) | instskip(NEXT) | instid1(VALU_DEP_1)
	v_cndmask_b32_e64 v40, v41, v40, s2
	v_mov_b32_dpp v41, v40 quad_perm:[2,3,0,1] row_mask:0xf bank_mask:0xf
	s_delay_alu instid0(VALU_DEP_1) | instskip(NEXT) | instid1(VALU_DEP_1)
	v_cmp_gt_f32_e64 s2, v40, v41
	v_cndmask_b32_e64 v40, v41, v40, s2
	s_delay_alu instid0(VALU_DEP_1) | instskip(NEXT) | instid1(VALU_DEP_1)
	v_mov_b32_dpp v41, v40 row_xmask:7 row_mask:0xf bank_mask:0xf
	v_cmp_gt_f32_e64 s2, v40, v41
	s_delay_alu instid0(VALU_DEP_1) | instskip(NEXT) | instid1(VALU_DEP_1)
	v_cndmask_b32_e64 v40, v41, v40, s2
	v_mov_b32_dpp v41, v40 row_xmask:15 row_mask:0xf bank_mask:0xf
	s_delay_alu instid0(VALU_DEP_1)
	v_cmp_gt_f32_e64 s2, v40, v41
	s_and_saveexec_b32 s20, vcc_lo
	s_cbranch_execz .LBB84_14
; %bb.13:                               ;   in Loop: Header=BB84_10 Depth=1
	s_delay_alu instid0(VALU_DEP_1) | instskip(NEXT) | instid1(VALU_DEP_1)
	v_cndmask_b32_e64 v40, v41, v40, s2
	v_permlanex16_b32 v41, v40, s18, 0xfedcba98 op_sel:[1,1]
	s_delay_alu instid0(VALU_DEP_1) | instskip(NEXT) | instid1(VALU_DEP_1)
	v_cmp_gt_f32_e64 s2, v40, v41
	v_cndmask_b32_e64 v40, v41, v40, s2
	ds_store_b32 v3, v40
.LBB84_14:                              ;   in Loop: Header=BB84_10 Depth=1
	s_or_b32 exec_lo, exec_lo, s20
	s_waitcnt lgkmcnt(0)
	s_waitcnt_vscnt null, 0x0
	s_barrier
	buffer_gl0_inv
	ds_load_b32 v40, v4
	s_mul_i32 s3, s3, s9
	s_waitcnt lgkmcnt(0)
	v_mov_b32_dpp v41, v40 quad_perm:[1,0,3,2] row_mask:0xf bank_mask:0xf
	s_delay_alu instid0(VALU_DEP_1) | instskip(NEXT) | instid1(VALU_DEP_1)
	v_cmp_gt_f32_e64 s2, v40, v41
	v_cndmask_b32_e64 v40, v41, v40, s2
	s_delay_alu instid0(VALU_DEP_1) | instskip(NEXT) | instid1(VALU_DEP_1)
	v_mov_b32_dpp v41, v40 quad_perm:[2,3,0,1] row_mask:0xf bank_mask:0xf
	v_cmp_gt_f32_e64 s2, v40, v41
	s_delay_alu instid0(VALU_DEP_1) | instskip(NEXT) | instid1(VALU_DEP_1)
	v_cndmask_b32_e64 v40, v41, v40, s2
	v_mov_b32_dpp v41, v40 row_xmask:7 row_mask:0xf bank_mask:0xf
	s_delay_alu instid0(VALU_DEP_1) | instskip(NEXT) | instid1(VALU_DEP_1)
	v_cmp_gt_f32_e64 s2, v40, v41
	v_cndmask_b32_e64 v40, v41, v40, s2
	s_mul_i32 s2, s28, s10
	s_delay_alu instid0(SALU_CYCLE_1) | instskip(NEXT) | instid1(VALU_DEP_1)
	s_add_i32 s2, s2, s3
	v_mul_f32_e32 v40, 0x3b124925, v40
	s_and_saveexec_b32 s20, s0
	s_cbranch_execz .LBB84_16
; %bb.15:                               ;   in Loop: Header=BB84_10 Depth=1
	s_ashr_i32 s3, s2, 31
	s_delay_alu instid0(SALU_CYCLE_1) | instskip(NEXT) | instid1(SALU_CYCLE_1)
	s_lshl_b64 s[28:29], s[2:3], 2
	s_add_u32 s28, s14, s28
	s_addc_u32 s29, s15, s29
	global_store_b32 v5, v40, s[28:29]
.LBB84_16:                              ;   in Loop: Header=BB84_10 Depth=1
	s_or_b32 exec_lo, exec_lo, s20
	s_and_saveexec_b32 s3, s1
	s_cbranch_execz .LBB84_9
; %bb.17:                               ;   in Loop: Header=BB84_10 Depth=1
	v_rcp_f32_e32 v40, v40
	s_mul_i32 s20, s2, s11
	s_mul_hi_i32 s2, s2, s11
	s_add_u32 s28, s12, s20
	s_addc_u32 s2, s13, s2
	s_mov_b32 s31, s23
	s_and_b32 s29, s2, 0xffff
	s_waitcnt_depctr 0xfff
	v_mul_f32_e32 v38, v38, v40
	v_mul_f32_e32 v39, v39, v40
	;; [unrolled: 1-line block ×5, first 2 shown]
	;;#ASMSTART
	v_med3_f32 v38, v38, v6, v7
v_med3_f32 v39, v39, v6, v7
v_cvt_pk_fp8_f32 v31, v38, v39
	;;#ASMEND
	;;#ASMSTART
	v_med3_f32 v36, v36, v6, v7
v_med3_f32 v37, v37, v6, v7
v_cvt_pk_fp8_f32 v38, v36, v37
	;;#ASMEND
	v_perm_b32 v36, v38, v31, 0x5040100
	v_mul_f32_e32 v34, v34, v40
	v_mul_f32_e32 v35, v35, v40
	;; [unrolled: 1-line block ×5, first 2 shown]
	;;#ASMSTART
	v_med3_f32 v34, v34, v6, v7
v_med3_f32 v35, v35, v6, v7
v_cvt_pk_fp8_f32 v30, v34, v35
	;;#ASMEND
	;;#ASMSTART
	v_med3_f32 v32, v32, v6, v7
v_med3_f32 v33, v33, v6, v7
v_cvt_pk_fp8_f32 v31, v32, v33
	;;#ASMEND
	v_mul_f32_e32 v28, v28, v40
	v_mul_f32_e32 v29, v29, v40
	;; [unrolled: 1-line block ×4, first 2 shown]
	;;#ASMSTART
	v_med3_f32 v41, v41, v6, v7
v_med3_f32 v37, v37, v6, v7
v_cvt_pk_fp8_f32 v32, v41, v37
	;;#ASMEND
	;;#ASMSTART
	v_med3_f32 v28, v28, v6, v7
v_med3_f32 v29, v29, v6, v7
v_cvt_pk_fp8_f32 v33, v28, v29
	;;#ASMEND
	v_mul_f32_e32 v24, v24, v40
	v_mul_f32_e32 v27, v27, v40
	;;#ASMSTART
	v_med3_f32 v25, v25, v6, v7
v_med3_f32 v26, v26, v6, v7
v_cvt_pk_fp8_f32 v28, v25, v26
	;;#ASMEND
	v_perm_b32 v31, v30, v31, 0x1000504
	v_perm_b32 v30, v36, v38, 0x1060504
	;; [unrolled: 1-line block ×3, first 2 shown]
	;;#ASMSTART
	v_med3_f32 v24, v24, v6, v7
v_med3_f32 v27, v27, v6, v7
v_cvt_pk_fp8_f32 v25, v24, v27
	;;#ASMEND
	v_perm_b32 v33, v28, v25, 0x1000504
	buffer_store_b128 v[30:33], v0, s[28:31], 0 offen
	;;#ASMSTART
	s_nop 0
	;;#ASMEND
	s_branch .LBB84_9
.LBB84_18:
	s_nop 0
	s_sendmsg sendmsg(MSG_DEALLOC_VGPRS)
	s_endpgm
.LBB84_19:
                                        ; implicit-def: $sgpr4
	s_branch .LBB84_2
	.section	.rodata,"a",@progbits
	.p2align	6, 0x0
	.amdhsa_kernel _ZN5aiter36smooth_per_token_scaled_quant_kernelIDF16_DB8_Li256ELi16ELb0ELb0ELb0ELi1024EEEvPT0_PfPT_S4_PiS7_iiPKiiiiiiiii
		.amdhsa_group_segment_fixed_size 32
		.amdhsa_private_segment_fixed_size 0
		.amdhsa_kernarg_size 96
		.amdhsa_user_sgpr_count 15
		.amdhsa_user_sgpr_dispatch_ptr 0
		.amdhsa_user_sgpr_queue_ptr 0
		.amdhsa_user_sgpr_kernarg_segment_ptr 1
		.amdhsa_user_sgpr_dispatch_id 0
		.amdhsa_user_sgpr_private_segment_size 0
		.amdhsa_wavefront_size32 1
		.amdhsa_uses_dynamic_stack 0
		.amdhsa_enable_private_segment 0
		.amdhsa_system_sgpr_workgroup_id_x 1
		.amdhsa_system_sgpr_workgroup_id_y 0
		.amdhsa_system_sgpr_workgroup_id_z 0
		.amdhsa_system_sgpr_workgroup_info 0
		.amdhsa_system_vgpr_workitem_id 0
		.amdhsa_next_free_vgpr 48
		.amdhsa_next_free_sgpr 36
		.amdhsa_reserve_vcc 1
		.amdhsa_float_round_mode_32 0
		.amdhsa_float_round_mode_16_64 0
		.amdhsa_float_denorm_mode_32 3
		.amdhsa_float_denorm_mode_16_64 3
		.amdhsa_dx10_clamp 1
		.amdhsa_ieee_mode 1
		.amdhsa_fp16_overflow 0
		.amdhsa_workgroup_processor_mode 1
		.amdhsa_memory_ordered 1
		.amdhsa_forward_progress 0
		.amdhsa_shared_vgpr_count 0
		.amdhsa_exception_fp_ieee_invalid_op 0
		.amdhsa_exception_fp_denorm_src 0
		.amdhsa_exception_fp_ieee_div_zero 0
		.amdhsa_exception_fp_ieee_overflow 0
		.amdhsa_exception_fp_ieee_underflow 0
		.amdhsa_exception_fp_ieee_inexact 0
		.amdhsa_exception_int_div_zero 0
	.end_amdhsa_kernel
	.section	.text._ZN5aiter36smooth_per_token_scaled_quant_kernelIDF16_DB8_Li256ELi16ELb0ELb0ELb0ELi1024EEEvPT0_PfPT_S4_PiS7_iiPKiiiiiiiii,"axG",@progbits,_ZN5aiter36smooth_per_token_scaled_quant_kernelIDF16_DB8_Li256ELi16ELb0ELb0ELb0ELi1024EEEvPT0_PfPT_S4_PiS7_iiPKiiiiiiiii,comdat
.Lfunc_end84:
	.size	_ZN5aiter36smooth_per_token_scaled_quant_kernelIDF16_DB8_Li256ELi16ELb0ELb0ELb0ELi1024EEEvPT0_PfPT_S4_PiS7_iiPKiiiiiiiii, .Lfunc_end84-_ZN5aiter36smooth_per_token_scaled_quant_kernelIDF16_DB8_Li256ELi16ELb0ELb0ELb0ELi1024EEEvPT0_PfPT_S4_PiS7_iiPKiiiiiiiii
                                        ; -- End function
	.section	.AMDGPU.csdata,"",@progbits
; Kernel info:
; codeLenInByte = 2088
; NumSgprs: 38
; NumVgprs: 48
; ScratchSize: 0
; MemoryBound: 0
; FloatMode: 240
; IeeeMode: 1
; LDSByteSize: 32 bytes/workgroup (compile time only)
; SGPRBlocks: 4
; VGPRBlocks: 5
; NumSGPRsForWavesPerEU: 38
; NumVGPRsForWavesPerEU: 48
; Occupancy: 16
; WaveLimiterHint : 0
; COMPUTE_PGM_RSRC2:SCRATCH_EN: 0
; COMPUTE_PGM_RSRC2:USER_SGPR: 15
; COMPUTE_PGM_RSRC2:TRAP_HANDLER: 0
; COMPUTE_PGM_RSRC2:TGID_X_EN: 1
; COMPUTE_PGM_RSRC2:TGID_Y_EN: 0
; COMPUTE_PGM_RSRC2:TGID_Z_EN: 0
; COMPUTE_PGM_RSRC2:TIDIG_COMP_CNT: 0
	.section	.text._ZN5aiter36smooth_per_token_scaled_quant_kernelItDB8_Li256ELi16ELb0ELb0ELb0ELi1024EEEvPT0_PfPT_S4_PiS7_iiPKiiiiiiiii,"axG",@progbits,_ZN5aiter36smooth_per_token_scaled_quant_kernelItDB8_Li256ELi16ELb0ELb0ELb0ELi1024EEEvPT0_PfPT_S4_PiS7_iiPKiiiiiiiii,comdat
	.protected	_ZN5aiter36smooth_per_token_scaled_quant_kernelItDB8_Li256ELi16ELb0ELb0ELb0ELi1024EEEvPT0_PfPT_S4_PiS7_iiPKiiiiiiiii ; -- Begin function _ZN5aiter36smooth_per_token_scaled_quant_kernelItDB8_Li256ELi16ELb0ELb0ELb0ELi1024EEEvPT0_PfPT_S4_PiS7_iiPKiiiiiiiii
	.globl	_ZN5aiter36smooth_per_token_scaled_quant_kernelItDB8_Li256ELi16ELb0ELb0ELb0ELi1024EEEvPT0_PfPT_S4_PiS7_iiPKiiiiiiiii
	.p2align	8
	.type	_ZN5aiter36smooth_per_token_scaled_quant_kernelItDB8_Li256ELi16ELb0ELb0ELb0ELi1024EEEvPT0_PfPT_S4_PiS7_iiPKiiiiiiiii,@function
_ZN5aiter36smooth_per_token_scaled_quant_kernelItDB8_Li256ELi16ELb0ELb0ELb0ELi1024EEEvPT0_PfPT_S4_PiS7_iiPKiiiiiiiii: ; @_ZN5aiter36smooth_per_token_scaled_quant_kernelItDB8_Li256ELi16ELb0ELb0ELb0ELi1024EEEvPT0_PfPT_S4_PiS7_iiPKiiiiiiiii
; %bb.0:
	s_clause 0x1
	s_load_b64 s[2:3], s[0:1], 0x38
	s_load_b256 s[4:11], s[0:1], 0x40
	s_waitcnt lgkmcnt(0)
	s_cmp_lg_u64 s[2:3], 0
	s_cbranch_scc0 .LBB85_19
; %bb.1:
	s_load_b32 s2, s[2:3], 0x0
	s_waitcnt lgkmcnt(0)
	s_mul_i32 s4, s2, s4
	s_cbranch_execnz .LBB85_3
.LBB85_2:
	s_mul_i32 s4, s6, s5
.LBB85_3:
	s_load_b64 s[2:3], s[0:1], 0x30
	s_abs_i32 s13, s4
	s_waitcnt lgkmcnt(0)
	s_abs_i32 s5, s2
	s_delay_alu instid0(SALU_CYCLE_1) | instskip(SKIP_1) | instid1(VALU_DEP_1)
	v_cvt_f32_u32_e32 v1, s5
	s_sub_i32 s12, 0, s5
	v_rcp_iflag_f32_e32 v1, v1
	s_waitcnt_depctr 0xfff
	v_mul_f32_e32 v1, 0x4f7ffffe, v1
	s_delay_alu instid0(VALU_DEP_1) | instskip(NEXT) | instid1(VALU_DEP_1)
	v_cvt_u32_f32_e32 v1, v1
	v_readfirstlane_b32 s11, v1
	s_delay_alu instid0(VALU_DEP_1) | instskip(NEXT) | instid1(SALU_CYCLE_1)
	s_mul_i32 s12, s12, s11
	s_mul_hi_u32 s12, s11, s12
	s_delay_alu instid0(SALU_CYCLE_1) | instskip(SKIP_4) | instid1(SALU_CYCLE_1)
	s_add_i32 s11, s11, s12
	s_xor_b32 s12, s4, s2
	s_mul_hi_u32 s11, s13, s11
	s_ashr_i32 s12, s12, 31
	s_mul_i32 s14, s11, s5
	s_sub_i32 s13, s13, s14
	s_add_i32 s14, s11, 1
	s_sub_i32 s16, s13, s5
	s_cmp_ge_u32 s13, s5
	s_cselect_b32 s11, s14, s11
	s_cselect_b32 s13, s16, s13
	s_add_i32 s14, s11, 1
	s_cmp_ge_u32 s13, s5
	s_cselect_b32 s5, s14, s11
	s_delay_alu instid0(SALU_CYCLE_1) | instskip(NEXT) | instid1(SALU_CYCLE_1)
	s_xor_b32 s5, s5, s12
	s_sub_i32 s5, s5, s12
	s_mov_b32 s12, 0
	s_mul_i32 s2, s5, s2
	s_delay_alu instid0(SALU_CYCLE_1) | instskip(NEXT) | instid1(SALU_CYCLE_1)
	s_sub_i32 s4, s4, s2
	s_cmp_lt_u32 s15, s4
	s_cselect_b32 s2, -1, 0
	s_add_i32 s11, s5, 1
	s_cmp_ge_u32 s15, s4
	s_cbranch_scc0 .LBB85_5
; %bb.4:
	s_sub_i32 s13, s15, s4
	s_mul_i32 s4, s4, s11
	s_mul_i32 s13, s13, s5
	s_delay_alu instid0(SALU_CYCLE_1)
	s_add_i32 s4, s13, s4
	s_and_not1_b32 vcc_lo, exec_lo, s12
	s_cbranch_vccz .LBB85_6
	s_branch .LBB85_7
.LBB85_5:
                                        ; implicit-def: $sgpr4
.LBB85_6:
	s_mul_i32 s4, s11, s15
.LBB85_7:
	v_cndmask_b32_e64 v1, 0, 1, s2
	s_delay_alu instid0(VALU_DEP_1) | instskip(NEXT) | instid1(VALU_DEP_1)
	v_readfirstlane_b32 s2, v1
	s_add_i32 s5, s5, s2
	s_delay_alu instid0(SALU_CYCLE_1)
	s_cmp_lt_i32 s5, 1
	s_cbranch_scc1 .LBB85_18
; %bb.8:
	s_abs_i32 s33, s6
	s_load_b256 s[12:19], s[0:1], 0x0
	v_cvt_f32_u32_e32 v3, s33
	s_add_i32 s1, s3, 15
	s_mov_b32 s11, s3
	s_ashr_i32 s2, s1, 31
	s_lshl_b32 s22, s3, 1
	v_rcp_iflag_f32_e32 v5, v3
	v_lshlrev_b32_e32 v2, 6, v0
	s_lshl_b32 s26, s3, 2
	s_lshr_b32 s2, s2, 28
	s_add_i32 s3, s3, 3
	s_add_i32 s1, s1, s2
	s_ashr_i32 s2, s3, 31
	v_and_b32_e32 v3, 31, v0
	v_lshrrev_b32_e32 v4, 3, v0
	s_waitcnt_depctr 0xfff
	v_dual_mul_f32 v5, 0x4f7ffffe, v5 :: v_dual_and_b32 v6, 7, v0
	s_lshr_b32 s2, s2, 30
	s_ashr_i32 s1, s1, 4
	s_add_i32 s3, s3, s2
	s_sub_i32 s2, 0, s33
	v_cvt_u32_f32_e32 v5, v5
	v_lshlrev_b32_e32 v1, 5, v0
	v_cmp_eq_u32_e32 vcc_lo, 31, v3
	v_and_b32_e32 v3, 0x7c, v4
	v_cmp_eq_u32_e64 s0, 0, v0
	v_readfirstlane_b32 s20, v5
	v_cmp_gt_u32_e64 s1, s1, v0
	v_dual_mov_b32 v5, 0 :: v_dual_lshlrev_b32 v0, 4, v0
	v_dual_mov_b32 v7, 0x43e00000 :: v_dual_lshlrev_b32 v4, 2, v6
	s_delay_alu instid0(VALU_DEP_4)
	s_mul_i32 s2, s2, s20
	v_mov_b32_e32 v6, 0xc3e00000
	s_mov_b32 s23, -1
	s_waitcnt lgkmcnt(0)
	s_and_b32 s19, s19, 0xffff
	s_mul_hi_u32 s2, s20, s2
	s_mov_b32 s27, s23
	s_and_b32 s30, s3, -4
	s_ashr_i32 s34, s6, 31
	s_add_i32 s35, s20, s2
	s_mov_b32 s24, s18
	s_mov_b32 s25, s19
	;; [unrolled: 1-line block ×4, first 2 shown]
                                        ; implicit-def: $vgpr8
                                        ; implicit-def: $vgpr9
                                        ; implicit-def: $vgpr10
                                        ; implicit-def: $vgpr11
                                        ; implicit-def: $vgpr12
                                        ; implicit-def: $vgpr13
                                        ; implicit-def: $vgpr14
                                        ; implicit-def: $vgpr15
                                        ; implicit-def: $vgpr16
                                        ; implicit-def: $vgpr17
                                        ; implicit-def: $vgpr18
                                        ; implicit-def: $vgpr19
                                        ; implicit-def: $vgpr20
                                        ; implicit-def: $vgpr21
                                        ; implicit-def: $vgpr22
                                        ; implicit-def: $vgpr23
	s_branch .LBB85_10
.LBB85_9:                               ;   in Loop: Header=BB85_10 Depth=1
	s_or_b32 exec_lo, exec_lo, s3
	s_add_i32 s5, s5, -1
	s_add_i32 s4, s4, 1
	s_cmp_eq_u32 s5, 0
	s_cbranch_scc1 .LBB85_18
.LBB85_10:                              ; =>This Inner Loop Header: Depth=1
	s_abs_i32 s2, s4
	s_ashr_i32 s20, s4, 31
	s_mul_hi_u32 s3, s2, s35
	s_xor_b32 s20, s20, s34
	s_mul_i32 s21, s3, s33
	s_delay_alu instid0(SALU_CYCLE_1)
	s_sub_i32 s2, s2, s21
	s_add_i32 s21, s3, 1
	s_sub_i32 s28, s2, s33
	s_cmp_ge_u32 s2, s33
	s_cselect_b32 s3, s21, s3
	s_cselect_b32 s2, s28, s2
	s_add_i32 s21, s3, 1
	s_cmp_ge_u32 s2, s33
	s_cselect_b32 s2, s21, s3
	s_delay_alu instid0(SALU_CYCLE_1) | instskip(NEXT) | instid1(SALU_CYCLE_1)
	s_xor_b32 s2, s2, s20
	s_sub_i32 s3, s2, s20
	s_delay_alu instid0(SALU_CYCLE_1) | instskip(SKIP_2) | instid1(SALU_CYCLE_1)
	s_mul_i32 s2, s3, s6
	s_mul_i32 s20, s3, s7
	s_sub_i32 s28, s4, s2
	s_mul_i32 s2, s28, s8
	s_delay_alu instid0(SALU_CYCLE_1) | instskip(NEXT) | instid1(SALU_CYCLE_1)
	s_add_i32 s2, s2, s20
	s_cmp_eq_u32 s2, s19
	s_cbranch_scc1 .LBB85_12
; %bb.11:                               ;   in Loop: Header=BB85_10 Depth=1
	s_mul_hi_i32 s21, s2, s11
	s_mul_i32 s20, s2, s11
	s_delay_alu instid0(SALU_CYCLE_1) | instskip(NEXT) | instid1(SALU_CYCLE_1)
	s_lshl_b64 s[20:21], s[20:21], 1
	s_add_u32 s20, s16, s20
	s_addc_u32 s19, s17, s21
	s_delay_alu instid0(SALU_CYCLE_1)
	s_and_b32 s21, s19, 0xffff
	s_clause 0x1
	buffer_load_b128 v[8:11], v1, s[20:23], 0 offen
	buffer_load_b128 v[12:15], v1, s[20:23], 16 offen
	s_mov_b32 s19, s2
	s_waitcnt vmcnt(1)
	v_and_b32_e32 v16, 0xffff, v8
	v_lshrrev_b32_e32 v17, 16, v8
	v_and_b32_e32 v18, 0xffff, v9
	v_lshrrev_b32_e32 v19, 16, v9
	;; [unrolled: 2-line block ×4, first 2 shown]
	s_waitcnt vmcnt(0)
	v_and_b32_e32 v24, 0xffff, v12
	v_lshrrev_b32_e32 v25, 16, v12
	v_and_b32_e32 v26, 0xffff, v13
	v_lshrrev_b32_e32 v27, 16, v13
	;; [unrolled: 2-line block ×4, first 2 shown]
	v_cvt_f32_u32_e32 v8, v16
	v_cvt_f32_u32_e32 v9, v17
	;; [unrolled: 1-line block ×16, first 2 shown]
.LBB85_12:                              ;   in Loop: Header=BB85_10 Depth=1
	s_clause 0x3
	buffer_load_b128 v[24:27], v2, s[24:27], 0 offen
	buffer_load_b128 v[28:31], v2, s[24:27], 16 offen
	;; [unrolled: 1-line block ×4, first 2 shown]
	s_waitcnt vmcnt(3)
	v_dual_mul_f32 v38, v8, v24 :: v_dual_mul_f32 v39, v9, v25
	v_dual_mul_f32 v36, v10, v26 :: v_dual_mul_f32 v37, v11, v27
	s_waitcnt vmcnt(2)
	v_dual_mul_f32 v34, v12, v28 :: v_dual_mul_f32 v35, v13, v29
	s_delay_alu instid0(VALU_DEP_3) | instskip(SKIP_3) | instid1(VALU_DEP_3)
	v_max3_f32 v24, |v38|, 0x2edbe6ff, |v39|
	v_dual_mul_f32 v32, v14, v30 :: v_dual_mul_f32 v33, v15, v31
	s_waitcnt vmcnt(1)
	v_dual_mul_f32 v31, v16, v40 :: v_dual_mul_f32 v30, v17, v41
	v_max3_f32 v24, v24, |v36|, |v37|
	v_dual_mul_f32 v28, v18, v42 :: v_dual_mul_f32 v29, v19, v43
	s_waitcnt vmcnt(0)
	v_dual_mul_f32 v25, v20, v44 :: v_dual_mul_f32 v26, v21, v45
	s_delay_alu instid0(VALU_DEP_3) | instskip(SKIP_1) | instid1(VALU_DEP_2)
	v_max3_f32 v24, v24, |v34|, |v35|
	v_mul_f32_e32 v27, v23, v47
	v_max3_f32 v24, v24, |v32|, |v33|
	s_delay_alu instid0(VALU_DEP_1) | instskip(NEXT) | instid1(VALU_DEP_1)
	v_max3_f32 v24, v24, |v31|, |v30|
	v_max3_f32 v40, v24, |v28|, |v29|
	v_mul_f32_e32 v24, v22, v46
	s_delay_alu instid0(VALU_DEP_2) | instskip(NEXT) | instid1(VALU_DEP_1)
	v_max3_f32 v40, v40, |v25|, |v26|
	v_max3_f32 v40, v40, |v24|, |v27|
	s_delay_alu instid0(VALU_DEP_1) | instskip(NEXT) | instid1(VALU_DEP_1)
	v_mov_b32_dpp v41, v40 quad_perm:[1,0,3,2] row_mask:0xf bank_mask:0xf
	v_cmp_gt_f32_e64 s2, v40, v41
	s_delay_alu instid0(VALU_DEP_1) | instskip(NEXT) | instid1(VALU_DEP_1)
	v_cndmask_b32_e64 v40, v41, v40, s2
	v_mov_b32_dpp v41, v40 quad_perm:[2,3,0,1] row_mask:0xf bank_mask:0xf
	s_delay_alu instid0(VALU_DEP_1) | instskip(NEXT) | instid1(VALU_DEP_1)
	v_cmp_gt_f32_e64 s2, v40, v41
	v_cndmask_b32_e64 v40, v41, v40, s2
	s_delay_alu instid0(VALU_DEP_1) | instskip(NEXT) | instid1(VALU_DEP_1)
	v_mov_b32_dpp v41, v40 row_xmask:7 row_mask:0xf bank_mask:0xf
	v_cmp_gt_f32_e64 s2, v40, v41
	s_delay_alu instid0(VALU_DEP_1) | instskip(NEXT) | instid1(VALU_DEP_1)
	v_cndmask_b32_e64 v40, v41, v40, s2
	v_mov_b32_dpp v41, v40 row_xmask:15 row_mask:0xf bank_mask:0xf
	s_delay_alu instid0(VALU_DEP_1)
	v_cmp_gt_f32_e64 s2, v40, v41
	s_and_saveexec_b32 s20, vcc_lo
	s_cbranch_execz .LBB85_14
; %bb.13:                               ;   in Loop: Header=BB85_10 Depth=1
	s_delay_alu instid0(VALU_DEP_1) | instskip(NEXT) | instid1(VALU_DEP_1)
	v_cndmask_b32_e64 v40, v41, v40, s2
	v_permlanex16_b32 v41, v40, s18, 0xfedcba98 op_sel:[1,1]
	s_delay_alu instid0(VALU_DEP_1) | instskip(NEXT) | instid1(VALU_DEP_1)
	v_cmp_gt_f32_e64 s2, v40, v41
	v_cndmask_b32_e64 v40, v41, v40, s2
	ds_store_b32 v3, v40
.LBB85_14:                              ;   in Loop: Header=BB85_10 Depth=1
	s_or_b32 exec_lo, exec_lo, s20
	s_waitcnt lgkmcnt(0)
	s_waitcnt_vscnt null, 0x0
	s_barrier
	buffer_gl0_inv
	ds_load_b32 v40, v4
	s_mul_i32 s3, s3, s9
	s_waitcnt lgkmcnt(0)
	v_mov_b32_dpp v41, v40 quad_perm:[1,0,3,2] row_mask:0xf bank_mask:0xf
	s_delay_alu instid0(VALU_DEP_1) | instskip(NEXT) | instid1(VALU_DEP_1)
	v_cmp_gt_f32_e64 s2, v40, v41
	v_cndmask_b32_e64 v40, v41, v40, s2
	s_delay_alu instid0(VALU_DEP_1) | instskip(NEXT) | instid1(VALU_DEP_1)
	v_mov_b32_dpp v41, v40 quad_perm:[2,3,0,1] row_mask:0xf bank_mask:0xf
	v_cmp_gt_f32_e64 s2, v40, v41
	s_delay_alu instid0(VALU_DEP_1) | instskip(NEXT) | instid1(VALU_DEP_1)
	v_cndmask_b32_e64 v40, v41, v40, s2
	v_mov_b32_dpp v41, v40 row_xmask:7 row_mask:0xf bank_mask:0xf
	s_delay_alu instid0(VALU_DEP_1) | instskip(NEXT) | instid1(VALU_DEP_1)
	v_cmp_gt_f32_e64 s2, v40, v41
	v_cndmask_b32_e64 v40, v41, v40, s2
	s_mul_i32 s2, s28, s10
	s_delay_alu instid0(SALU_CYCLE_1) | instskip(NEXT) | instid1(VALU_DEP_1)
	s_add_i32 s2, s2, s3
	v_mul_f32_e32 v40, 0x3b124925, v40
	s_and_saveexec_b32 s20, s0
	s_cbranch_execz .LBB85_16
; %bb.15:                               ;   in Loop: Header=BB85_10 Depth=1
	s_ashr_i32 s3, s2, 31
	s_delay_alu instid0(SALU_CYCLE_1) | instskip(NEXT) | instid1(SALU_CYCLE_1)
	s_lshl_b64 s[28:29], s[2:3], 2
	s_add_u32 s28, s14, s28
	s_addc_u32 s29, s15, s29
	global_store_b32 v5, v40, s[28:29]
.LBB85_16:                              ;   in Loop: Header=BB85_10 Depth=1
	s_or_b32 exec_lo, exec_lo, s20
	s_and_saveexec_b32 s3, s1
	s_cbranch_execz .LBB85_9
; %bb.17:                               ;   in Loop: Header=BB85_10 Depth=1
	v_rcp_f32_e32 v40, v40
	s_mul_i32 s20, s2, s11
	s_mul_hi_i32 s2, s2, s11
	s_add_u32 s28, s12, s20
	s_addc_u32 s2, s13, s2
	s_mov_b32 s31, s23
	s_and_b32 s29, s2, 0xffff
	s_waitcnt_depctr 0xfff
	v_mul_f32_e32 v38, v38, v40
	v_mul_f32_e32 v39, v39, v40
	;; [unrolled: 1-line block ×5, first 2 shown]
	;;#ASMSTART
	v_med3_f32 v38, v38, v6, v7
v_med3_f32 v39, v39, v6, v7
v_cvt_pk_fp8_f32 v31, v38, v39
	;;#ASMEND
	;;#ASMSTART
	v_med3_f32 v36, v36, v6, v7
v_med3_f32 v37, v37, v6, v7
v_cvt_pk_fp8_f32 v38, v36, v37
	;;#ASMEND
	v_perm_b32 v36, v38, v31, 0x5040100
	v_mul_f32_e32 v34, v34, v40
	v_mul_f32_e32 v35, v35, v40
	;; [unrolled: 1-line block ×5, first 2 shown]
	;;#ASMSTART
	v_med3_f32 v34, v34, v6, v7
v_med3_f32 v35, v35, v6, v7
v_cvt_pk_fp8_f32 v30, v34, v35
	;;#ASMEND
	;;#ASMSTART
	v_med3_f32 v32, v32, v6, v7
v_med3_f32 v33, v33, v6, v7
v_cvt_pk_fp8_f32 v31, v32, v33
	;;#ASMEND
	v_mul_f32_e32 v28, v28, v40
	v_mul_f32_e32 v29, v29, v40
	;; [unrolled: 1-line block ×4, first 2 shown]
	;;#ASMSTART
	v_med3_f32 v41, v41, v6, v7
v_med3_f32 v37, v37, v6, v7
v_cvt_pk_fp8_f32 v32, v41, v37
	;;#ASMEND
	;;#ASMSTART
	v_med3_f32 v28, v28, v6, v7
v_med3_f32 v29, v29, v6, v7
v_cvt_pk_fp8_f32 v33, v28, v29
	;;#ASMEND
	v_mul_f32_e32 v24, v24, v40
	v_mul_f32_e32 v27, v27, v40
	;;#ASMSTART
	v_med3_f32 v25, v25, v6, v7
v_med3_f32 v26, v26, v6, v7
v_cvt_pk_fp8_f32 v28, v25, v26
	;;#ASMEND
	v_perm_b32 v31, v30, v31, 0x1000504
	v_perm_b32 v30, v36, v38, 0x1060504
	v_perm_b32 v32, v32, v33, 0x1000504
	;;#ASMSTART
	v_med3_f32 v24, v24, v6, v7
v_med3_f32 v27, v27, v6, v7
v_cvt_pk_fp8_f32 v25, v24, v27
	;;#ASMEND
	v_perm_b32 v33, v28, v25, 0x1000504
	buffer_store_b128 v[30:33], v0, s[28:31], 0 offen
	;;#ASMSTART
	s_nop 0
	;;#ASMEND
	s_branch .LBB85_9
.LBB85_18:
	s_nop 0
	s_sendmsg sendmsg(MSG_DEALLOC_VGPRS)
	s_endpgm
.LBB85_19:
                                        ; implicit-def: $sgpr4
	s_branch .LBB85_2
	.section	.rodata,"a",@progbits
	.p2align	6, 0x0
	.amdhsa_kernel _ZN5aiter36smooth_per_token_scaled_quant_kernelItDB8_Li256ELi16ELb0ELb0ELb0ELi1024EEEvPT0_PfPT_S4_PiS7_iiPKiiiiiiiii
		.amdhsa_group_segment_fixed_size 32
		.amdhsa_private_segment_fixed_size 0
		.amdhsa_kernarg_size 96
		.amdhsa_user_sgpr_count 15
		.amdhsa_user_sgpr_dispatch_ptr 0
		.amdhsa_user_sgpr_queue_ptr 0
		.amdhsa_user_sgpr_kernarg_segment_ptr 1
		.amdhsa_user_sgpr_dispatch_id 0
		.amdhsa_user_sgpr_private_segment_size 0
		.amdhsa_wavefront_size32 1
		.amdhsa_uses_dynamic_stack 0
		.amdhsa_enable_private_segment 0
		.amdhsa_system_sgpr_workgroup_id_x 1
		.amdhsa_system_sgpr_workgroup_id_y 0
		.amdhsa_system_sgpr_workgroup_id_z 0
		.amdhsa_system_sgpr_workgroup_info 0
		.amdhsa_system_vgpr_workitem_id 0
		.amdhsa_next_free_vgpr 48
		.amdhsa_next_free_sgpr 36
		.amdhsa_reserve_vcc 1
		.amdhsa_float_round_mode_32 0
		.amdhsa_float_round_mode_16_64 0
		.amdhsa_float_denorm_mode_32 3
		.amdhsa_float_denorm_mode_16_64 3
		.amdhsa_dx10_clamp 1
		.amdhsa_ieee_mode 1
		.amdhsa_fp16_overflow 0
		.amdhsa_workgroup_processor_mode 1
		.amdhsa_memory_ordered 1
		.amdhsa_forward_progress 0
		.amdhsa_shared_vgpr_count 0
		.amdhsa_exception_fp_ieee_invalid_op 0
		.amdhsa_exception_fp_denorm_src 0
		.amdhsa_exception_fp_ieee_div_zero 0
		.amdhsa_exception_fp_ieee_overflow 0
		.amdhsa_exception_fp_ieee_underflow 0
		.amdhsa_exception_fp_ieee_inexact 0
		.amdhsa_exception_int_div_zero 0
	.end_amdhsa_kernel
	.section	.text._ZN5aiter36smooth_per_token_scaled_quant_kernelItDB8_Li256ELi16ELb0ELb0ELb0ELi1024EEEvPT0_PfPT_S4_PiS7_iiPKiiiiiiiii,"axG",@progbits,_ZN5aiter36smooth_per_token_scaled_quant_kernelItDB8_Li256ELi16ELb0ELb0ELb0ELi1024EEEvPT0_PfPT_S4_PiS7_iiPKiiiiiiiii,comdat
.Lfunc_end85:
	.size	_ZN5aiter36smooth_per_token_scaled_quant_kernelItDB8_Li256ELi16ELb0ELb0ELb0ELi1024EEEvPT0_PfPT_S4_PiS7_iiPKiiiiiiiii, .Lfunc_end85-_ZN5aiter36smooth_per_token_scaled_quant_kernelItDB8_Li256ELi16ELb0ELb0ELb0ELi1024EEEvPT0_PfPT_S4_PiS7_iiPKiiiiiiiii
                                        ; -- End function
	.section	.AMDGPU.csdata,"",@progbits
; Kernel info:
; codeLenInByte = 2152
; NumSgprs: 38
; NumVgprs: 48
; ScratchSize: 0
; MemoryBound: 0
; FloatMode: 240
; IeeeMode: 1
; LDSByteSize: 32 bytes/workgroup (compile time only)
; SGPRBlocks: 4
; VGPRBlocks: 5
; NumSGPRsForWavesPerEU: 38
; NumVGPRsForWavesPerEU: 48
; Occupancy: 16
; WaveLimiterHint : 0
; COMPUTE_PGM_RSRC2:SCRATCH_EN: 0
; COMPUTE_PGM_RSRC2:USER_SGPR: 15
; COMPUTE_PGM_RSRC2:TRAP_HANDLER: 0
; COMPUTE_PGM_RSRC2:TGID_X_EN: 1
; COMPUTE_PGM_RSRC2:TGID_Y_EN: 0
; COMPUTE_PGM_RSRC2:TGID_Z_EN: 0
; COMPUTE_PGM_RSRC2:TIDIG_COMP_CNT: 0
	.section	.text._ZN5aiter36smooth_per_token_scaled_quant_kernelIDF16_DB8_Li512ELi16ELb1ELb1ELb1ELi1024EEEvPT0_PfPT_S4_PiS7_iiPKiiiiiiiii,"axG",@progbits,_ZN5aiter36smooth_per_token_scaled_quant_kernelIDF16_DB8_Li512ELi16ELb1ELb1ELb1ELi1024EEEvPT0_PfPT_S4_PiS7_iiPKiiiiiiiii,comdat
	.protected	_ZN5aiter36smooth_per_token_scaled_quant_kernelIDF16_DB8_Li512ELi16ELb1ELb1ELb1ELi1024EEEvPT0_PfPT_S4_PiS7_iiPKiiiiiiiii ; -- Begin function _ZN5aiter36smooth_per_token_scaled_quant_kernelIDF16_DB8_Li512ELi16ELb1ELb1ELb1ELi1024EEEvPT0_PfPT_S4_PiS7_iiPKiiiiiiiii
	.globl	_ZN5aiter36smooth_per_token_scaled_quant_kernelIDF16_DB8_Li512ELi16ELb1ELb1ELb1ELi1024EEEvPT0_PfPT_S4_PiS7_iiPKiiiiiiiii
	.p2align	8
	.type	_ZN5aiter36smooth_per_token_scaled_quant_kernelIDF16_DB8_Li512ELi16ELb1ELb1ELb1ELi1024EEEvPT0_PfPT_S4_PiS7_iiPKiiiiiiiii,@function
_ZN5aiter36smooth_per_token_scaled_quant_kernelIDF16_DB8_Li512ELi16ELb1ELb1ELb1ELi1024EEEvPT0_PfPT_S4_PiS7_iiPKiiiiiiiii: ; @_ZN5aiter36smooth_per_token_scaled_quant_kernelIDF16_DB8_Li512ELi16ELb1ELb1ELb1ELi1024EEEvPT0_PfPT_S4_PiS7_iiPKiiiiiiiii
; %bb.0:
	s_clause 0x2
	s_load_b64 s[2:3], s[0:1], 0x38
	s_load_b64 s[16:17], s[0:1], 0x28
	s_load_b256 s[4:11], s[0:1], 0x40
	s_waitcnt lgkmcnt(0)
	s_cmp_lg_u64 s[2:3], 0
	s_cbranch_scc0 .LBB86_11
; %bb.1:
	s_load_b32 s2, s[2:3], 0x0
	s_waitcnt lgkmcnt(0)
	s_mul_i32 s4, s2, s4
	s_cbranch_execnz .LBB86_3
.LBB86_2:
	s_mul_i32 s4, s6, s5
.LBB86_3:
	v_lshlrev_b32_e32 v1, 2, v0
	s_lshl_b32 s18, s11, 2
	s_and_b32 s17, s17, 0xffff
	s_mov_b32 s19, -1
	s_load_b64 s[2:3], s[0:1], 0x30
	s_clause 0x1
	buffer_load_b32 v2, v1, s[16:19], 0 offen
	buffer_load_b32 v3, v1, s[16:19], 0 offen offset:2048
	s_abs_i32 s14, s4
                                        ; implicit-def: $sgpr34
	s_waitcnt lgkmcnt(0)
	s_abs_i32 s11, s2
	s_delay_alu instid0(SALU_CYCLE_1) | instskip(SKIP_1) | instid1(VALU_DEP_1)
	v_cvt_f32_u32_e32 v4, s11
	s_sub_i32 s13, 0, s11
	v_rcp_iflag_f32_e32 v4, v4
	s_waitcnt_depctr 0xfff
	v_mul_f32_e32 v4, 0x4f7ffffe, v4
	s_delay_alu instid0(VALU_DEP_1) | instskip(NEXT) | instid1(VALU_DEP_1)
	v_cvt_u32_f32_e32 v4, v4
	v_readfirstlane_b32 s12, v4
	s_delay_alu instid0(VALU_DEP_1) | instskip(NEXT) | instid1(SALU_CYCLE_1)
	s_mul_i32 s13, s13, s12
	s_mul_hi_u32 s13, s12, s13
	s_delay_alu instid0(SALU_CYCLE_1) | instskip(SKIP_4) | instid1(SALU_CYCLE_1)
	s_add_i32 s12, s12, s13
	s_xor_b32 s13, s4, s2
	s_mul_hi_u32 s12, s14, s12
	s_ashr_i32 s13, s13, 31
	s_mul_i32 s16, s12, s11
	s_sub_i32 s14, s14, s16
	s_add_i32 s16, s12, 1
	s_sub_i32 s17, s14, s11
	s_cmp_ge_u32 s14, s11
	s_cselect_b32 s12, s16, s12
	s_cselect_b32 s14, s17, s14
	s_add_i32 s16, s12, 1
	s_cmp_ge_u32 s14, s11
	s_cselect_b32 s11, s16, s12
	s_delay_alu instid0(SALU_CYCLE_1) | instskip(NEXT) | instid1(SALU_CYCLE_1)
	s_xor_b32 s11, s11, s13
	s_sub_i32 s11, s11, s13
	s_delay_alu instid0(SALU_CYCLE_1) | instskip(NEXT) | instid1(SALU_CYCLE_1)
	s_mul_i32 s2, s11, s2
	s_sub_i32 s12, s4, s2
	s_delay_alu instid0(SALU_CYCLE_1)
	s_cmp_lt_u32 s15, s12
	s_cselect_b32 s2, -1, 0
	s_add_i32 s4, s11, 1
	s_cmp_ge_u32 s15, s12
	s_waitcnt vmcnt(0)
	ds_store_2addr_stride64_b32 v1, v2, v3 offset1:8
	s_cbranch_scc0 .LBB86_5
; %bb.4:
	s_sub_i32 s13, s15, s12
	s_mul_i32 s12, s12, s4
	s_mul_i32 s13, s13, s11
	s_mov_b32 s19, 0
	s_add_i32 s34, s13, s12
.LBB86_5:
	s_and_not1_b32 vcc_lo, exec_lo, s19
	s_cbranch_vccnz .LBB86_7
; %bb.6:
	s_mul_i32 s34, s4, s15
.LBB86_7:
	v_cndmask_b32_e64 v1, 0, 1, s2
	s_delay_alu instid0(VALU_DEP_1) | instskip(NEXT) | instid1(VALU_DEP_1)
	v_readfirstlane_b32 s2, v1
	s_add_i32 s4, s11, s2
	s_delay_alu instid0(SALU_CYCLE_1)
	s_cmp_lt_i32 s4, 1
	s_cbranch_scc1 .LBB86_35
; %bb.8:
	s_load_b64 s[12:13], s[0:1], 0x20
	s_ashr_i32 s35, s34, 31
	v_and_b32_e32 v1, 31, v0
	s_lshl_b64 s[14:15], s[34:35], 2
	s_mov_b32 s33, -1
	v_and_b32_e32 v4, 15, v0
	s_mov_b32 s23, s33
	v_cmp_eq_u32_e32 vcc_lo, 31, v1
	v_lshlrev_b32_e32 v16, 5, v0
	v_lshlrev_b32_e32 v17, 6, v0
	v_lshl_or_b32 v19, v4, 2, 0x1000
	v_lshlrev_b32_e32 v21, 4, v0
	s_mov_b32 s42, s3
	s_waitcnt lgkmcnt(0)
	s_add_u32 s20, s12, s14
	s_addc_u32 s2, s13, s15
	s_abs_i32 s11, s6
	s_lshl_b32 s22, s4, 2
	v_cvt_f32_u32_e32 v3, s11
	s_and_b32 s21, s2, 0xffff
	s_load_b256 s[12:19], s[0:1], 0x0
	s_movk_i32 s0, 0x7c
	s_add_i32 s1, s3, 15
	v_rcp_iflag_f32_e32 v3, v3
	v_lshlrev_b32_e32 v22, 2, v1
	v_lshrrev_b32_e32 v1, 3, v0
	s_ashr_i32 s2, s1, 31
	s_lshl_b32 s26, s3, 1
	s_lshr_b32 s2, s2, 28
	s_lshl_b32 s30, s3, 2
	v_and_or_b32 v18, v1, s0, 0x1000
	s_add_i32 s1, s1, s2
	v_cmp_eq_u32_e64 s0, 0, v0
	s_waitcnt_depctr 0xfff
	v_mul_f32_e32 v1, 0x4f7ffffe, v3
	buffer_load_b32 v2, v22, s[20:23], 0 offen
	s_waitcnt vmcnt(0) expcnt(0) lgkmcnt(0)
	s_barrier
	buffer_gl0_inv
	v_cvt_u32_f32_e32 v1, v1
	s_add_i32 s23, s3, 3
	s_ashr_i32 s1, s1, 4
	s_ashr_i32 s2, s23, 31
	v_cmp_gt_u32_e64 s1, s1, v0
	v_readfirstlane_b32 s41, v1
	s_lshr_b32 s2, s2, 30
	s_ashr_i32 s40, s6, 31
	s_add_i32 s23, s23, s2
	s_sub_i32 s2, 0, s11
	s_and_b32 s38, s23, -4
	s_mul_i32 s23, s2, s41
	s_delay_alu instid0(SALU_CYCLE_1) | instskip(NEXT) | instid1(SALU_CYCLE_1)
	s_mul_hi_u32 s23, s41, s23
	s_add_i32 s41, s41, s23
	v_lshlrev_b32_e32 v2, 2, v2
	ds_load_b32 v20, v2
	s_waitcnt lgkmcnt(0)
	v_readlane_b32 s2, v20, 0
	s_delay_alu instid0(VALU_DEP_1)
	s_cmp_lt_i32 s2, 0
	s_cbranch_scc1 .LBB86_12
; %bb.9:
	s_abs_i32 s23, s34
	s_xor_b32 s27, s35, s40
	s_mul_hi_u32 s24, s23, s41
	s_mov_b32 s31, -1
	s_mul_i32 s25, s24, s11
	s_add_i32 s28, s24, 1
	s_sub_i32 s25, s23, s25
	s_delay_alu instid0(SALU_CYCLE_1)
	s_sub_i32 s29, s25, s11
	s_cmp_ge_u32 s25, s11
	s_cselect_b32 s24, s28, s24
	s_cselect_b32 s25, s29, s25
	s_add_i32 s28, s24, 1
	s_cmp_ge_u32 s25, s11
	s_cselect_b32 s24, s28, s24
	s_delay_alu instid0(SALU_CYCLE_1) | instskip(NEXT) | instid1(SALU_CYCLE_1)
	s_xor_b32 s24, s24, s27
	s_sub_i32 s24, s24, s27
	s_delay_alu instid0(SALU_CYCLE_1) | instskip(SKIP_2) | instid1(SALU_CYCLE_1)
	s_mul_i32 s25, s24, s6
	s_mul_i32 s24, s24, s7
	s_sub_i32 s25, s34, s25
	s_mul_i32 s25, s25, s8
	s_delay_alu instid0(SALU_CYCLE_1) | instskip(NEXT) | instid1(SALU_CYCLE_1)
	s_add_i32 s33, s25, s24
	s_cmp_eq_u32 s33, -1
	s_cbranch_scc1 .LBB86_13
; %bb.10:
	s_mul_hi_i32 s25, s33, s42
	s_mul_i32 s24, s33, s42
	s_mov_b32 s27, s31
	s_lshl_b64 s[24:25], s[24:25], 1
	s_delay_alu instid0(SALU_CYCLE_1) | instskip(SKIP_1) | instid1(SALU_CYCLE_1)
	s_add_u32 s24, s16, s24
	s_addc_u32 s25, s17, s25
	s_and_b32 s25, s25, 0xffff
	s_clause 0x1
	buffer_load_b128 v[4:7], v16, s[24:27], 0 offen
	buffer_load_b128 v[12:15], v16, s[24:27], 16 offen
	s_waitcnt vmcnt(1)
	v_cvt_f32_f16_e32 v0, v4
	v_lshrrev_b32_e32 v1, 16, v4
	v_cvt_f32_f16_e32 v2, v5
	v_lshrrev_b32_e32 v3, 16, v5
	;; [unrolled: 2-line block ×4, first 2 shown]
	s_waitcnt vmcnt(0)
	v_cvt_f32_f16_e32 v8, v12
	v_lshrrev_b32_e32 v9, 16, v12
	v_cvt_f32_f16_e32 v10, v13
	v_lshrrev_b32_e32 v11, 16, v13
	;; [unrolled: 2-line block ×4, first 2 shown]
	v_cvt_f32_f16_e32 v1, v1
	v_cvt_f32_f16_e32 v3, v3
	;; [unrolled: 1-line block ×8, first 2 shown]
	s_branch .LBB86_14
.LBB86_11:
                                        ; implicit-def: $sgpr4
	s_branch .LBB86_2
.LBB86_12:
                                        ; implicit-def: $vgpr0_vgpr1_vgpr2_vgpr3_vgpr4_vgpr5_vgpr6_vgpr7_vgpr8_vgpr9_vgpr10_vgpr11_vgpr12_vgpr13_vgpr14_vgpr15
	s_cmp_eq_u32 s4, 1
	s_mov_b32 s35, 1
	s_cbranch_scc0 .LBB86_21
	s_branch .LBB86_35
.LBB86_13:
                                        ; implicit-def: $vgpr0_vgpr1_vgpr2_vgpr3_vgpr4_vgpr5_vgpr6_vgpr7_vgpr8_vgpr9_vgpr10_vgpr11_vgpr12_vgpr13_vgpr14_vgpr15
.LBB86_14:
	s_mul_i32 s24, s2, s3
	s_delay_alu instid0(SALU_CYCLE_1) | instskip(NEXT) | instid1(SALU_CYCLE_1)
	s_ashr_i32 s25, s24, 31
	s_lshl_b64 s[24:25], s[24:25], 2
	s_delay_alu instid0(SALU_CYCLE_1) | instskip(SKIP_1) | instid1(SALU_CYCLE_1)
	s_add_u32 s28, s18, s24
	s_addc_u32 s2, s19, s25
	s_and_b32 s29, s2, 0xffff
	s_clause 0x3
	buffer_load_b128 v[23:26], v17, s[28:31], 0 offen
	buffer_load_b128 v[27:30], v17, s[28:31], 16 offen
	;; [unrolled: 1-line block ×4, first 2 shown]
	s_waitcnt vmcnt(3)
	v_dual_mul_f32 v37, v0, v23 :: v_dual_mul_f32 v38, v1, v24
	v_dual_mul_f32 v35, v2, v25 :: v_dual_mul_f32 v36, v3, v26
	s_waitcnt vmcnt(2)
	v_dual_mul_f32 v33, v4, v27 :: v_dual_mul_f32 v34, v5, v28
	s_delay_alu instid0(VALU_DEP_3) | instskip(SKIP_3) | instid1(VALU_DEP_3)
	v_max3_f32 v23, |v37|, 0x2edbe6ff, |v38|
	v_dual_mul_f32 v31, v6, v29 :: v_dual_mul_f32 v32, v7, v30
	s_waitcnt vmcnt(1)
	v_dual_mul_f32 v29, v8, v39 :: v_dual_mul_f32 v30, v9, v40
	v_max3_f32 v23, v23, |v35|, |v36|
	v_dual_mul_f32 v27, v10, v41 :: v_dual_mul_f32 v28, v11, v42
	s_waitcnt vmcnt(0)
	v_dual_mul_f32 v25, v12, v43 :: v_dual_mul_f32 v26, v13, v44
	s_delay_alu instid0(VALU_DEP_3) | instskip(SKIP_1) | instid1(VALU_DEP_2)
	v_max3_f32 v23, v23, |v33|, |v34|
	v_mul_f32_e32 v24, v15, v46
	v_max3_f32 v23, v23, |v31|, |v32|
	s_delay_alu instid0(VALU_DEP_1) | instskip(NEXT) | instid1(VALU_DEP_1)
	v_max3_f32 v23, v23, |v29|, |v30|
	v_max3_f32 v39, v23, |v27|, |v28|
	v_mul_f32_e32 v23, v14, v45
	s_delay_alu instid0(VALU_DEP_2) | instskip(NEXT) | instid1(VALU_DEP_1)
	v_max3_f32 v39, v39, |v25|, |v26|
	v_max3_f32 v39, v39, |v23|, |v24|
	s_delay_alu instid0(VALU_DEP_1) | instskip(NEXT) | instid1(VALU_DEP_1)
	v_mov_b32_dpp v40, v39 quad_perm:[1,0,3,2] row_mask:0xf bank_mask:0xf
	v_cmp_gt_f32_e64 s2, v39, v40
	s_delay_alu instid0(VALU_DEP_1) | instskip(NEXT) | instid1(VALU_DEP_1)
	v_cndmask_b32_e64 v39, v40, v39, s2
	v_mov_b32_dpp v40, v39 quad_perm:[2,3,0,1] row_mask:0xf bank_mask:0xf
	s_delay_alu instid0(VALU_DEP_1) | instskip(NEXT) | instid1(VALU_DEP_1)
	v_cmp_gt_f32_e64 s2, v39, v40
	v_cndmask_b32_e64 v39, v40, v39, s2
	s_delay_alu instid0(VALU_DEP_1) | instskip(NEXT) | instid1(VALU_DEP_1)
	v_mov_b32_dpp v40, v39 row_xmask:7 row_mask:0xf bank_mask:0xf
	v_cmp_gt_f32_e64 s2, v39, v40
	s_delay_alu instid0(VALU_DEP_1) | instskip(NEXT) | instid1(VALU_DEP_1)
	v_cndmask_b32_e64 v39, v40, v39, s2
	v_mov_b32_dpp v40, v39 row_xmask:15 row_mask:0xf bank_mask:0xf
	s_delay_alu instid0(VALU_DEP_1)
	v_cmp_gt_f32_e64 s2, v39, v40
	s_and_saveexec_b32 s24, vcc_lo
	s_cbranch_execz .LBB86_16
; %bb.15:
	s_delay_alu instid0(VALU_DEP_1)
	v_cndmask_b32_e64 v39, v40, v39, s2
	s_mov_b32 s2, 0x76543210
	s_delay_alu instid0(VALU_DEP_1) | instid1(SALU_CYCLE_1)
	v_permlanex16_b32 v40, v39, s2, 0xfedcba98 op_sel:[1,1]
	s_delay_alu instid0(VALU_DEP_1) | instskip(NEXT) | instid1(VALU_DEP_1)
	v_cmp_gt_f32_e64 s2, v39, v40
	v_cndmask_b32_e64 v39, v40, v39, s2
	ds_store_b32 v18, v39
.LBB86_16:
	s_or_b32 exec_lo, exec_lo, s24
	s_waitcnt lgkmcnt(0)
	s_barrier
	buffer_gl0_inv
	ds_load_b32 v39, v19
	s_abs_i32 s24, s5
	s_delay_alu instid0(SALU_CYCLE_1) | instskip(NEXT) | instid1(VALU_DEP_1)
	v_cvt_f32_u32_e32 v40, s24
	v_rcp_iflag_f32_e32 v40, v40
	s_waitcnt_depctr 0xfff
	v_mul_f32_e32 v40, 0x4f7ffffe, v40
	s_waitcnt lgkmcnt(0)
	v_mov_b32_dpp v41, v39 quad_perm:[1,0,3,2] row_mask:0xf bank_mask:0xf
	s_delay_alu instid0(VALU_DEP_2) | instskip(NEXT) | instid1(VALU_DEP_2)
	v_cvt_u32_f32_e32 v40, v40
	v_cmp_gt_f32_e64 s2, v39, v41
	s_delay_alu instid0(VALU_DEP_2) | instskip(NEXT) | instid1(VALU_DEP_2)
	v_readfirstlane_b32 s25, v40
	v_cndmask_b32_e64 v39, v41, v39, s2
	s_sub_i32 s2, 0, s24
	s_delay_alu instid0(VALU_DEP_2) | instid1(SALU_CYCLE_1)
	s_mul_i32 s2, s2, s25
	s_delay_alu instid0(VALU_DEP_1) | instskip(SKIP_1) | instid1(SALU_CYCLE_1)
	v_mov_b32_dpp v40, v39 quad_perm:[2,3,0,1] row_mask:0xf bank_mask:0xf
	s_mul_hi_u32 s27, s25, s2
	s_add_i32 s25, s25, s27
	s_delay_alu instid0(VALU_DEP_1) | instskip(SKIP_1) | instid1(SALU_CYCLE_1)
	v_cmp_gt_f32_e64 s2, v39, v40
	s_mul_hi_u32 s25, s23, s25
	s_mul_i32 s27, s25, s24
	s_delay_alu instid0(VALU_DEP_1)
	v_cndmask_b32_e64 v39, v40, v39, s2
	s_ashr_i32 s2, s5, 31
	s_sub_i32 s23, s23, s27
	s_xor_b32 s28, s35, s2
	s_add_i32 s27, s25, 1
	v_mov_b32_dpp v40, v39 row_xmask:7 row_mask:0xf bank_mask:0xf
	s_sub_i32 s29, s23, s24
	s_cmp_ge_u32 s23, s24
	s_cselect_b32 s23, s29, s23
	s_delay_alu instid0(VALU_DEP_1) | instskip(NEXT) | instid1(VALU_DEP_1)
	v_cmp_gt_f32_e64 s2, v39, v40
	v_cndmask_b32_e64 v39, v40, v39, s2
	s_cselect_b32 s2, s27, s25
	s_delay_alu instid0(SALU_CYCLE_1) | instskip(SKIP_1) | instid1(VALU_DEP_1)
	s_add_i32 s25, s2, 1
	s_cmp_ge_u32 s23, s24
	v_mov_b32_dpp v40, v39 row_xmask:15 row_mask:0xf bank_mask:0xf
	s_cselect_b32 s2, s25, s2
	s_delay_alu instid0(SALU_CYCLE_1) | instskip(NEXT) | instid1(VALU_DEP_1)
	s_xor_b32 s23, s2, s28
	v_cmp_gt_f32_e64 s2, v39, v40
	s_delay_alu instid0(VALU_DEP_1) | instskip(SKIP_1) | instid1(SALU_CYCLE_1)
	v_cndmask_b32_e64 v39, v40, v39, s2
	s_sub_i32 s2, s23, s28
	s_mul_i32 s23, s2, s5
	s_mul_i32 s2, s2, s9
	s_sub_i32 s23, s34, s23
	v_mul_f32_e32 v39, 0x3b124925, v39
	s_mul_i32 s23, s23, s10
	s_delay_alu instid0(SALU_CYCLE_1)
	s_add_i32 s24, s23, s2
	s_and_saveexec_b32 s2, s0
	s_cbranch_execz .LBB86_18
; %bb.17:
	s_ashr_i32 s25, s24, 31
	v_mov_b32_e32 v40, 0
	s_lshl_b64 s[28:29], s[24:25], 2
	s_delay_alu instid0(SALU_CYCLE_1)
	s_add_u32 s28, s14, s28
	s_addc_u32 s29, s15, s29
	global_store_b32 v40, v39, s[28:29]
.LBB86_18:
	s_or_b32 exec_lo, exec_lo, s2
	s_and_saveexec_b32 s2, s1
	s_cbranch_execz .LBB86_20
; %bb.19:
	v_rcp_f32_e32 v39, v39
	v_mov_b32_e32 v40, 0xc3e00000
	v_mov_b32_e32 v41, 0x43e00000
	s_mul_hi_i32 s23, s24, s42
	s_mul_i32 s24, s24, s42
	s_mov_b32 s39, -1
	s_add_u32 s36, s12, s24
	s_addc_u32 s23, s13, s23
	s_delay_alu instid0(SALU_CYCLE_1)
	s_and_b32 s37, s23, 0xffff
	s_waitcnt_depctr 0xfff
	v_mul_f32_e32 v38, v38, v39
	v_mul_f32_e32 v37, v37, v39
	v_mul_f32_e32 v35, v35, v39
	v_mul_f32_e32 v36, v36, v39
	;;#ASMSTART
	v_med3_f32 v37, v37, v40, v41
v_med3_f32 v38, v38, v40, v41
v_cvt_pk_fp8_f32 v42, v37, v38
	;;#ASMEND
	v_mul_f32_e32 v33, v33, v39
	v_mul_f32_e32 v34, v34, v39
	;;#ASMSTART
	v_med3_f32 v35, v35, v40, v41
v_med3_f32 v36, v36, v40, v41
v_cvt_pk_fp8_f32 v37, v35, v36
	;;#ASMEND
	v_mul_f32_e32 v31, v31, v39
	v_mul_f32_e32 v32, v32, v39
	v_perm_b32 v35, v37, v42, 0x5040100
	;;#ASMSTART
	v_med3_f32 v33, v33, v40, v41
v_med3_f32 v34, v34, v40, v41
v_cvt_pk_fp8_f32 v36, v33, v34
	;;#ASMEND
	;;#ASMSTART
	v_med3_f32 v31, v31, v40, v41
v_med3_f32 v32, v32, v40, v41
v_cvt_pk_fp8_f32 v33, v31, v32
	;;#ASMEND
	v_mul_f32_e32 v29, v29, v39
	v_mul_f32_e32 v30, v30, v39
	v_perm_b32 v32, v36, v33, 0x1000504
	v_mul_f32_e32 v27, v27, v39
	v_mul_f32_e32 v28, v28, v39
	;;#ASMSTART
	v_med3_f32 v29, v29, v40, v41
v_med3_f32 v30, v30, v40, v41
v_cvt_pk_fp8_f32 v33, v29, v30
	;;#ASMEND
	v_mul_f32_e32 v25, v25, v39
	v_mul_f32_e32 v26, v26, v39
	;;#ASMSTART
	v_med3_f32 v27, v27, v40, v41
v_med3_f32 v28, v28, v40, v41
v_cvt_pk_fp8_f32 v29, v27, v28
	;;#ASMEND
	;; [unrolled: 7-line block ×3, first 2 shown]
	v_perm_b32 v31, v35, v37, 0x1060504
	v_perm_b32 v33, v33, v29, 0x1000504
	;;#ASMSTART
	v_med3_f32 v23, v23, v40, v41
v_med3_f32 v24, v24, v40, v41
v_cvt_pk_fp8_f32 v25, v23, v24
	;;#ASMEND
	v_perm_b32 v34, v27, v25, 0x1000504
	buffer_store_b128 v[31:34], v21, s[36:39], 0 offen
	;;#ASMSTART
	s_nop 0
	;;#ASMEND
.LBB86_20:
	s_or_b32 exec_lo, exec_lo, s2
	s_cmp_eq_u32 s4, 1
	s_mov_b32 s35, 1
	s_cbranch_scc1 .LBB86_35
.LBB86_21:
	s_abs_i32 s43, s5
	v_mov_b32_e32 v25, 0x43e00000
	v_cvt_f32_u32_e32 v23, s43
	s_sub_i32 s23, 0, s43
	s_ashr_i32 s44, s5, 31
	s_mov_b32 s31, -1
	s_mov_b32 s46, 0x76543210
	v_rcp_iflag_f32_e32 v23, v23
	v_add_nc_u32_e32 v22, 4, v22
	v_mov_b32_e32 v24, 0xc3e00000
	s_waitcnt_depctr 0xfff
	v_mul_f32_e32 v23, 0x4f7ffffe, v23
	s_delay_alu instid0(VALU_DEP_1) | instskip(NEXT) | instid1(VALU_DEP_1)
	v_cvt_u32_f32_e32 v23, v23
	v_readfirstlane_b32 s2, v23
	v_mov_b32_e32 v23, 0
	s_delay_alu instid0(VALU_DEP_2) | instskip(NEXT) | instid1(SALU_CYCLE_1)
	s_mul_i32 s23, s23, s2
	s_mul_hi_u32 s23, s2, s23
	s_delay_alu instid0(SALU_CYCLE_1)
	s_add_i32 s45, s2, s23
	s_branch .LBB86_24
.LBB86_22:                              ;   in Loop: Header=BB86_24 Depth=1
	s_or_b32 exec_lo, exec_lo, s2
.LBB86_23:                              ;   in Loop: Header=BB86_24 Depth=1
	v_add_nc_u32_e32 v22, 4, v22
	s_add_i32 s35, s35, 1
	s_delay_alu instid0(SALU_CYCLE_1)
	s_cmp_eq_u32 s4, s35
	s_cbranch_scc1 .LBB86_35
.LBB86_24:                              ; =>This Inner Loop Header: Depth=1
	s_and_b32 s2, s35, 31
	s_delay_alu instid0(SALU_CYCLE_1)
	s_cmp_lg_u32 s2, 0
	s_cbranch_scc1 .LBB86_26
; %bb.25:                               ;   in Loop: Header=BB86_24 Depth=1
	s_mov_b32 s23, s31
	buffer_load_b32 v20, v22, s[20:23], 0 offen
	s_waitcnt vmcnt(0) expcnt(0) lgkmcnt(55)
	v_lshlrev_b32_e32 v20, 2, v20
	ds_load_b32 v20, v20
.LBB86_26:                              ;   in Loop: Header=BB86_24 Depth=1
	s_waitcnt lgkmcnt(0)
	v_readlane_b32 s2, v20, s2
	s_delay_alu instid0(VALU_DEP_1)
	s_cmp_lt_i32 s2, 0
	s_cbranch_scc1 .LBB86_23
; %bb.27:                               ;   in Loop: Header=BB86_24 Depth=1
	s_add_i32 s23, s34, s35
	s_delay_alu instid0(SALU_CYCLE_1)
	s_abs_i32 s36, s23
	s_ashr_i32 s37, s23, 31
	s_mul_hi_u32 s24, s36, s41
	s_xor_b32 s27, s37, s40
	s_mul_i32 s25, s24, s11
	s_add_i32 s28, s24, 1
	s_sub_i32 s25, s36, s25
	s_delay_alu instid0(SALU_CYCLE_1)
	s_sub_i32 s29, s25, s11
	s_cmp_ge_u32 s25, s11
	s_cselect_b32 s24, s28, s24
	s_cselect_b32 s25, s29, s25
	s_add_i32 s28, s24, 1
	s_cmp_ge_u32 s25, s11
	s_cselect_b32 s24, s28, s24
	s_delay_alu instid0(SALU_CYCLE_1) | instskip(NEXT) | instid1(SALU_CYCLE_1)
	s_xor_b32 s24, s24, s27
	s_sub_i32 s24, s24, s27
	s_delay_alu instid0(SALU_CYCLE_1) | instskip(SKIP_2) | instid1(SALU_CYCLE_1)
	s_mul_i32 s25, s24, s6
	s_mul_i32 s24, s24, s7
	s_sub_i32 s25, s23, s25
	s_mul_i32 s28, s25, s8
	s_delay_alu instid0(SALU_CYCLE_1) | instskip(NEXT) | instid1(SALU_CYCLE_1)
	s_add_i32 s28, s28, s24
	s_cmp_eq_u32 s28, s33
	s_cbranch_scc1 .LBB86_29
; %bb.28:                               ;   in Loop: Header=BB86_24 Depth=1
	s_mul_hi_i32 s25, s28, s42
	s_mul_i32 s24, s28, s42
	s_mov_b32 s27, s31
	s_lshl_b64 s[24:25], s[24:25], 1
	s_mov_b32 s33, s28
	s_add_u32 s24, s16, s24
	s_addc_u32 s25, s17, s25
	s_delay_alu instid0(SALU_CYCLE_1)
	s_and_b32 s25, s25, 0xffff
	s_clause 0x1
	buffer_load_b128 v[4:7], v16, s[24:27], 0 offen
	buffer_load_b128 v[12:15], v16, s[24:27], 16 offen
	s_waitcnt vmcnt(1)
	v_cvt_f32_f16_e32 v0, v4
	v_lshrrev_b32_e32 v1, 16, v4
	v_cvt_f32_f16_e32 v2, v5
	v_lshrrev_b32_e32 v3, 16, v5
	;; [unrolled: 2-line block ×4, first 2 shown]
	s_waitcnt vmcnt(0)
	v_cvt_f32_f16_e32 v8, v12
	v_lshrrev_b32_e32 v9, 16, v12
	v_cvt_f32_f16_e32 v10, v13
	v_lshrrev_b32_e32 v11, 16, v13
	;; [unrolled: 2-line block ×4, first 2 shown]
	v_cvt_f32_f16_e32 v1, v1
	v_cvt_f32_f16_e32 v3, v3
	;; [unrolled: 1-line block ×8, first 2 shown]
.LBB86_29:                              ;   in Loop: Header=BB86_24 Depth=1
	s_mul_i32 s24, s2, s3
	s_delay_alu instid0(SALU_CYCLE_1) | instskip(NEXT) | instid1(SALU_CYCLE_1)
	s_ashr_i32 s25, s24, 31
	s_lshl_b64 s[24:25], s[24:25], 2
	s_delay_alu instid0(SALU_CYCLE_1) | instskip(SKIP_1) | instid1(SALU_CYCLE_1)
	s_add_u32 s28, s18, s24
	s_addc_u32 s2, s19, s25
	s_and_b32 s29, s2, 0xffff
	s_clause 0x3
	buffer_load_b128 v[26:29], v17, s[28:31], 0 offen
	buffer_load_b128 v[30:33], v17, s[28:31], 16 offen
	;; [unrolled: 1-line block ×4, first 2 shown]
	s_waitcnt vmcnt(3)
	v_dual_mul_f32 v40, v0, v26 :: v_dual_mul_f32 v41, v1, v27
	v_dual_mul_f32 v38, v2, v28 :: v_dual_mul_f32 v39, v3, v29
	s_waitcnt vmcnt(2)
	v_dual_mul_f32 v36, v4, v30 :: v_dual_mul_f32 v37, v5, v31
	s_delay_alu instid0(VALU_DEP_3) | instskip(SKIP_3) | instid1(VALU_DEP_3)
	v_max3_f32 v26, |v40|, 0x2edbe6ff, |v41|
	v_dual_mul_f32 v34, v6, v32 :: v_dual_mul_f32 v35, v7, v33
	s_waitcnt vmcnt(1)
	v_dual_mul_f32 v33, v8, v42 :: v_dual_mul_f32 v32, v9, v43
	v_max3_f32 v26, v26, |v38|, |v39|
	v_dual_mul_f32 v30, v10, v44 :: v_dual_mul_f32 v31, v11, v45
	s_waitcnt vmcnt(0)
	v_dual_mul_f32 v28, v12, v46 :: v_dual_mul_f32 v29, v13, v47
	s_delay_alu instid0(VALU_DEP_3) | instskip(SKIP_1) | instid1(VALU_DEP_2)
	v_max3_f32 v26, v26, |v36|, |v37|
	v_mul_f32_e32 v27, v15, v49
	v_max3_f32 v26, v26, |v34|, |v35|
	s_delay_alu instid0(VALU_DEP_1) | instskip(NEXT) | instid1(VALU_DEP_1)
	v_max3_f32 v26, v26, |v33|, |v32|
	v_max3_f32 v42, v26, |v30|, |v31|
	v_mul_f32_e32 v26, v14, v48
	s_delay_alu instid0(VALU_DEP_2) | instskip(NEXT) | instid1(VALU_DEP_1)
	v_max3_f32 v42, v42, |v28|, |v29|
	v_max3_f32 v42, v42, |v26|, |v27|
	s_delay_alu instid0(VALU_DEP_1) | instskip(NEXT) | instid1(VALU_DEP_1)
	v_mov_b32_dpp v43, v42 quad_perm:[1,0,3,2] row_mask:0xf bank_mask:0xf
	v_cmp_gt_f32_e64 s2, v42, v43
	s_delay_alu instid0(VALU_DEP_1) | instskip(NEXT) | instid1(VALU_DEP_1)
	v_cndmask_b32_e64 v42, v43, v42, s2
	v_mov_b32_dpp v43, v42 quad_perm:[2,3,0,1] row_mask:0xf bank_mask:0xf
	s_delay_alu instid0(VALU_DEP_1) | instskip(NEXT) | instid1(VALU_DEP_1)
	v_cmp_gt_f32_e64 s2, v42, v43
	v_cndmask_b32_e64 v42, v43, v42, s2
	s_delay_alu instid0(VALU_DEP_1) | instskip(NEXT) | instid1(VALU_DEP_1)
	v_mov_b32_dpp v43, v42 row_xmask:7 row_mask:0xf bank_mask:0xf
	v_cmp_gt_f32_e64 s2, v42, v43
	s_delay_alu instid0(VALU_DEP_1) | instskip(NEXT) | instid1(VALU_DEP_1)
	v_cndmask_b32_e64 v42, v43, v42, s2
	v_mov_b32_dpp v43, v42 row_xmask:15 row_mask:0xf bank_mask:0xf
	s_delay_alu instid0(VALU_DEP_1)
	v_cmp_gt_f32_e64 s2, v42, v43
	s_and_saveexec_b32 s24, vcc_lo
	s_cbranch_execz .LBB86_31
; %bb.30:                               ;   in Loop: Header=BB86_24 Depth=1
	s_delay_alu instid0(VALU_DEP_1) | instskip(NEXT) | instid1(VALU_DEP_1)
	v_cndmask_b32_e64 v42, v43, v42, s2
	v_permlanex16_b32 v43, v42, s46, 0xfedcba98 op_sel:[1,1]
	s_delay_alu instid0(VALU_DEP_1) | instskip(NEXT) | instid1(VALU_DEP_1)
	v_cmp_gt_f32_e64 s2, v42, v43
	v_cndmask_b32_e64 v42, v43, v42, s2
	ds_store_b32 v18, v42
.LBB86_31:                              ;   in Loop: Header=BB86_24 Depth=1
	s_or_b32 exec_lo, exec_lo, s24
	s_waitcnt lgkmcnt(0)
	s_waitcnt_vscnt null, 0x0
	s_barrier
	buffer_gl0_inv
	ds_load_b32 v42, v19
	s_mul_hi_u32 s24, s36, s45
	s_xor_b32 s27, s37, s44
	s_mul_i32 s25, s24, s43
	s_waitcnt lgkmcnt(0)
	v_mov_b32_dpp v43, v42 quad_perm:[1,0,3,2] row_mask:0xf bank_mask:0xf
	s_delay_alu instid0(VALU_DEP_1) | instskip(NEXT) | instid1(VALU_DEP_1)
	v_cmp_gt_f32_e64 s2, v42, v43
	v_cndmask_b32_e64 v42, v43, v42, s2
	s_delay_alu instid0(VALU_DEP_1) | instskip(NEXT) | instid1(VALU_DEP_1)
	v_mov_b32_dpp v43, v42 quad_perm:[2,3,0,1] row_mask:0xf bank_mask:0xf
	v_cmp_gt_f32_e64 s2, v42, v43
	s_delay_alu instid0(VALU_DEP_1)
	v_cndmask_b32_e64 v42, v43, v42, s2
	s_sub_i32 s2, s36, s25
	s_add_i32 s25, s24, 1
	s_sub_i32 s28, s2, s43
	s_cmp_ge_u32 s2, s43
	v_mov_b32_dpp v43, v42 row_xmask:7 row_mask:0xf bank_mask:0xf
	s_cselect_b32 s24, s25, s24
	s_cselect_b32 s25, s28, s2
	s_delay_alu instid0(VALU_DEP_1) | instskip(NEXT) | instid1(VALU_DEP_1)
	v_cmp_gt_f32_e64 s2, v42, v43
	v_cndmask_b32_e64 v42, v43, v42, s2
	s_add_i32 s2, s24, 1
	s_cmp_ge_u32 s25, s43
	s_cselect_b32 s2, s2, s24
	s_delay_alu instid0(VALU_DEP_1) | instskip(SKIP_1) | instid1(SALU_CYCLE_1)
	v_mov_b32_dpp v43, v42 row_xmask:15 row_mask:0xf bank_mask:0xf
	s_xor_b32 s2, s2, s27
	s_sub_i32 s24, s2, s27
	s_delay_alu instid0(VALU_DEP_1) | instskip(NEXT) | instid1(VALU_DEP_1)
	v_cmp_gt_f32_e64 s2, v42, v43
	v_cndmask_b32_e64 v42, v43, v42, s2
	s_mul_i32 s2, s24, s5
	s_mul_i32 s24, s24, s9
	s_sub_i32 s2, s23, s2
	s_delay_alu instid0(VALU_DEP_1) | instskip(SKIP_1) | instid1(SALU_CYCLE_1)
	v_mul_f32_e32 v42, 0x3b124925, v42
	s_mul_i32 s2, s2, s10
	s_add_i32 s24, s2, s24
	s_and_saveexec_b32 s2, s0
	s_cbranch_execz .LBB86_33
; %bb.32:                               ;   in Loop: Header=BB86_24 Depth=1
	s_ashr_i32 s25, s24, 31
	s_delay_alu instid0(SALU_CYCLE_1) | instskip(NEXT) | instid1(SALU_CYCLE_1)
	s_lshl_b64 s[28:29], s[24:25], 2
	s_add_u32 s28, s14, s28
	s_addc_u32 s29, s15, s29
	global_store_b32 v23, v42, s[28:29]
.LBB86_33:                              ;   in Loop: Header=BB86_24 Depth=1
	s_or_b32 exec_lo, exec_lo, s2
	s_and_saveexec_b32 s2, s1
	s_cbranch_execz .LBB86_22
; %bb.34:                               ;   in Loop: Header=BB86_24 Depth=1
	v_rcp_f32_e32 v42, v42
	s_mul_i32 s23, s24, s42
	s_mul_hi_i32 s24, s24, s42
	s_add_u32 s36, s12, s23
	s_addc_u32 s23, s13, s24
	s_mov_b32 s39, s31
	s_and_b32 s37, s23, 0xffff
	s_waitcnt_depctr 0xfff
	v_mul_f32_e32 v40, v40, v42
	v_mul_f32_e32 v41, v41, v42
	;; [unrolled: 1-line block ×5, first 2 shown]
	;;#ASMSTART
	v_med3_f32 v40, v40, v24, v25
v_med3_f32 v41, v41, v24, v25
v_cvt_pk_fp8_f32 v33, v40, v41
	;;#ASMEND
	;;#ASMSTART
	v_med3_f32 v38, v38, v24, v25
v_med3_f32 v39, v39, v24, v25
v_cvt_pk_fp8_f32 v40, v38, v39
	;;#ASMEND
	v_perm_b32 v38, v40, v33, 0x5040100
	v_mul_f32_e32 v36, v36, v42
	v_mul_f32_e32 v37, v37, v42
	;; [unrolled: 1-line block ×5, first 2 shown]
	;;#ASMSTART
	v_med3_f32 v36, v36, v24, v25
v_med3_f32 v37, v37, v24, v25
v_cvt_pk_fp8_f32 v32, v36, v37
	;;#ASMEND
	;;#ASMSTART
	v_med3_f32 v34, v34, v24, v25
v_med3_f32 v35, v35, v24, v25
v_cvt_pk_fp8_f32 v33, v34, v35
	;;#ASMEND
	v_mul_f32_e32 v30, v30, v42
	v_mul_f32_e32 v31, v31, v42
	;; [unrolled: 1-line block ×4, first 2 shown]
	;;#ASMSTART
	v_med3_f32 v43, v43, v24, v25
v_med3_f32 v39, v39, v24, v25
v_cvt_pk_fp8_f32 v34, v43, v39
	;;#ASMEND
	;;#ASMSTART
	v_med3_f32 v30, v30, v24, v25
v_med3_f32 v31, v31, v24, v25
v_cvt_pk_fp8_f32 v35, v30, v31
	;;#ASMEND
	v_mul_f32_e32 v26, v26, v42
	v_mul_f32_e32 v27, v27, v42
	;;#ASMSTART
	v_med3_f32 v28, v28, v24, v25
v_med3_f32 v29, v29, v24, v25
v_cvt_pk_fp8_f32 v30, v28, v29
	;;#ASMEND
	v_perm_b32 v33, v32, v33, 0x1000504
	v_perm_b32 v32, v38, v40, 0x1060504
	;; [unrolled: 1-line block ×3, first 2 shown]
	;;#ASMSTART
	v_med3_f32 v26, v26, v24, v25
v_med3_f32 v27, v27, v24, v25
v_cvt_pk_fp8_f32 v28, v26, v27
	;;#ASMEND
	v_perm_b32 v35, v30, v28, 0x1000504
	buffer_store_b128 v[32:35], v21, s[36:39], 0 offen
	;;#ASMSTART
	s_nop 0
	;;#ASMEND
	s_branch .LBB86_22
.LBB86_35:
	s_nop 0
	s_sendmsg sendmsg(MSG_DEALLOC_VGPRS)
	s_endpgm
	.section	.rodata,"a",@progbits
	.p2align	6, 0x0
	.amdhsa_kernel _ZN5aiter36smooth_per_token_scaled_quant_kernelIDF16_DB8_Li512ELi16ELb1ELb1ELb1ELi1024EEEvPT0_PfPT_S4_PiS7_iiPKiiiiiiiii
		.amdhsa_group_segment_fixed_size 4160
		.amdhsa_private_segment_fixed_size 0
		.amdhsa_kernarg_size 96
		.amdhsa_user_sgpr_count 15
		.amdhsa_user_sgpr_dispatch_ptr 0
		.amdhsa_user_sgpr_queue_ptr 0
		.amdhsa_user_sgpr_kernarg_segment_ptr 1
		.amdhsa_user_sgpr_dispatch_id 0
		.amdhsa_user_sgpr_private_segment_size 0
		.amdhsa_wavefront_size32 1
		.amdhsa_uses_dynamic_stack 0
		.amdhsa_enable_private_segment 0
		.amdhsa_system_sgpr_workgroup_id_x 1
		.amdhsa_system_sgpr_workgroup_id_y 0
		.amdhsa_system_sgpr_workgroup_id_z 0
		.amdhsa_system_sgpr_workgroup_info 0
		.amdhsa_system_vgpr_workitem_id 0
		.amdhsa_next_free_vgpr 50
		.amdhsa_next_free_sgpr 47
		.amdhsa_reserve_vcc 1
		.amdhsa_float_round_mode_32 0
		.amdhsa_float_round_mode_16_64 0
		.amdhsa_float_denorm_mode_32 3
		.amdhsa_float_denorm_mode_16_64 3
		.amdhsa_dx10_clamp 1
		.amdhsa_ieee_mode 1
		.amdhsa_fp16_overflow 0
		.amdhsa_workgroup_processor_mode 1
		.amdhsa_memory_ordered 1
		.amdhsa_forward_progress 0
		.amdhsa_shared_vgpr_count 0
		.amdhsa_exception_fp_ieee_invalid_op 0
		.amdhsa_exception_fp_denorm_src 0
		.amdhsa_exception_fp_ieee_div_zero 0
		.amdhsa_exception_fp_ieee_overflow 0
		.amdhsa_exception_fp_ieee_underflow 0
		.amdhsa_exception_fp_ieee_inexact 0
		.amdhsa_exception_int_div_zero 0
	.end_amdhsa_kernel
	.section	.text._ZN5aiter36smooth_per_token_scaled_quant_kernelIDF16_DB8_Li512ELi16ELb1ELb1ELb1ELi1024EEEvPT0_PfPT_S4_PiS7_iiPKiiiiiiiii,"axG",@progbits,_ZN5aiter36smooth_per_token_scaled_quant_kernelIDF16_DB8_Li512ELi16ELb1ELb1ELb1ELi1024EEEvPT0_PfPT_S4_PiS7_iiPKiiiiiiiii,comdat
.Lfunc_end86:
	.size	_ZN5aiter36smooth_per_token_scaled_quant_kernelIDF16_DB8_Li512ELi16ELb1ELb1ELb1ELi1024EEEvPT0_PfPT_S4_PiS7_iiPKiiiiiiiii, .Lfunc_end86-_ZN5aiter36smooth_per_token_scaled_quant_kernelIDF16_DB8_Li512ELi16ELb1ELb1ELb1ELi1024EEEvPT0_PfPT_S4_PiS7_iiPKiiiiiiiii
                                        ; -- End function
	.section	.AMDGPU.csdata,"",@progbits
; Kernel info:
; codeLenInByte = 4300
; NumSgprs: 49
; NumVgprs: 50
; ScratchSize: 0
; MemoryBound: 0
; FloatMode: 240
; IeeeMode: 1
; LDSByteSize: 4160 bytes/workgroup (compile time only)
; SGPRBlocks: 6
; VGPRBlocks: 6
; NumSGPRsForWavesPerEU: 49
; NumVGPRsForWavesPerEU: 50
; Occupancy: 16
; WaveLimiterHint : 0
; COMPUTE_PGM_RSRC2:SCRATCH_EN: 0
; COMPUTE_PGM_RSRC2:USER_SGPR: 15
; COMPUTE_PGM_RSRC2:TRAP_HANDLER: 0
; COMPUTE_PGM_RSRC2:TGID_X_EN: 1
; COMPUTE_PGM_RSRC2:TGID_Y_EN: 0
; COMPUTE_PGM_RSRC2:TGID_Z_EN: 0
; COMPUTE_PGM_RSRC2:TIDIG_COMP_CNT: 0
	.section	.text._ZN5aiter36smooth_per_token_scaled_quant_kernelItDB8_Li512ELi16ELb1ELb1ELb1ELi1024EEEvPT0_PfPT_S4_PiS7_iiPKiiiiiiiii,"axG",@progbits,_ZN5aiter36smooth_per_token_scaled_quant_kernelItDB8_Li512ELi16ELb1ELb1ELb1ELi1024EEEvPT0_PfPT_S4_PiS7_iiPKiiiiiiiii,comdat
	.protected	_ZN5aiter36smooth_per_token_scaled_quant_kernelItDB8_Li512ELi16ELb1ELb1ELb1ELi1024EEEvPT0_PfPT_S4_PiS7_iiPKiiiiiiiii ; -- Begin function _ZN5aiter36smooth_per_token_scaled_quant_kernelItDB8_Li512ELi16ELb1ELb1ELb1ELi1024EEEvPT0_PfPT_S4_PiS7_iiPKiiiiiiiii
	.globl	_ZN5aiter36smooth_per_token_scaled_quant_kernelItDB8_Li512ELi16ELb1ELb1ELb1ELi1024EEEvPT0_PfPT_S4_PiS7_iiPKiiiiiiiii
	.p2align	8
	.type	_ZN5aiter36smooth_per_token_scaled_quant_kernelItDB8_Li512ELi16ELb1ELb1ELb1ELi1024EEEvPT0_PfPT_S4_PiS7_iiPKiiiiiiiii,@function
_ZN5aiter36smooth_per_token_scaled_quant_kernelItDB8_Li512ELi16ELb1ELb1ELb1ELi1024EEEvPT0_PfPT_S4_PiS7_iiPKiiiiiiiii: ; @_ZN5aiter36smooth_per_token_scaled_quant_kernelItDB8_Li512ELi16ELb1ELb1ELb1ELi1024EEEvPT0_PfPT_S4_PiS7_iiPKiiiiiiiii
; %bb.0:
	s_clause 0x2
	s_load_b64 s[2:3], s[0:1], 0x38
	s_load_b64 s[16:17], s[0:1], 0x28
	s_load_b256 s[4:11], s[0:1], 0x40
	s_waitcnt lgkmcnt(0)
	s_cmp_lg_u64 s[2:3], 0
	s_cbranch_scc0 .LBB87_11
; %bb.1:
	s_load_b32 s2, s[2:3], 0x0
	s_waitcnt lgkmcnt(0)
	s_mul_i32 s4, s2, s4
	s_cbranch_execnz .LBB87_3
.LBB87_2:
	s_mul_i32 s4, s6, s5
.LBB87_3:
	v_lshlrev_b32_e32 v1, 2, v0
	s_lshl_b32 s18, s11, 2
	s_and_b32 s17, s17, 0xffff
	s_mov_b32 s19, -1
	s_load_b64 s[2:3], s[0:1], 0x30
	s_clause 0x1
	buffer_load_b32 v2, v1, s[16:19], 0 offen
	buffer_load_b32 v3, v1, s[16:19], 0 offen offset:2048
	s_abs_i32 s14, s4
                                        ; implicit-def: $sgpr34
	s_waitcnt lgkmcnt(0)
	s_abs_i32 s11, s2
	s_delay_alu instid0(SALU_CYCLE_1) | instskip(SKIP_1) | instid1(VALU_DEP_1)
	v_cvt_f32_u32_e32 v4, s11
	s_sub_i32 s13, 0, s11
	v_rcp_iflag_f32_e32 v4, v4
	s_waitcnt_depctr 0xfff
	v_mul_f32_e32 v4, 0x4f7ffffe, v4
	s_delay_alu instid0(VALU_DEP_1) | instskip(NEXT) | instid1(VALU_DEP_1)
	v_cvt_u32_f32_e32 v4, v4
	v_readfirstlane_b32 s12, v4
	s_delay_alu instid0(VALU_DEP_1) | instskip(NEXT) | instid1(SALU_CYCLE_1)
	s_mul_i32 s13, s13, s12
	s_mul_hi_u32 s13, s12, s13
	s_delay_alu instid0(SALU_CYCLE_1) | instskip(SKIP_4) | instid1(SALU_CYCLE_1)
	s_add_i32 s12, s12, s13
	s_xor_b32 s13, s4, s2
	s_mul_hi_u32 s12, s14, s12
	s_ashr_i32 s13, s13, 31
	s_mul_i32 s16, s12, s11
	s_sub_i32 s14, s14, s16
	s_add_i32 s16, s12, 1
	s_sub_i32 s17, s14, s11
	s_cmp_ge_u32 s14, s11
	s_cselect_b32 s12, s16, s12
	s_cselect_b32 s14, s17, s14
	s_add_i32 s16, s12, 1
	s_cmp_ge_u32 s14, s11
	s_cselect_b32 s11, s16, s12
	s_delay_alu instid0(SALU_CYCLE_1) | instskip(NEXT) | instid1(SALU_CYCLE_1)
	s_xor_b32 s11, s11, s13
	s_sub_i32 s11, s11, s13
	s_delay_alu instid0(SALU_CYCLE_1) | instskip(NEXT) | instid1(SALU_CYCLE_1)
	s_mul_i32 s2, s11, s2
	s_sub_i32 s12, s4, s2
	s_delay_alu instid0(SALU_CYCLE_1)
	s_cmp_lt_u32 s15, s12
	s_cselect_b32 s2, -1, 0
	s_add_i32 s4, s11, 1
	s_cmp_ge_u32 s15, s12
	s_waitcnt vmcnt(0)
	ds_store_2addr_stride64_b32 v1, v2, v3 offset1:8
	s_cbranch_scc0 .LBB87_5
; %bb.4:
	s_sub_i32 s13, s15, s12
	s_mul_i32 s12, s12, s4
	s_mul_i32 s13, s13, s11
	s_mov_b32 s19, 0
	s_add_i32 s34, s13, s12
.LBB87_5:
	s_and_not1_b32 vcc_lo, exec_lo, s19
	s_cbranch_vccnz .LBB87_7
; %bb.6:
	s_mul_i32 s34, s4, s15
.LBB87_7:
	v_cndmask_b32_e64 v1, 0, 1, s2
	s_delay_alu instid0(VALU_DEP_1) | instskip(NEXT) | instid1(VALU_DEP_1)
	v_readfirstlane_b32 s2, v1
	s_add_i32 s4, s11, s2
	s_delay_alu instid0(SALU_CYCLE_1)
	s_cmp_lt_i32 s4, 1
	s_cbranch_scc1 .LBB87_35
; %bb.8:
	s_load_b64 s[12:13], s[0:1], 0x20
	s_ashr_i32 s35, s34, 31
	v_and_b32_e32 v1, 31, v0
	s_lshl_b64 s[14:15], s[34:35], 2
	s_mov_b32 s42, -1
	v_and_b32_e32 v4, 15, v0
	s_mov_b32 s23, s42
	v_cmp_eq_u32_e32 vcc_lo, 31, v1
	v_lshlrev_b32_e32 v16, 5, v0
	v_lshlrev_b32_e32 v17, 6, v0
	v_lshl_or_b32 v19, v4, 2, 0x1000
	v_lshlrev_b32_e32 v21, 4, v0
	s_mov_b32 s41, s3
	s_waitcnt lgkmcnt(0)
	s_add_u32 s20, s12, s14
	s_addc_u32 s2, s13, s15
	s_abs_i32 s11, s6
	s_lshl_b32 s22, s4, 2
	v_cvt_f32_u32_e32 v3, s11
	s_and_b32 s21, s2, 0xffff
	s_load_b256 s[12:19], s[0:1], 0x0
	s_movk_i32 s0, 0x7c
	s_add_i32 s1, s3, 15
	v_rcp_iflag_f32_e32 v3, v3
	v_lshlrev_b32_e32 v22, 2, v1
	v_lshrrev_b32_e32 v1, 3, v0
	s_ashr_i32 s2, s1, 31
	s_lshl_b32 s26, s3, 1
	s_lshr_b32 s2, s2, 28
	s_lshl_b32 s30, s3, 2
	v_and_or_b32 v18, v1, s0, 0x1000
	s_add_i32 s1, s1, s2
	v_cmp_eq_u32_e64 s0, 0, v0
	s_waitcnt_depctr 0xfff
	v_mul_f32_e32 v1, 0x4f7ffffe, v3
	buffer_load_b32 v2, v22, s[20:23], 0 offen
	s_waitcnt vmcnt(0) expcnt(0) lgkmcnt(0)
	s_barrier
	buffer_gl0_inv
	v_cvt_u32_f32_e32 v1, v1
	s_add_i32 s23, s3, 3
	s_ashr_i32 s1, s1, 4
	s_ashr_i32 s2, s23, 31
	v_cmp_gt_u32_e64 s1, s1, v0
	v_readfirstlane_b32 s40, v1
	s_lshr_b32 s2, s2, 30
	s_ashr_i32 s33, s6, 31
	s_add_i32 s23, s23, s2
	s_sub_i32 s2, 0, s11
	s_and_b32 s38, s23, -4
	s_mul_i32 s23, s2, s40
	s_delay_alu instid0(SALU_CYCLE_1) | instskip(NEXT) | instid1(SALU_CYCLE_1)
	s_mul_hi_u32 s23, s40, s23
	s_add_i32 s40, s40, s23
	v_lshlrev_b32_e32 v2, 2, v2
	ds_load_b32 v20, v2
	s_waitcnt lgkmcnt(0)
	v_readlane_b32 s2, v20, 0
	s_delay_alu instid0(VALU_DEP_1)
	s_cmp_lt_i32 s2, 0
	s_cbranch_scc1 .LBB87_12
; %bb.9:
	s_abs_i32 s23, s34
	s_xor_b32 s27, s35, s33
	s_mul_hi_u32 s24, s23, s40
	s_mov_b32 s31, -1
	s_mul_i32 s25, s24, s11
	s_add_i32 s28, s24, 1
	s_sub_i32 s25, s23, s25
	s_delay_alu instid0(SALU_CYCLE_1)
	s_sub_i32 s29, s25, s11
	s_cmp_ge_u32 s25, s11
	s_cselect_b32 s24, s28, s24
	s_cselect_b32 s25, s29, s25
	s_add_i32 s28, s24, 1
	s_cmp_ge_u32 s25, s11
	s_cselect_b32 s24, s28, s24
	s_delay_alu instid0(SALU_CYCLE_1) | instskip(NEXT) | instid1(SALU_CYCLE_1)
	s_xor_b32 s24, s24, s27
	s_sub_i32 s24, s24, s27
	s_delay_alu instid0(SALU_CYCLE_1) | instskip(SKIP_2) | instid1(SALU_CYCLE_1)
	s_mul_i32 s25, s24, s6
	s_mul_i32 s24, s24, s7
	s_sub_i32 s25, s34, s25
	s_mul_i32 s25, s25, s8
	s_delay_alu instid0(SALU_CYCLE_1) | instskip(NEXT) | instid1(SALU_CYCLE_1)
	s_add_i32 s42, s25, s24
	s_cmp_eq_u32 s42, -1
	s_cbranch_scc1 .LBB87_13
; %bb.10:
	s_mul_hi_i32 s25, s42, s41
	s_mul_i32 s24, s42, s41
	s_mov_b32 s27, s31
	s_lshl_b64 s[24:25], s[24:25], 1
	s_delay_alu instid0(SALU_CYCLE_1) | instskip(SKIP_1) | instid1(SALU_CYCLE_1)
	s_add_u32 s24, s16, s24
	s_addc_u32 s25, s17, s25
	s_and_b32 s25, s25, 0xffff
	s_clause 0x1
	buffer_load_b128 v[0:3], v16, s[24:27], 0 offen
	buffer_load_b128 v[4:7], v16, s[24:27], 16 offen
	s_waitcnt vmcnt(1)
	v_lshrrev_b32_e32 v8, 16, v0
	v_and_b32_e32 v0, 0xffff, v0
	v_lshrrev_b32_e32 v9, 16, v1
	v_and_b32_e32 v10, 0xffff, v1
	v_lshrrev_b32_e32 v11, 16, v2
	v_and_b32_e32 v12, 0xffff, v2
	v_lshrrev_b32_e32 v13, 16, v3
	v_and_b32_e32 v14, 0xffff, v3
	s_waitcnt vmcnt(0)
	v_lshrrev_b32_e32 v15, 16, v4
	v_and_b32_e32 v23, 0xffff, v4
	v_lshrrev_b32_e32 v24, 16, v5
	v_and_b32_e32 v25, 0xffff, v5
	;; [unrolled: 2-line block ×4, first 2 shown]
	v_cvt_f32_u32_e32 v1, v8
	v_cvt_f32_u32_e32 v0, v0
	;; [unrolled: 1-line block ×16, first 2 shown]
	s_branch .LBB87_14
.LBB87_11:
                                        ; implicit-def: $sgpr4
	s_branch .LBB87_2
.LBB87_12:
                                        ; implicit-def: $vgpr0_vgpr1_vgpr2_vgpr3_vgpr4_vgpr5_vgpr6_vgpr7_vgpr8_vgpr9_vgpr10_vgpr11_vgpr12_vgpr13_vgpr14_vgpr15
	s_cmp_eq_u32 s4, 1
	s_mov_b32 s35, 1
	s_cbranch_scc0 .LBB87_21
	s_branch .LBB87_35
.LBB87_13:
                                        ; implicit-def: $vgpr0_vgpr1_vgpr2_vgpr3_vgpr4_vgpr5_vgpr6_vgpr7_vgpr8_vgpr9_vgpr10_vgpr11_vgpr12_vgpr13_vgpr14_vgpr15
.LBB87_14:
	s_mul_i32 s24, s2, s3
	s_delay_alu instid0(SALU_CYCLE_1) | instskip(NEXT) | instid1(SALU_CYCLE_1)
	s_ashr_i32 s25, s24, 31
	s_lshl_b64 s[24:25], s[24:25], 2
	s_delay_alu instid0(SALU_CYCLE_1) | instskip(SKIP_1) | instid1(SALU_CYCLE_1)
	s_add_u32 s28, s18, s24
	s_addc_u32 s2, s19, s25
	s_and_b32 s29, s2, 0xffff
	s_clause 0x3
	buffer_load_b128 v[23:26], v17, s[28:31], 0 offen
	buffer_load_b128 v[27:30], v17, s[28:31], 16 offen
	;; [unrolled: 1-line block ×4, first 2 shown]
	s_waitcnt vmcnt(3)
	v_dual_mul_f32 v37, v0, v23 :: v_dual_mul_f32 v38, v1, v24
	v_dual_mul_f32 v35, v2, v25 :: v_dual_mul_f32 v36, v3, v26
	s_waitcnt vmcnt(2)
	v_dual_mul_f32 v33, v4, v27 :: v_dual_mul_f32 v34, v5, v28
	s_delay_alu instid0(VALU_DEP_3) | instskip(SKIP_3) | instid1(VALU_DEP_3)
	v_max3_f32 v23, |v37|, 0x2edbe6ff, |v38|
	v_dual_mul_f32 v31, v6, v29 :: v_dual_mul_f32 v32, v7, v30
	s_waitcnt vmcnt(1)
	v_dual_mul_f32 v29, v8, v39 :: v_dual_mul_f32 v30, v9, v40
	v_max3_f32 v23, v23, |v35|, |v36|
	v_dual_mul_f32 v27, v10, v41 :: v_dual_mul_f32 v28, v11, v42
	s_waitcnt vmcnt(0)
	v_dual_mul_f32 v25, v12, v43 :: v_dual_mul_f32 v26, v13, v44
	s_delay_alu instid0(VALU_DEP_3) | instskip(SKIP_1) | instid1(VALU_DEP_2)
	v_max3_f32 v23, v23, |v33|, |v34|
	v_mul_f32_e32 v24, v15, v46
	v_max3_f32 v23, v23, |v31|, |v32|
	s_delay_alu instid0(VALU_DEP_1) | instskip(NEXT) | instid1(VALU_DEP_1)
	v_max3_f32 v23, v23, |v29|, |v30|
	v_max3_f32 v39, v23, |v27|, |v28|
	v_mul_f32_e32 v23, v14, v45
	s_delay_alu instid0(VALU_DEP_2) | instskip(NEXT) | instid1(VALU_DEP_1)
	v_max3_f32 v39, v39, |v25|, |v26|
	v_max3_f32 v39, v39, |v23|, |v24|
	s_delay_alu instid0(VALU_DEP_1) | instskip(NEXT) | instid1(VALU_DEP_1)
	v_mov_b32_dpp v40, v39 quad_perm:[1,0,3,2] row_mask:0xf bank_mask:0xf
	v_cmp_gt_f32_e64 s2, v39, v40
	s_delay_alu instid0(VALU_DEP_1) | instskip(NEXT) | instid1(VALU_DEP_1)
	v_cndmask_b32_e64 v39, v40, v39, s2
	v_mov_b32_dpp v40, v39 quad_perm:[2,3,0,1] row_mask:0xf bank_mask:0xf
	s_delay_alu instid0(VALU_DEP_1) | instskip(NEXT) | instid1(VALU_DEP_1)
	v_cmp_gt_f32_e64 s2, v39, v40
	v_cndmask_b32_e64 v39, v40, v39, s2
	s_delay_alu instid0(VALU_DEP_1) | instskip(NEXT) | instid1(VALU_DEP_1)
	v_mov_b32_dpp v40, v39 row_xmask:7 row_mask:0xf bank_mask:0xf
	v_cmp_gt_f32_e64 s2, v39, v40
	s_delay_alu instid0(VALU_DEP_1) | instskip(NEXT) | instid1(VALU_DEP_1)
	v_cndmask_b32_e64 v39, v40, v39, s2
	v_mov_b32_dpp v40, v39 row_xmask:15 row_mask:0xf bank_mask:0xf
	s_delay_alu instid0(VALU_DEP_1)
	v_cmp_gt_f32_e64 s2, v39, v40
	s_and_saveexec_b32 s24, vcc_lo
	s_cbranch_execz .LBB87_16
; %bb.15:
	s_delay_alu instid0(VALU_DEP_1)
	v_cndmask_b32_e64 v39, v40, v39, s2
	s_mov_b32 s2, 0x76543210
	s_delay_alu instid0(VALU_DEP_1) | instid1(SALU_CYCLE_1)
	v_permlanex16_b32 v40, v39, s2, 0xfedcba98 op_sel:[1,1]
	s_delay_alu instid0(VALU_DEP_1) | instskip(NEXT) | instid1(VALU_DEP_1)
	v_cmp_gt_f32_e64 s2, v39, v40
	v_cndmask_b32_e64 v39, v40, v39, s2
	ds_store_b32 v18, v39
.LBB87_16:
	s_or_b32 exec_lo, exec_lo, s24
	s_waitcnt lgkmcnt(0)
	s_barrier
	buffer_gl0_inv
	ds_load_b32 v39, v19
	s_abs_i32 s24, s5
	s_delay_alu instid0(SALU_CYCLE_1) | instskip(NEXT) | instid1(VALU_DEP_1)
	v_cvt_f32_u32_e32 v40, s24
	v_rcp_iflag_f32_e32 v40, v40
	s_waitcnt_depctr 0xfff
	v_mul_f32_e32 v40, 0x4f7ffffe, v40
	s_waitcnt lgkmcnt(0)
	v_mov_b32_dpp v41, v39 quad_perm:[1,0,3,2] row_mask:0xf bank_mask:0xf
	s_delay_alu instid0(VALU_DEP_2) | instskip(NEXT) | instid1(VALU_DEP_2)
	v_cvt_u32_f32_e32 v40, v40
	v_cmp_gt_f32_e64 s2, v39, v41
	s_delay_alu instid0(VALU_DEP_2) | instskip(NEXT) | instid1(VALU_DEP_2)
	v_readfirstlane_b32 s25, v40
	v_cndmask_b32_e64 v39, v41, v39, s2
	s_sub_i32 s2, 0, s24
	s_delay_alu instid0(VALU_DEP_2) | instid1(SALU_CYCLE_1)
	s_mul_i32 s2, s2, s25
	s_delay_alu instid0(VALU_DEP_1) | instskip(SKIP_1) | instid1(SALU_CYCLE_1)
	v_mov_b32_dpp v40, v39 quad_perm:[2,3,0,1] row_mask:0xf bank_mask:0xf
	s_mul_hi_u32 s27, s25, s2
	s_add_i32 s25, s25, s27
	s_delay_alu instid0(VALU_DEP_1) | instskip(SKIP_1) | instid1(SALU_CYCLE_1)
	v_cmp_gt_f32_e64 s2, v39, v40
	s_mul_hi_u32 s25, s23, s25
	s_mul_i32 s27, s25, s24
	s_delay_alu instid0(VALU_DEP_1)
	v_cndmask_b32_e64 v39, v40, v39, s2
	s_ashr_i32 s2, s5, 31
	s_sub_i32 s23, s23, s27
	s_xor_b32 s28, s35, s2
	s_add_i32 s27, s25, 1
	v_mov_b32_dpp v40, v39 row_xmask:7 row_mask:0xf bank_mask:0xf
	s_sub_i32 s29, s23, s24
	s_cmp_ge_u32 s23, s24
	s_cselect_b32 s23, s29, s23
	s_delay_alu instid0(VALU_DEP_1) | instskip(NEXT) | instid1(VALU_DEP_1)
	v_cmp_gt_f32_e64 s2, v39, v40
	v_cndmask_b32_e64 v39, v40, v39, s2
	s_cselect_b32 s2, s27, s25
	s_delay_alu instid0(SALU_CYCLE_1) | instskip(SKIP_1) | instid1(VALU_DEP_1)
	s_add_i32 s25, s2, 1
	s_cmp_ge_u32 s23, s24
	v_mov_b32_dpp v40, v39 row_xmask:15 row_mask:0xf bank_mask:0xf
	s_cselect_b32 s2, s25, s2
	s_delay_alu instid0(SALU_CYCLE_1) | instskip(NEXT) | instid1(VALU_DEP_1)
	s_xor_b32 s23, s2, s28
	v_cmp_gt_f32_e64 s2, v39, v40
	s_delay_alu instid0(VALU_DEP_1) | instskip(SKIP_1) | instid1(SALU_CYCLE_1)
	v_cndmask_b32_e64 v39, v40, v39, s2
	s_sub_i32 s2, s23, s28
	s_mul_i32 s23, s2, s5
	s_mul_i32 s2, s2, s9
	s_sub_i32 s23, s34, s23
	v_mul_f32_e32 v39, 0x3b124925, v39
	s_mul_i32 s23, s23, s10
	s_delay_alu instid0(SALU_CYCLE_1)
	s_add_i32 s24, s23, s2
	s_and_saveexec_b32 s2, s0
	s_cbranch_execz .LBB87_18
; %bb.17:
	s_ashr_i32 s25, s24, 31
	v_mov_b32_e32 v40, 0
	s_lshl_b64 s[28:29], s[24:25], 2
	s_delay_alu instid0(SALU_CYCLE_1)
	s_add_u32 s28, s14, s28
	s_addc_u32 s29, s15, s29
	global_store_b32 v40, v39, s[28:29]
.LBB87_18:
	s_or_b32 exec_lo, exec_lo, s2
	s_and_saveexec_b32 s2, s1
	s_cbranch_execz .LBB87_20
; %bb.19:
	v_rcp_f32_e32 v39, v39
	v_mov_b32_e32 v40, 0xc3e00000
	v_mov_b32_e32 v41, 0x43e00000
	s_mul_hi_i32 s23, s24, s41
	s_mul_i32 s24, s24, s41
	s_mov_b32 s39, -1
	s_add_u32 s36, s12, s24
	s_addc_u32 s23, s13, s23
	s_delay_alu instid0(SALU_CYCLE_1)
	s_and_b32 s37, s23, 0xffff
	s_waitcnt_depctr 0xfff
	v_mul_f32_e32 v38, v38, v39
	v_mul_f32_e32 v37, v37, v39
	;; [unrolled: 1-line block ×4, first 2 shown]
	;;#ASMSTART
	v_med3_f32 v37, v37, v40, v41
v_med3_f32 v38, v38, v40, v41
v_cvt_pk_fp8_f32 v42, v37, v38
	;;#ASMEND
	v_mul_f32_e32 v33, v33, v39
	v_mul_f32_e32 v34, v34, v39
	;;#ASMSTART
	v_med3_f32 v35, v35, v40, v41
v_med3_f32 v36, v36, v40, v41
v_cvt_pk_fp8_f32 v37, v35, v36
	;;#ASMEND
	v_mul_f32_e32 v31, v31, v39
	v_mul_f32_e32 v32, v32, v39
	v_perm_b32 v35, v37, v42, 0x5040100
	;;#ASMSTART
	v_med3_f32 v33, v33, v40, v41
v_med3_f32 v34, v34, v40, v41
v_cvt_pk_fp8_f32 v36, v33, v34
	;;#ASMEND
	;;#ASMSTART
	v_med3_f32 v31, v31, v40, v41
v_med3_f32 v32, v32, v40, v41
v_cvt_pk_fp8_f32 v33, v31, v32
	;;#ASMEND
	v_mul_f32_e32 v29, v29, v39
	v_mul_f32_e32 v30, v30, v39
	v_perm_b32 v32, v36, v33, 0x1000504
	v_mul_f32_e32 v27, v27, v39
	v_mul_f32_e32 v28, v28, v39
	;;#ASMSTART
	v_med3_f32 v29, v29, v40, v41
v_med3_f32 v30, v30, v40, v41
v_cvt_pk_fp8_f32 v33, v29, v30
	;;#ASMEND
	v_mul_f32_e32 v25, v25, v39
	v_mul_f32_e32 v26, v26, v39
	;;#ASMSTART
	v_med3_f32 v27, v27, v40, v41
v_med3_f32 v28, v28, v40, v41
v_cvt_pk_fp8_f32 v29, v27, v28
	;;#ASMEND
	;; [unrolled: 7-line block ×3, first 2 shown]
	v_perm_b32 v31, v35, v37, 0x1060504
	v_perm_b32 v33, v33, v29, 0x1000504
	;;#ASMSTART
	v_med3_f32 v23, v23, v40, v41
v_med3_f32 v24, v24, v40, v41
v_cvt_pk_fp8_f32 v25, v23, v24
	;;#ASMEND
	v_perm_b32 v34, v27, v25, 0x1000504
	buffer_store_b128 v[31:34], v21, s[36:39], 0 offen
	;;#ASMSTART
	s_nop 0
	;;#ASMEND
.LBB87_20:
	s_or_b32 exec_lo, exec_lo, s2
	s_cmp_eq_u32 s4, 1
	s_mov_b32 s35, 1
	s_cbranch_scc1 .LBB87_35
.LBB87_21:
	s_abs_i32 s43, s5
	v_mov_b32_e32 v25, 0x43e00000
	v_cvt_f32_u32_e32 v23, s43
	s_sub_i32 s23, 0, s43
	s_ashr_i32 s44, s5, 31
	s_mov_b32 s31, -1
	s_mov_b32 s46, 0x76543210
	v_rcp_iflag_f32_e32 v23, v23
	v_add_nc_u32_e32 v22, 4, v22
	v_mov_b32_e32 v24, 0xc3e00000
	s_waitcnt_depctr 0xfff
	v_mul_f32_e32 v23, 0x4f7ffffe, v23
	s_delay_alu instid0(VALU_DEP_1) | instskip(NEXT) | instid1(VALU_DEP_1)
	v_cvt_u32_f32_e32 v23, v23
	v_readfirstlane_b32 s2, v23
	v_mov_b32_e32 v23, 0
	s_delay_alu instid0(VALU_DEP_2) | instskip(NEXT) | instid1(SALU_CYCLE_1)
	s_mul_i32 s23, s23, s2
	s_mul_hi_u32 s23, s2, s23
	s_delay_alu instid0(SALU_CYCLE_1)
	s_add_i32 s45, s2, s23
	s_branch .LBB87_24
.LBB87_22:                              ;   in Loop: Header=BB87_24 Depth=1
	s_or_b32 exec_lo, exec_lo, s2
.LBB87_23:                              ;   in Loop: Header=BB87_24 Depth=1
	v_add_nc_u32_e32 v22, 4, v22
	s_add_i32 s35, s35, 1
	s_delay_alu instid0(SALU_CYCLE_1)
	s_cmp_eq_u32 s4, s35
	s_cbranch_scc1 .LBB87_35
.LBB87_24:                              ; =>This Inner Loop Header: Depth=1
	s_and_b32 s2, s35, 31
	s_delay_alu instid0(SALU_CYCLE_1)
	s_cmp_lg_u32 s2, 0
	s_cbranch_scc1 .LBB87_26
; %bb.25:                               ;   in Loop: Header=BB87_24 Depth=1
	s_mov_b32 s23, s31
	buffer_load_b32 v20, v22, s[20:23], 0 offen
	s_waitcnt vmcnt(0) expcnt(0) lgkmcnt(55)
	v_lshlrev_b32_e32 v20, 2, v20
	ds_load_b32 v20, v20
.LBB87_26:                              ;   in Loop: Header=BB87_24 Depth=1
	s_waitcnt lgkmcnt(0)
	v_readlane_b32 s2, v20, s2
	s_delay_alu instid0(VALU_DEP_1)
	s_cmp_lt_i32 s2, 0
	s_cbranch_scc1 .LBB87_23
; %bb.27:                               ;   in Loop: Header=BB87_24 Depth=1
	s_add_i32 s23, s34, s35
	s_delay_alu instid0(SALU_CYCLE_1)
	s_abs_i32 s36, s23
	s_ashr_i32 s37, s23, 31
	s_mul_hi_u32 s24, s36, s40
	s_xor_b32 s27, s37, s33
	s_mul_i32 s25, s24, s11
	s_add_i32 s28, s24, 1
	s_sub_i32 s25, s36, s25
	s_delay_alu instid0(SALU_CYCLE_1)
	s_sub_i32 s29, s25, s11
	s_cmp_ge_u32 s25, s11
	s_cselect_b32 s24, s28, s24
	s_cselect_b32 s25, s29, s25
	s_add_i32 s28, s24, 1
	s_cmp_ge_u32 s25, s11
	s_cselect_b32 s24, s28, s24
	s_delay_alu instid0(SALU_CYCLE_1) | instskip(NEXT) | instid1(SALU_CYCLE_1)
	s_xor_b32 s24, s24, s27
	s_sub_i32 s24, s24, s27
	s_delay_alu instid0(SALU_CYCLE_1) | instskip(SKIP_2) | instid1(SALU_CYCLE_1)
	s_mul_i32 s25, s24, s6
	s_mul_i32 s24, s24, s7
	s_sub_i32 s25, s23, s25
	s_mul_i32 s28, s25, s8
	s_delay_alu instid0(SALU_CYCLE_1) | instskip(NEXT) | instid1(SALU_CYCLE_1)
	s_add_i32 s28, s28, s24
	s_cmp_eq_u32 s28, s42
	s_cbranch_scc1 .LBB87_29
; %bb.28:                               ;   in Loop: Header=BB87_24 Depth=1
	s_mul_hi_i32 s25, s28, s41
	s_mul_i32 s24, s28, s41
	s_mov_b32 s27, s31
	s_lshl_b64 s[24:25], s[24:25], 1
	s_mov_b32 s42, s28
	s_add_u32 s24, s16, s24
	s_addc_u32 s25, s17, s25
	s_delay_alu instid0(SALU_CYCLE_1)
	s_and_b32 s25, s25, 0xffff
	s_clause 0x1
	buffer_load_b128 v[0:3], v16, s[24:27], 0 offen
	buffer_load_b128 v[4:7], v16, s[24:27], 16 offen
	s_waitcnt vmcnt(1)
	v_lshrrev_b32_e32 v8, 16, v0
	v_and_b32_e32 v0, 0xffff, v0
	v_lshrrev_b32_e32 v9, 16, v1
	v_and_b32_e32 v10, 0xffff, v1
	v_lshrrev_b32_e32 v11, 16, v2
	v_and_b32_e32 v12, 0xffff, v2
	v_lshrrev_b32_e32 v13, 16, v3
	v_and_b32_e32 v14, 0xffff, v3
	s_waitcnt vmcnt(0)
	v_lshrrev_b32_e32 v15, 16, v4
	v_and_b32_e32 v26, 0xffff, v4
	v_lshrrev_b32_e32 v27, 16, v5
	v_and_b32_e32 v28, 0xffff, v5
	;; [unrolled: 2-line block ×4, first 2 shown]
	v_cvt_f32_u32_e32 v1, v8
	v_cvt_f32_u32_e32 v0, v0
	;; [unrolled: 1-line block ×16, first 2 shown]
.LBB87_29:                              ;   in Loop: Header=BB87_24 Depth=1
	s_mul_i32 s24, s2, s3
	s_delay_alu instid0(SALU_CYCLE_1) | instskip(NEXT) | instid1(SALU_CYCLE_1)
	s_ashr_i32 s25, s24, 31
	s_lshl_b64 s[24:25], s[24:25], 2
	s_delay_alu instid0(SALU_CYCLE_1) | instskip(SKIP_1) | instid1(SALU_CYCLE_1)
	s_add_u32 s28, s18, s24
	s_addc_u32 s2, s19, s25
	s_and_b32 s29, s2, 0xffff
	s_clause 0x3
	buffer_load_b128 v[26:29], v17, s[28:31], 0 offen
	buffer_load_b128 v[30:33], v17, s[28:31], 16 offen
	;; [unrolled: 1-line block ×4, first 2 shown]
	s_waitcnt vmcnt(3)
	v_dual_mul_f32 v40, v0, v26 :: v_dual_mul_f32 v41, v1, v27
	v_dual_mul_f32 v38, v2, v28 :: v_dual_mul_f32 v39, v3, v29
	s_waitcnt vmcnt(2)
	v_dual_mul_f32 v36, v4, v30 :: v_dual_mul_f32 v37, v5, v31
	s_delay_alu instid0(VALU_DEP_3) | instskip(SKIP_3) | instid1(VALU_DEP_3)
	v_max3_f32 v26, |v40|, 0x2edbe6ff, |v41|
	v_dual_mul_f32 v34, v6, v32 :: v_dual_mul_f32 v35, v7, v33
	s_waitcnt vmcnt(1)
	v_dual_mul_f32 v33, v8, v42 :: v_dual_mul_f32 v32, v9, v43
	v_max3_f32 v26, v26, |v38|, |v39|
	v_dual_mul_f32 v30, v10, v44 :: v_dual_mul_f32 v31, v11, v45
	s_waitcnt vmcnt(0)
	v_dual_mul_f32 v28, v12, v46 :: v_dual_mul_f32 v29, v13, v47
	s_delay_alu instid0(VALU_DEP_3) | instskip(SKIP_1) | instid1(VALU_DEP_2)
	v_max3_f32 v26, v26, |v36|, |v37|
	v_mul_f32_e32 v27, v15, v49
	v_max3_f32 v26, v26, |v34|, |v35|
	s_delay_alu instid0(VALU_DEP_1) | instskip(NEXT) | instid1(VALU_DEP_1)
	v_max3_f32 v26, v26, |v33|, |v32|
	v_max3_f32 v42, v26, |v30|, |v31|
	v_mul_f32_e32 v26, v14, v48
	s_delay_alu instid0(VALU_DEP_2) | instskip(NEXT) | instid1(VALU_DEP_1)
	v_max3_f32 v42, v42, |v28|, |v29|
	v_max3_f32 v42, v42, |v26|, |v27|
	s_delay_alu instid0(VALU_DEP_1) | instskip(NEXT) | instid1(VALU_DEP_1)
	v_mov_b32_dpp v43, v42 quad_perm:[1,0,3,2] row_mask:0xf bank_mask:0xf
	v_cmp_gt_f32_e64 s2, v42, v43
	s_delay_alu instid0(VALU_DEP_1) | instskip(NEXT) | instid1(VALU_DEP_1)
	v_cndmask_b32_e64 v42, v43, v42, s2
	v_mov_b32_dpp v43, v42 quad_perm:[2,3,0,1] row_mask:0xf bank_mask:0xf
	s_delay_alu instid0(VALU_DEP_1) | instskip(NEXT) | instid1(VALU_DEP_1)
	v_cmp_gt_f32_e64 s2, v42, v43
	v_cndmask_b32_e64 v42, v43, v42, s2
	s_delay_alu instid0(VALU_DEP_1) | instskip(NEXT) | instid1(VALU_DEP_1)
	v_mov_b32_dpp v43, v42 row_xmask:7 row_mask:0xf bank_mask:0xf
	v_cmp_gt_f32_e64 s2, v42, v43
	s_delay_alu instid0(VALU_DEP_1) | instskip(NEXT) | instid1(VALU_DEP_1)
	v_cndmask_b32_e64 v42, v43, v42, s2
	v_mov_b32_dpp v43, v42 row_xmask:15 row_mask:0xf bank_mask:0xf
	s_delay_alu instid0(VALU_DEP_1)
	v_cmp_gt_f32_e64 s2, v42, v43
	s_and_saveexec_b32 s24, vcc_lo
	s_cbranch_execz .LBB87_31
; %bb.30:                               ;   in Loop: Header=BB87_24 Depth=1
	s_delay_alu instid0(VALU_DEP_1) | instskip(NEXT) | instid1(VALU_DEP_1)
	v_cndmask_b32_e64 v42, v43, v42, s2
	v_permlanex16_b32 v43, v42, s46, 0xfedcba98 op_sel:[1,1]
	s_delay_alu instid0(VALU_DEP_1) | instskip(NEXT) | instid1(VALU_DEP_1)
	v_cmp_gt_f32_e64 s2, v42, v43
	v_cndmask_b32_e64 v42, v43, v42, s2
	ds_store_b32 v18, v42
.LBB87_31:                              ;   in Loop: Header=BB87_24 Depth=1
	s_or_b32 exec_lo, exec_lo, s24
	s_waitcnt lgkmcnt(0)
	s_waitcnt_vscnt null, 0x0
	s_barrier
	buffer_gl0_inv
	ds_load_b32 v42, v19
	s_mul_hi_u32 s24, s36, s45
	s_xor_b32 s27, s37, s44
	s_mul_i32 s25, s24, s43
	s_waitcnt lgkmcnt(0)
	v_mov_b32_dpp v43, v42 quad_perm:[1,0,3,2] row_mask:0xf bank_mask:0xf
	s_delay_alu instid0(VALU_DEP_1) | instskip(NEXT) | instid1(VALU_DEP_1)
	v_cmp_gt_f32_e64 s2, v42, v43
	v_cndmask_b32_e64 v42, v43, v42, s2
	s_delay_alu instid0(VALU_DEP_1) | instskip(NEXT) | instid1(VALU_DEP_1)
	v_mov_b32_dpp v43, v42 quad_perm:[2,3,0,1] row_mask:0xf bank_mask:0xf
	v_cmp_gt_f32_e64 s2, v42, v43
	s_delay_alu instid0(VALU_DEP_1)
	v_cndmask_b32_e64 v42, v43, v42, s2
	s_sub_i32 s2, s36, s25
	s_add_i32 s25, s24, 1
	s_sub_i32 s28, s2, s43
	s_cmp_ge_u32 s2, s43
	v_mov_b32_dpp v43, v42 row_xmask:7 row_mask:0xf bank_mask:0xf
	s_cselect_b32 s24, s25, s24
	s_cselect_b32 s25, s28, s2
	s_delay_alu instid0(VALU_DEP_1) | instskip(NEXT) | instid1(VALU_DEP_1)
	v_cmp_gt_f32_e64 s2, v42, v43
	v_cndmask_b32_e64 v42, v43, v42, s2
	s_add_i32 s2, s24, 1
	s_cmp_ge_u32 s25, s43
	s_cselect_b32 s2, s2, s24
	s_delay_alu instid0(VALU_DEP_1) | instskip(SKIP_1) | instid1(SALU_CYCLE_1)
	v_mov_b32_dpp v43, v42 row_xmask:15 row_mask:0xf bank_mask:0xf
	s_xor_b32 s2, s2, s27
	s_sub_i32 s24, s2, s27
	s_delay_alu instid0(VALU_DEP_1) | instskip(NEXT) | instid1(VALU_DEP_1)
	v_cmp_gt_f32_e64 s2, v42, v43
	v_cndmask_b32_e64 v42, v43, v42, s2
	s_mul_i32 s2, s24, s5
	s_mul_i32 s24, s24, s9
	s_sub_i32 s2, s23, s2
	s_delay_alu instid0(VALU_DEP_1) | instskip(SKIP_1) | instid1(SALU_CYCLE_1)
	v_mul_f32_e32 v42, 0x3b124925, v42
	s_mul_i32 s2, s2, s10
	s_add_i32 s24, s2, s24
	s_and_saveexec_b32 s2, s0
	s_cbranch_execz .LBB87_33
; %bb.32:                               ;   in Loop: Header=BB87_24 Depth=1
	s_ashr_i32 s25, s24, 31
	s_delay_alu instid0(SALU_CYCLE_1) | instskip(NEXT) | instid1(SALU_CYCLE_1)
	s_lshl_b64 s[28:29], s[24:25], 2
	s_add_u32 s28, s14, s28
	s_addc_u32 s29, s15, s29
	global_store_b32 v23, v42, s[28:29]
.LBB87_33:                              ;   in Loop: Header=BB87_24 Depth=1
	s_or_b32 exec_lo, exec_lo, s2
	s_and_saveexec_b32 s2, s1
	s_cbranch_execz .LBB87_22
; %bb.34:                               ;   in Loop: Header=BB87_24 Depth=1
	v_rcp_f32_e32 v42, v42
	s_mul_i32 s23, s24, s41
	s_mul_hi_i32 s24, s24, s41
	s_add_u32 s36, s12, s23
	s_addc_u32 s23, s13, s24
	s_mov_b32 s39, s31
	s_and_b32 s37, s23, 0xffff
	s_waitcnt_depctr 0xfff
	v_mul_f32_e32 v40, v40, v42
	v_mul_f32_e32 v41, v41, v42
	;; [unrolled: 1-line block ×5, first 2 shown]
	;;#ASMSTART
	v_med3_f32 v40, v40, v24, v25
v_med3_f32 v41, v41, v24, v25
v_cvt_pk_fp8_f32 v33, v40, v41
	;;#ASMEND
	;;#ASMSTART
	v_med3_f32 v38, v38, v24, v25
v_med3_f32 v39, v39, v24, v25
v_cvt_pk_fp8_f32 v40, v38, v39
	;;#ASMEND
	v_perm_b32 v38, v40, v33, 0x5040100
	v_mul_f32_e32 v36, v36, v42
	v_mul_f32_e32 v37, v37, v42
	;; [unrolled: 1-line block ×5, first 2 shown]
	;;#ASMSTART
	v_med3_f32 v36, v36, v24, v25
v_med3_f32 v37, v37, v24, v25
v_cvt_pk_fp8_f32 v32, v36, v37
	;;#ASMEND
	;;#ASMSTART
	v_med3_f32 v34, v34, v24, v25
v_med3_f32 v35, v35, v24, v25
v_cvt_pk_fp8_f32 v33, v34, v35
	;;#ASMEND
	v_mul_f32_e32 v30, v30, v42
	v_mul_f32_e32 v31, v31, v42
	;; [unrolled: 1-line block ×4, first 2 shown]
	;;#ASMSTART
	v_med3_f32 v43, v43, v24, v25
v_med3_f32 v39, v39, v24, v25
v_cvt_pk_fp8_f32 v34, v43, v39
	;;#ASMEND
	;;#ASMSTART
	v_med3_f32 v30, v30, v24, v25
v_med3_f32 v31, v31, v24, v25
v_cvt_pk_fp8_f32 v35, v30, v31
	;;#ASMEND
	v_mul_f32_e32 v26, v26, v42
	v_mul_f32_e32 v27, v27, v42
	;;#ASMSTART
	v_med3_f32 v28, v28, v24, v25
v_med3_f32 v29, v29, v24, v25
v_cvt_pk_fp8_f32 v30, v28, v29
	;;#ASMEND
	v_perm_b32 v33, v32, v33, 0x1000504
	v_perm_b32 v32, v38, v40, 0x1060504
	;; [unrolled: 1-line block ×3, first 2 shown]
	;;#ASMSTART
	v_med3_f32 v26, v26, v24, v25
v_med3_f32 v27, v27, v24, v25
v_cvt_pk_fp8_f32 v28, v26, v27
	;;#ASMEND
	v_perm_b32 v35, v30, v28, 0x1000504
	buffer_store_b128 v[32:35], v21, s[36:39], 0 offen
	;;#ASMSTART
	s_nop 0
	;;#ASMEND
	s_branch .LBB87_22
.LBB87_35:
	s_nop 0
	s_sendmsg sendmsg(MSG_DEALLOC_VGPRS)
	s_endpgm
	.section	.rodata,"a",@progbits
	.p2align	6, 0x0
	.amdhsa_kernel _ZN5aiter36smooth_per_token_scaled_quant_kernelItDB8_Li512ELi16ELb1ELb1ELb1ELi1024EEEvPT0_PfPT_S4_PiS7_iiPKiiiiiiiii
		.amdhsa_group_segment_fixed_size 4160
		.amdhsa_private_segment_fixed_size 0
		.amdhsa_kernarg_size 96
		.amdhsa_user_sgpr_count 15
		.amdhsa_user_sgpr_dispatch_ptr 0
		.amdhsa_user_sgpr_queue_ptr 0
		.amdhsa_user_sgpr_kernarg_segment_ptr 1
		.amdhsa_user_sgpr_dispatch_id 0
		.amdhsa_user_sgpr_private_segment_size 0
		.amdhsa_wavefront_size32 1
		.amdhsa_uses_dynamic_stack 0
		.amdhsa_enable_private_segment 0
		.amdhsa_system_sgpr_workgroup_id_x 1
		.amdhsa_system_sgpr_workgroup_id_y 0
		.amdhsa_system_sgpr_workgroup_id_z 0
		.amdhsa_system_sgpr_workgroup_info 0
		.amdhsa_system_vgpr_workitem_id 0
		.amdhsa_next_free_vgpr 50
		.amdhsa_next_free_sgpr 47
		.amdhsa_reserve_vcc 1
		.amdhsa_float_round_mode_32 0
		.amdhsa_float_round_mode_16_64 0
		.amdhsa_float_denorm_mode_32 3
		.amdhsa_float_denorm_mode_16_64 3
		.amdhsa_dx10_clamp 1
		.amdhsa_ieee_mode 1
		.amdhsa_fp16_overflow 0
		.amdhsa_workgroup_processor_mode 1
		.amdhsa_memory_ordered 1
		.amdhsa_forward_progress 0
		.amdhsa_shared_vgpr_count 0
		.amdhsa_exception_fp_ieee_invalid_op 0
		.amdhsa_exception_fp_denorm_src 0
		.amdhsa_exception_fp_ieee_div_zero 0
		.amdhsa_exception_fp_ieee_overflow 0
		.amdhsa_exception_fp_ieee_underflow 0
		.amdhsa_exception_fp_ieee_inexact 0
		.amdhsa_exception_int_div_zero 0
	.end_amdhsa_kernel
	.section	.text._ZN5aiter36smooth_per_token_scaled_quant_kernelItDB8_Li512ELi16ELb1ELb1ELb1ELi1024EEEvPT0_PfPT_S4_PiS7_iiPKiiiiiiiii,"axG",@progbits,_ZN5aiter36smooth_per_token_scaled_quant_kernelItDB8_Li512ELi16ELb1ELb1ELb1ELi1024EEEvPT0_PfPT_S4_PiS7_iiPKiiiiiiiii,comdat
.Lfunc_end87:
	.size	_ZN5aiter36smooth_per_token_scaled_quant_kernelItDB8_Li512ELi16ELb1ELb1ELb1ELi1024EEEvPT0_PfPT_S4_PiS7_iiPKiiiiiiiii, .Lfunc_end87-_ZN5aiter36smooth_per_token_scaled_quant_kernelItDB8_Li512ELi16ELb1ELb1ELb1ELi1024EEEvPT0_PfPT_S4_PiS7_iiPKiiiiiiiii
                                        ; -- End function
	.section	.AMDGPU.csdata,"",@progbits
; Kernel info:
; codeLenInByte = 4428
; NumSgprs: 49
; NumVgprs: 50
; ScratchSize: 0
; MemoryBound: 0
; FloatMode: 240
; IeeeMode: 1
; LDSByteSize: 4160 bytes/workgroup (compile time only)
; SGPRBlocks: 6
; VGPRBlocks: 6
; NumSGPRsForWavesPerEU: 49
; NumVGPRsForWavesPerEU: 50
; Occupancy: 16
; WaveLimiterHint : 0
; COMPUTE_PGM_RSRC2:SCRATCH_EN: 0
; COMPUTE_PGM_RSRC2:USER_SGPR: 15
; COMPUTE_PGM_RSRC2:TRAP_HANDLER: 0
; COMPUTE_PGM_RSRC2:TGID_X_EN: 1
; COMPUTE_PGM_RSRC2:TGID_Y_EN: 0
; COMPUTE_PGM_RSRC2:TGID_Z_EN: 0
; COMPUTE_PGM_RSRC2:TIDIG_COMP_CNT: 0
	.section	.text._ZN5aiter36smooth_per_token_scaled_quant_kernelIDF16_DB8_Li512ELi16ELb1ELb1ELb0ELi1024EEEvPT0_PfPT_S4_PiS7_iiPKiiiiiiiii,"axG",@progbits,_ZN5aiter36smooth_per_token_scaled_quant_kernelIDF16_DB8_Li512ELi16ELb1ELb1ELb0ELi1024EEEvPT0_PfPT_S4_PiS7_iiPKiiiiiiiii,comdat
	.protected	_ZN5aiter36smooth_per_token_scaled_quant_kernelIDF16_DB8_Li512ELi16ELb1ELb1ELb0ELi1024EEEvPT0_PfPT_S4_PiS7_iiPKiiiiiiiii ; -- Begin function _ZN5aiter36smooth_per_token_scaled_quant_kernelIDF16_DB8_Li512ELi16ELb1ELb1ELb0ELi1024EEEvPT0_PfPT_S4_PiS7_iiPKiiiiiiiii
	.globl	_ZN5aiter36smooth_per_token_scaled_quant_kernelIDF16_DB8_Li512ELi16ELb1ELb1ELb0ELi1024EEEvPT0_PfPT_S4_PiS7_iiPKiiiiiiiii
	.p2align	8
	.type	_ZN5aiter36smooth_per_token_scaled_quant_kernelIDF16_DB8_Li512ELi16ELb1ELb1ELb0ELi1024EEEvPT0_PfPT_S4_PiS7_iiPKiiiiiiiii,@function
_ZN5aiter36smooth_per_token_scaled_quant_kernelIDF16_DB8_Li512ELi16ELb1ELb1ELb0ELi1024EEEvPT0_PfPT_S4_PiS7_iiPKiiiiiiiii: ; @_ZN5aiter36smooth_per_token_scaled_quant_kernelIDF16_DB8_Li512ELi16ELb1ELb1ELb0ELi1024EEEvPT0_PfPT_S4_PiS7_iiPKiiiiiiiii
; %bb.0:
	s_clause 0x1
	s_load_b64 s[2:3], s[0:1], 0x38
	s_load_b256 s[4:11], s[0:1], 0x40
	s_waitcnt lgkmcnt(0)
	s_cmp_lg_u64 s[2:3], 0
	s_cbranch_scc0 .LBB88_24
; %bb.1:
	s_load_b32 s2, s[2:3], 0x0
	s_waitcnt lgkmcnt(0)
	s_mul_i32 s4, s2, s4
	s_cbranch_execnz .LBB88_3
.LBB88_2:
	s_mul_i32 s4, s6, s5
.LBB88_3:
	s_load_b64 s[2:3], s[0:1], 0x30
	s_abs_i32 s14, s4
	s_waitcnt lgkmcnt(0)
	s_abs_i32 s11, s2
	s_delay_alu instid0(SALU_CYCLE_1) | instskip(SKIP_1) | instid1(VALU_DEP_1)
	v_cvt_f32_u32_e32 v1, s11
	s_sub_i32 s13, 0, s11
	v_rcp_iflag_f32_e32 v1, v1
	s_waitcnt_depctr 0xfff
	v_mul_f32_e32 v1, 0x4f7ffffe, v1
	s_delay_alu instid0(VALU_DEP_1) | instskip(NEXT) | instid1(VALU_DEP_1)
	v_cvt_u32_f32_e32 v1, v1
	v_readfirstlane_b32 s12, v1
	s_delay_alu instid0(VALU_DEP_1) | instskip(NEXT) | instid1(SALU_CYCLE_1)
	s_mul_i32 s13, s13, s12
	s_mul_hi_u32 s13, s12, s13
	s_delay_alu instid0(SALU_CYCLE_1) | instskip(SKIP_4) | instid1(SALU_CYCLE_1)
	s_add_i32 s12, s12, s13
	s_xor_b32 s13, s4, s2
	s_mul_hi_u32 s12, s14, s12
	s_ashr_i32 s13, s13, 31
	s_mul_i32 s16, s12, s11
	s_sub_i32 s14, s14, s16
	s_add_i32 s16, s12, 1
	s_sub_i32 s17, s14, s11
	s_cmp_ge_u32 s14, s11
	s_cselect_b32 s12, s16, s12
	s_cselect_b32 s14, s17, s14
	s_add_i32 s16, s12, 1
	s_cmp_ge_u32 s14, s11
	s_cselect_b32 s11, s16, s12
	s_mov_b32 s12, 0
	s_xor_b32 s11, s11, s13
	s_delay_alu instid0(SALU_CYCLE_1) | instskip(NEXT) | instid1(SALU_CYCLE_1)
	s_sub_i32 s11, s11, s13
	s_mul_i32 s2, s11, s2
	s_delay_alu instid0(SALU_CYCLE_1) | instskip(NEXT) | instid1(SALU_CYCLE_1)
	s_sub_i32 s13, s4, s2
	s_cmp_lt_u32 s15, s13
	s_cselect_b32 s2, -1, 0
	s_add_i32 s4, s11, 1
	s_cmp_ge_u32 s15, s13
	s_cbranch_scc0 .LBB88_5
; %bb.4:
	s_sub_i32 s14, s15, s13
	s_mul_i32 s13, s13, s4
	s_mul_i32 s14, s14, s11
	s_delay_alu instid0(SALU_CYCLE_1)
	s_add_i32 s34, s14, s13
	s_and_not1_b32 vcc_lo, exec_lo, s12
	s_cbranch_vccz .LBB88_6
	s_branch .LBB88_7
.LBB88_5:
                                        ; implicit-def: $sgpr34
.LBB88_6:
	s_mul_i32 s34, s4, s15
.LBB88_7:
	v_cndmask_b32_e64 v1, 0, 1, s2
	s_delay_alu instid0(VALU_DEP_1) | instskip(NEXT) | instid1(VALU_DEP_1)
	v_readfirstlane_b32 s2, v1
	s_add_i32 s4, s11, s2
	s_delay_alu instid0(SALU_CYCLE_1)
	s_cmp_lt_i32 s4, 1
	s_cbranch_scc1 .LBB88_23
; %bb.8:
	s_clause 0x1
	s_load_b64 s[20:21], s[0:1], 0x20
	s_load_b256 s[12:19], s[0:1], 0x0
	s_ashr_i32 s35, s34, 31
	v_dual_mov_b32 v7, 0 :: v_dual_and_b32 v6, 31, v0
	s_lshl_b64 s[24:25], s[34:35], 2
	v_lshrrev_b32_e32 v4, 3, v0
	v_and_b32_e32 v5, 15, v0
	v_lshlrev_b32_e32 v1, 5, v0
	v_cmp_eq_u32_e32 vcc_lo, 0, v0
	v_lshlrev_b32_e32 v3, 4, v0
	v_cmp_eq_u32_e64 s0, 31, v6
	v_and_b32_e32 v4, 0x7c, v4
	v_lshlrev_b32_e32 v6, 2, v6
	s_mov_b32 s23, -1
	s_mov_b32 s11, s3
	s_mov_b32 s33, 0
	;; [unrolled: 1-line block ×3, first 2 shown]
                                        ; implicit-def: $vgpr10
                                        ; implicit-def: $vgpr15
                                        ; implicit-def: $vgpr11
                                        ; implicit-def: $vgpr17
                                        ; implicit-def: $vgpr12
                                        ; implicit-def: $vgpr18
                                        ; implicit-def: $vgpr13
                                        ; implicit-def: $vgpr20
                                        ; implicit-def: $vgpr14
                                        ; implicit-def: $vgpr22
                                        ; implicit-def: $vgpr16
                                        ; implicit-def: $vgpr23
                                        ; implicit-def: $vgpr19
                                        ; implicit-def: $vgpr24
                                        ; implicit-def: $vgpr21
                                        ; implicit-def: $vgpr25
	s_waitcnt lgkmcnt(0)
	s_add_u32 s24, s20, s24
	s_addc_u32 s1, s21, s25
	s_abs_i32 s35, s6
	s_abs_i32 s40, s5
	v_cvt_f32_u32_e32 v8, s35
	v_cvt_f32_u32_e32 v9, s40
	s_add_i32 s20, s3, 3
	s_add_i32 s2, s3, 15
	s_ashr_i32 s21, s20, 31
	v_rcp_iflag_f32_e32 v8, v8
	v_rcp_iflag_f32_e32 v9, v9
	v_lshlrev_b32_e32 v2, 6, v0
	s_and_b32 s25, s1, 0xffff
	s_ashr_i32 s1, s2, 31
	s_lshr_b32 s21, s21, 30
	s_lshr_b32 s1, s1, 28
	s_add_i32 s20, s20, s21
	s_add_i32 s2, s2, s1
	s_sub_i32 s28, 0, s35
	s_waitcnt_depctr 0xfff
	v_dual_mul_f32 v8, 0x4f7ffffe, v8 :: v_dual_mul_f32 v9, 0x4f7ffffe, v9
	s_sub_i32 s29, 0, s40
	s_ashr_i32 s1, s2, 4
	s_lshl_b32 s22, s4, 2
	s_delay_alu instid0(VALU_DEP_1)
	v_cvt_u32_f32_e32 v8, v8
	v_cvt_u32_f32_e32 v9, v9
	v_cmp_gt_u32_e64 s1, s1, v0
	v_mov_b32_e32 v0, 0
	s_and_b32 s38, s20, -4
	v_readfirstlane_b32 s21, v8
	v_readfirstlane_b32 s31, v9
	v_dual_mov_b32 v8, 0xc3e00000 :: v_dual_lshlrev_b32 v5, 2, v5
	v_mov_b32_e32 v9, 0x43e00000
	s_delay_alu instid0(VALU_DEP_4) | instskip(NEXT) | instid1(VALU_DEP_3)
	s_mul_i32 s28, s28, s21
	s_mul_i32 s29, s29, s31
	s_mul_hi_u32 s2, s21, s28
	s_mul_hi_u32 s20, s31, s29
	s_lshl_b32 s30, s3, 1
	s_ashr_i32 s41, s6, 31
	s_ashr_i32 s42, s5, 31
	s_mov_b64 s[26:27], s[22:23]
	s_lshl_b32 s22, s3, 2
	s_add_i32 s43, s21, s2
	s_add_i32 s44, s31, s20
	s_mov_b32 s28, s23
	s_branch .LBB88_11
.LBB88_9:                               ;   in Loop: Header=BB88_11 Depth=1
	s_or_b32 exec_lo, exec_lo, s2
.LBB88_10:                              ;   in Loop: Header=BB88_11 Depth=1
	v_add_nc_u32_e32 v6, 4, v6
	s_add_i32 s33, s33, 1
	s_delay_alu instid0(SALU_CYCLE_1)
	s_cmp_eq_u32 s4, s33
	s_cbranch_scc1 .LBB88_23
.LBB88_11:                              ; =>This Inner Loop Header: Depth=1
	s_and_b32 s2, s33, 31
	s_delay_alu instid0(SALU_CYCLE_1)
	s_cmp_lg_u32 s2, 0
	s_cbranch_scc1 .LBB88_14
; %bb.12:                               ;   in Loop: Header=BB88_11 Depth=1
	buffer_load_b32 v7, v6, s[24:27], 0 offen
	s_cmp_lg_u32 s33, 0
	s_waitcnt vmcnt(3) expcnt(0) lgkmcnt(55)
	s_cbranch_scc1 .LBB88_14
; %bb.13:                               ;   in Loop: Header=BB88_11 Depth=1
	s_waitcnt vmcnt(0)
	s_waitcnt_vscnt null, 0x0
	s_barrier
	buffer_gl0_inv
.LBB88_14:                              ;   in Loop: Header=BB88_11 Depth=1
	s_waitcnt vmcnt(0)
	v_readlane_b32 s2, v7, s2
	s_delay_alu instid0(VALU_DEP_1)
	s_cmp_lt_i32 s2, 0
	s_cbranch_scc1 .LBB88_10
; %bb.15:                               ;   in Loop: Header=BB88_11 Depth=1
	s_add_i32 s36, s34, s33
	s_delay_alu instid0(SALU_CYCLE_1)
	s_abs_i32 s37, s36
	s_ashr_i32 s39, s36, 31
	s_mul_hi_u32 s20, s37, s43
	s_xor_b32 s29, s39, s41
	s_mul_i32 s21, s20, s35
	s_add_i32 s31, s20, 1
	s_sub_i32 s21, s37, s21
	s_delay_alu instid0(SALU_CYCLE_1)
	s_sub_i32 s46, s21, s35
	s_cmp_ge_u32 s21, s35
	s_cselect_b32 s20, s31, s20
	s_cselect_b32 s21, s46, s21
	s_add_i32 s31, s20, 1
	s_cmp_ge_u32 s21, s35
	s_cselect_b32 s20, s31, s20
	s_delay_alu instid0(SALU_CYCLE_1) | instskip(NEXT) | instid1(SALU_CYCLE_1)
	s_xor_b32 s20, s20, s29
	s_sub_i32 s20, s20, s29
	s_delay_alu instid0(SALU_CYCLE_1) | instskip(SKIP_2) | instid1(SALU_CYCLE_1)
	s_mul_i32 s21, s20, s6
	s_mul_i32 s20, s20, s7
	s_sub_i32 s21, s36, s21
	s_mul_i32 s21, s21, s8
	s_delay_alu instid0(SALU_CYCLE_1) | instskip(NEXT) | instid1(SALU_CYCLE_1)
	s_add_i32 s20, s21, s20
	s_cmp_eq_u32 s20, s28
	s_cbranch_scc1 .LBB88_17
; %bb.16:                               ;   in Loop: Header=BB88_11 Depth=1
	s_mul_hi_i32 s29, s20, s11
	s_mul_i32 s28, s20, s11
	s_mov_b32 s31, s23
	s_lshl_b64 s[28:29], s[28:29], 1
	s_delay_alu instid0(SALU_CYCLE_1) | instskip(SKIP_1) | instid1(SALU_CYCLE_1)
	s_add_u32 s28, s16, s28
	s_addc_u32 s21, s17, s29
	s_and_b32 s29, s21, 0xffff
	s_clause 0x1
	buffer_load_b128 v[11:14], v1, s[28:31], 0 offen
	buffer_load_b128 v[19:22], v1, s[28:31], 16 offen
	s_mov_b32 s28, s20
	s_waitcnt vmcnt(1)
	v_lshrrev_b32_e32 v15, 16, v11
	v_lshrrev_b32_e32 v17, 16, v12
	;; [unrolled: 1-line block ×4, first 2 shown]
	s_waitcnt vmcnt(0)
	v_lshrrev_b32_e32 v24, 16, v19
	v_lshrrev_b32_e32 v25, 16, v20
	;; [unrolled: 1-line block ×4, first 2 shown]
	v_cvt_f32_f16_e32 v10, v11
	v_cvt_f32_f16_e32 v11, v12
	;; [unrolled: 1-line block ×16, first 2 shown]
.LBB88_17:                              ;   in Loop: Header=BB88_11 Depth=1
	s_mul_i32 s20, s2, s3
	s_delay_alu instid0(SALU_CYCLE_1) | instskip(NEXT) | instid1(SALU_CYCLE_1)
	s_ashr_i32 s21, s20, 31
	s_lshl_b64 s[20:21], s[20:21], 2
	s_delay_alu instid0(SALU_CYCLE_1) | instskip(SKIP_1) | instid1(SALU_CYCLE_1)
	s_add_u32 s20, s18, s20
	s_addc_u32 s2, s19, s21
	s_and_b32 s21, s2, 0xffff
	s_clause 0x3
	buffer_load_b128 v[26:29], v2, s[20:23], 0 offen
	buffer_load_b128 v[30:33], v2, s[20:23], 16 offen
	;; [unrolled: 1-line block ×4, first 2 shown]
	s_waitcnt vmcnt(3)
	v_dual_mul_f32 v40, v10, v26 :: v_dual_mul_f32 v41, v15, v27
	v_dual_mul_f32 v38, v11, v28 :: v_dual_mul_f32 v39, v17, v29
	s_waitcnt vmcnt(2)
	v_dual_mul_f32 v36, v12, v30 :: v_dual_mul_f32 v37, v18, v31
	s_delay_alu instid0(VALU_DEP_3) | instskip(SKIP_3) | instid1(VALU_DEP_3)
	v_max3_f32 v26, |v40|, 0x2edbe6ff, |v41|
	v_dual_mul_f32 v34, v13, v32 :: v_dual_mul_f32 v35, v20, v33
	s_waitcnt vmcnt(1)
	v_dual_mul_f32 v33, v14, v42 :: v_dual_mul_f32 v30, v16, v44
	v_max3_f32 v26, v26, |v38|, |v39|
	v_dual_mul_f32 v32, v22, v43 :: v_dual_mul_f32 v31, v23, v45
	s_waitcnt vmcnt(0)
	v_dual_mul_f32 v27, v19, v46 :: v_dual_mul_f32 v28, v24, v47
	s_delay_alu instid0(VALU_DEP_3) | instskip(SKIP_1) | instid1(VALU_DEP_2)
	v_max3_f32 v26, v26, |v36|, |v37|
	v_mul_f32_e32 v29, v25, v49
	v_max3_f32 v26, v26, |v34|, |v35|
	s_delay_alu instid0(VALU_DEP_1) | instskip(NEXT) | instid1(VALU_DEP_1)
	v_max3_f32 v26, v26, |v33|, |v32|
	v_max3_f32 v42, v26, |v30|, |v31|
	v_mul_f32_e32 v26, v21, v48
	s_delay_alu instid0(VALU_DEP_2) | instskip(NEXT) | instid1(VALU_DEP_1)
	v_max3_f32 v42, v42, |v27|, |v28|
	v_max3_f32 v42, v42, |v26|, |v29|
	s_delay_alu instid0(VALU_DEP_1) | instskip(NEXT) | instid1(VALU_DEP_1)
	v_mov_b32_dpp v43, v42 quad_perm:[1,0,3,2] row_mask:0xf bank_mask:0xf
	v_cmp_gt_f32_e64 s2, v42, v43
	s_delay_alu instid0(VALU_DEP_1) | instskip(NEXT) | instid1(VALU_DEP_1)
	v_cndmask_b32_e64 v42, v43, v42, s2
	v_mov_b32_dpp v43, v42 quad_perm:[2,3,0,1] row_mask:0xf bank_mask:0xf
	s_delay_alu instid0(VALU_DEP_1) | instskip(NEXT) | instid1(VALU_DEP_1)
	v_cmp_gt_f32_e64 s2, v42, v43
	v_cndmask_b32_e64 v42, v43, v42, s2
	s_delay_alu instid0(VALU_DEP_1) | instskip(NEXT) | instid1(VALU_DEP_1)
	v_mov_b32_dpp v43, v42 row_xmask:7 row_mask:0xf bank_mask:0xf
	v_cmp_gt_f32_e64 s2, v42, v43
	s_delay_alu instid0(VALU_DEP_1) | instskip(NEXT) | instid1(VALU_DEP_1)
	v_cndmask_b32_e64 v42, v43, v42, s2
	v_mov_b32_dpp v43, v42 row_xmask:15 row_mask:0xf bank_mask:0xf
	s_delay_alu instid0(VALU_DEP_1)
	v_cmp_gt_f32_e64 s2, v42, v43
	s_and_saveexec_b32 s20, s0
	s_cbranch_execz .LBB88_19
; %bb.18:                               ;   in Loop: Header=BB88_11 Depth=1
	s_delay_alu instid0(VALU_DEP_1) | instskip(NEXT) | instid1(VALU_DEP_1)
	v_cndmask_b32_e64 v42, v43, v42, s2
	v_permlanex16_b32 v43, v42, s45, 0xfedcba98 op_sel:[1,1]
	s_delay_alu instid0(VALU_DEP_1) | instskip(NEXT) | instid1(VALU_DEP_1)
	v_cmp_gt_f32_e64 s2, v42, v43
	v_cndmask_b32_e64 v42, v43, v42, s2
	ds_store_b32 v4, v42
.LBB88_19:                              ;   in Loop: Header=BB88_11 Depth=1
	s_or_b32 exec_lo, exec_lo, s20
	s_waitcnt lgkmcnt(0)
	s_waitcnt_vscnt null, 0x0
	s_barrier
	buffer_gl0_inv
	ds_load_b32 v42, v5
	s_mul_hi_u32 s20, s37, s44
	s_xor_b32 s29, s39, s42
	s_mul_i32 s21, s20, s40
	s_waitcnt lgkmcnt(0)
	v_mov_b32_dpp v43, v42 quad_perm:[1,0,3,2] row_mask:0xf bank_mask:0xf
	s_delay_alu instid0(VALU_DEP_1) | instskip(NEXT) | instid1(VALU_DEP_1)
	v_cmp_gt_f32_e64 s2, v42, v43
	v_cndmask_b32_e64 v42, v43, v42, s2
	s_delay_alu instid0(VALU_DEP_1) | instskip(NEXT) | instid1(VALU_DEP_1)
	v_mov_b32_dpp v43, v42 quad_perm:[2,3,0,1] row_mask:0xf bank_mask:0xf
	v_cmp_gt_f32_e64 s2, v42, v43
	s_delay_alu instid0(VALU_DEP_1)
	v_cndmask_b32_e64 v42, v43, v42, s2
	s_sub_i32 s2, s37, s21
	s_add_i32 s21, s20, 1
	s_sub_i32 s31, s2, s40
	s_cmp_ge_u32 s2, s40
	v_mov_b32_dpp v43, v42 row_xmask:7 row_mask:0xf bank_mask:0xf
	s_cselect_b32 s20, s21, s20
	s_cselect_b32 s21, s31, s2
	s_delay_alu instid0(VALU_DEP_1) | instskip(NEXT) | instid1(VALU_DEP_1)
	v_cmp_gt_f32_e64 s2, v42, v43
	v_cndmask_b32_e64 v42, v43, v42, s2
	s_add_i32 s2, s20, 1
	s_cmp_ge_u32 s21, s40
	s_cselect_b32 s2, s2, s20
	s_delay_alu instid0(VALU_DEP_1) | instskip(SKIP_1) | instid1(SALU_CYCLE_1)
	v_mov_b32_dpp v43, v42 row_xmask:15 row_mask:0xf bank_mask:0xf
	s_xor_b32 s2, s2, s29
	s_sub_i32 s20, s2, s29
	s_delay_alu instid0(VALU_DEP_1) | instskip(NEXT) | instid1(VALU_DEP_1)
	v_cmp_gt_f32_e64 s2, v42, v43
	v_cndmask_b32_e64 v42, v43, v42, s2
	s_mul_i32 s2, s20, s5
	s_mul_i32 s20, s20, s9
	s_sub_i32 s2, s36, s2
	s_delay_alu instid0(VALU_DEP_1) | instskip(SKIP_1) | instid1(SALU_CYCLE_1)
	v_mul_f32_e32 v42, 0x3b124925, v42
	s_mul_i32 s2, s2, s10
	s_add_i32 s20, s2, s20
	s_and_saveexec_b32 s2, vcc_lo
	s_cbranch_execz .LBB88_21
; %bb.20:                               ;   in Loop: Header=BB88_11 Depth=1
	s_ashr_i32 s21, s20, 31
	s_delay_alu instid0(SALU_CYCLE_1) | instskip(NEXT) | instid1(SALU_CYCLE_1)
	s_lshl_b64 s[36:37], s[20:21], 2
	s_add_u32 s36, s14, s36
	s_addc_u32 s37, s15, s37
	global_store_b32 v0, v42, s[36:37]
.LBB88_21:                              ;   in Loop: Header=BB88_11 Depth=1
	s_or_b32 exec_lo, exec_lo, s2
	s_and_saveexec_b32 s2, s1
	s_cbranch_execz .LBB88_9
; %bb.22:                               ;   in Loop: Header=BB88_11 Depth=1
	v_rcp_f32_e32 v42, v42
	s_mul_i32 s21, s20, s11
	s_mul_hi_i32 s20, s20, s11
	s_add_u32 s36, s12, s21
	s_addc_u32 s20, s13, s20
	s_mov_b32 s39, s23
	s_and_b32 s37, s20, 0xffff
	s_waitcnt_depctr 0xfff
	v_mul_f32_e32 v40, v40, v42
	v_mul_f32_e32 v41, v41, v42
	;; [unrolled: 1-line block ×5, first 2 shown]
	;;#ASMSTART
	v_med3_f32 v40, v40, v8, v9
v_med3_f32 v41, v41, v8, v9
v_cvt_pk_fp8_f32 v33, v40, v41
	;;#ASMEND
	;;#ASMSTART
	v_med3_f32 v38, v38, v8, v9
v_med3_f32 v39, v39, v8, v9
v_cvt_pk_fp8_f32 v40, v38, v39
	;;#ASMEND
	v_perm_b32 v38, v40, v33, 0x5040100
	v_mul_f32_e32 v36, v36, v42
	v_mul_f32_e32 v37, v37, v42
	;; [unrolled: 1-line block ×5, first 2 shown]
	;;#ASMSTART
	v_med3_f32 v36, v36, v8, v9
v_med3_f32 v37, v37, v8, v9
v_cvt_pk_fp8_f32 v32, v36, v37
	;;#ASMEND
	;;#ASMSTART
	v_med3_f32 v34, v34, v8, v9
v_med3_f32 v35, v35, v8, v9
v_cvt_pk_fp8_f32 v33, v34, v35
	;;#ASMEND
	v_mul_f32_e32 v30, v30, v42
	v_mul_f32_e32 v31, v31, v42
	;; [unrolled: 1-line block ×4, first 2 shown]
	;;#ASMSTART
	v_med3_f32 v43, v43, v8, v9
v_med3_f32 v39, v39, v8, v9
v_cvt_pk_fp8_f32 v34, v43, v39
	;;#ASMEND
	;;#ASMSTART
	v_med3_f32 v30, v30, v8, v9
v_med3_f32 v31, v31, v8, v9
v_cvt_pk_fp8_f32 v35, v30, v31
	;;#ASMEND
	v_mul_f32_e32 v26, v26, v42
	v_mul_f32_e32 v29, v29, v42
	;;#ASMSTART
	v_med3_f32 v27, v27, v8, v9
v_med3_f32 v28, v28, v8, v9
v_cvt_pk_fp8_f32 v30, v27, v28
	;;#ASMEND
	v_perm_b32 v33, v32, v33, 0x1000504
	v_perm_b32 v32, v38, v40, 0x1060504
	;; [unrolled: 1-line block ×3, first 2 shown]
	;;#ASMSTART
	v_med3_f32 v26, v26, v8, v9
v_med3_f32 v29, v29, v8, v9
v_cvt_pk_fp8_f32 v27, v26, v29
	;;#ASMEND
	v_perm_b32 v35, v30, v27, 0x1000504
	buffer_store_b128 v[32:35], v3, s[36:39], 0 offen
	;;#ASMSTART
	s_nop 0
	;;#ASMEND
	s_branch .LBB88_9
.LBB88_23:
	s_nop 0
	s_sendmsg sendmsg(MSG_DEALLOC_VGPRS)
	s_endpgm
.LBB88_24:
                                        ; implicit-def: $sgpr4
	s_branch .LBB88_2
	.section	.rodata,"a",@progbits
	.p2align	6, 0x0
	.amdhsa_kernel _ZN5aiter36smooth_per_token_scaled_quant_kernelIDF16_DB8_Li512ELi16ELb1ELb1ELb0ELi1024EEEvPT0_PfPT_S4_PiS7_iiPKiiiiiiiii
		.amdhsa_group_segment_fixed_size 64
		.amdhsa_private_segment_fixed_size 0
		.amdhsa_kernarg_size 96
		.amdhsa_user_sgpr_count 15
		.amdhsa_user_sgpr_dispatch_ptr 0
		.amdhsa_user_sgpr_queue_ptr 0
		.amdhsa_user_sgpr_kernarg_segment_ptr 1
		.amdhsa_user_sgpr_dispatch_id 0
		.amdhsa_user_sgpr_private_segment_size 0
		.amdhsa_wavefront_size32 1
		.amdhsa_uses_dynamic_stack 0
		.amdhsa_enable_private_segment 0
		.amdhsa_system_sgpr_workgroup_id_x 1
		.amdhsa_system_sgpr_workgroup_id_y 0
		.amdhsa_system_sgpr_workgroup_id_z 0
		.amdhsa_system_sgpr_workgroup_info 0
		.amdhsa_system_vgpr_workitem_id 0
		.amdhsa_next_free_vgpr 50
		.amdhsa_next_free_sgpr 47
		.amdhsa_reserve_vcc 1
		.amdhsa_float_round_mode_32 0
		.amdhsa_float_round_mode_16_64 0
		.amdhsa_float_denorm_mode_32 3
		.amdhsa_float_denorm_mode_16_64 3
		.amdhsa_dx10_clamp 1
		.amdhsa_ieee_mode 1
		.amdhsa_fp16_overflow 0
		.amdhsa_workgroup_processor_mode 1
		.amdhsa_memory_ordered 1
		.amdhsa_forward_progress 0
		.amdhsa_shared_vgpr_count 0
		.amdhsa_exception_fp_ieee_invalid_op 0
		.amdhsa_exception_fp_denorm_src 0
		.amdhsa_exception_fp_ieee_div_zero 0
		.amdhsa_exception_fp_ieee_overflow 0
		.amdhsa_exception_fp_ieee_underflow 0
		.amdhsa_exception_fp_ieee_inexact 0
		.amdhsa_exception_int_div_zero 0
	.end_amdhsa_kernel
	.section	.text._ZN5aiter36smooth_per_token_scaled_quant_kernelIDF16_DB8_Li512ELi16ELb1ELb1ELb0ELi1024EEEvPT0_PfPT_S4_PiS7_iiPKiiiiiiiii,"axG",@progbits,_ZN5aiter36smooth_per_token_scaled_quant_kernelIDF16_DB8_Li512ELi16ELb1ELb1ELb0ELi1024EEEvPT0_PfPT_S4_PiS7_iiPKiiiiiiiii,comdat
.Lfunc_end88:
	.size	_ZN5aiter36smooth_per_token_scaled_quant_kernelIDF16_DB8_Li512ELi16ELb1ELb1ELb0ELi1024EEEvPT0_PfPT_S4_PiS7_iiPKiiiiiiiii, .Lfunc_end88-_ZN5aiter36smooth_per_token_scaled_quant_kernelIDF16_DB8_Li512ELi16ELb1ELb1ELb0ELi1024EEEvPT0_PfPT_S4_PiS7_iiPKiiiiiiiii
                                        ; -- End function
	.section	.AMDGPU.csdata,"",@progbits
; Kernel info:
; codeLenInByte = 2396
; NumSgprs: 49
; NumVgprs: 50
; ScratchSize: 0
; MemoryBound: 0
; FloatMode: 240
; IeeeMode: 1
; LDSByteSize: 64 bytes/workgroup (compile time only)
; SGPRBlocks: 6
; VGPRBlocks: 6
; NumSGPRsForWavesPerEU: 49
; NumVGPRsForWavesPerEU: 50
; Occupancy: 16
; WaveLimiterHint : 0
; COMPUTE_PGM_RSRC2:SCRATCH_EN: 0
; COMPUTE_PGM_RSRC2:USER_SGPR: 15
; COMPUTE_PGM_RSRC2:TRAP_HANDLER: 0
; COMPUTE_PGM_RSRC2:TGID_X_EN: 1
; COMPUTE_PGM_RSRC2:TGID_Y_EN: 0
; COMPUTE_PGM_RSRC2:TGID_Z_EN: 0
; COMPUTE_PGM_RSRC2:TIDIG_COMP_CNT: 0
	.section	.text._ZN5aiter36smooth_per_token_scaled_quant_kernelItDB8_Li512ELi16ELb1ELb1ELb0ELi1024EEEvPT0_PfPT_S4_PiS7_iiPKiiiiiiiii,"axG",@progbits,_ZN5aiter36smooth_per_token_scaled_quant_kernelItDB8_Li512ELi16ELb1ELb1ELb0ELi1024EEEvPT0_PfPT_S4_PiS7_iiPKiiiiiiiii,comdat
	.protected	_ZN5aiter36smooth_per_token_scaled_quant_kernelItDB8_Li512ELi16ELb1ELb1ELb0ELi1024EEEvPT0_PfPT_S4_PiS7_iiPKiiiiiiiii ; -- Begin function _ZN5aiter36smooth_per_token_scaled_quant_kernelItDB8_Li512ELi16ELb1ELb1ELb0ELi1024EEEvPT0_PfPT_S4_PiS7_iiPKiiiiiiiii
	.globl	_ZN5aiter36smooth_per_token_scaled_quant_kernelItDB8_Li512ELi16ELb1ELb1ELb0ELi1024EEEvPT0_PfPT_S4_PiS7_iiPKiiiiiiiii
	.p2align	8
	.type	_ZN5aiter36smooth_per_token_scaled_quant_kernelItDB8_Li512ELi16ELb1ELb1ELb0ELi1024EEEvPT0_PfPT_S4_PiS7_iiPKiiiiiiiii,@function
_ZN5aiter36smooth_per_token_scaled_quant_kernelItDB8_Li512ELi16ELb1ELb1ELb0ELi1024EEEvPT0_PfPT_S4_PiS7_iiPKiiiiiiiii: ; @_ZN5aiter36smooth_per_token_scaled_quant_kernelItDB8_Li512ELi16ELb1ELb1ELb0ELi1024EEEvPT0_PfPT_S4_PiS7_iiPKiiiiiiiii
; %bb.0:
	s_clause 0x1
	s_load_b64 s[2:3], s[0:1], 0x38
	s_load_b256 s[4:11], s[0:1], 0x40
	s_waitcnt lgkmcnt(0)
	s_cmp_lg_u64 s[2:3], 0
	s_cbranch_scc0 .LBB89_24
; %bb.1:
	s_load_b32 s2, s[2:3], 0x0
	s_waitcnt lgkmcnt(0)
	s_mul_i32 s4, s2, s4
	s_cbranch_execnz .LBB89_3
.LBB89_2:
	s_mul_i32 s4, s6, s5
.LBB89_3:
	s_load_b64 s[2:3], s[0:1], 0x30
	s_abs_i32 s14, s4
	s_waitcnt lgkmcnt(0)
	s_abs_i32 s11, s2
	s_delay_alu instid0(SALU_CYCLE_1) | instskip(SKIP_1) | instid1(VALU_DEP_1)
	v_cvt_f32_u32_e32 v1, s11
	s_sub_i32 s13, 0, s11
	v_rcp_iflag_f32_e32 v1, v1
	s_waitcnt_depctr 0xfff
	v_mul_f32_e32 v1, 0x4f7ffffe, v1
	s_delay_alu instid0(VALU_DEP_1) | instskip(NEXT) | instid1(VALU_DEP_1)
	v_cvt_u32_f32_e32 v1, v1
	v_readfirstlane_b32 s12, v1
	s_delay_alu instid0(VALU_DEP_1) | instskip(NEXT) | instid1(SALU_CYCLE_1)
	s_mul_i32 s13, s13, s12
	s_mul_hi_u32 s13, s12, s13
	s_delay_alu instid0(SALU_CYCLE_1) | instskip(SKIP_4) | instid1(SALU_CYCLE_1)
	s_add_i32 s12, s12, s13
	s_xor_b32 s13, s4, s2
	s_mul_hi_u32 s12, s14, s12
	s_ashr_i32 s13, s13, 31
	s_mul_i32 s16, s12, s11
	s_sub_i32 s14, s14, s16
	s_add_i32 s16, s12, 1
	s_sub_i32 s17, s14, s11
	s_cmp_ge_u32 s14, s11
	s_cselect_b32 s12, s16, s12
	s_cselect_b32 s14, s17, s14
	s_add_i32 s16, s12, 1
	s_cmp_ge_u32 s14, s11
	s_cselect_b32 s11, s16, s12
	s_mov_b32 s12, 0
	s_xor_b32 s11, s11, s13
	s_delay_alu instid0(SALU_CYCLE_1) | instskip(NEXT) | instid1(SALU_CYCLE_1)
	s_sub_i32 s11, s11, s13
	s_mul_i32 s2, s11, s2
	s_delay_alu instid0(SALU_CYCLE_1) | instskip(NEXT) | instid1(SALU_CYCLE_1)
	s_sub_i32 s13, s4, s2
	s_cmp_lt_u32 s15, s13
	s_cselect_b32 s2, -1, 0
	s_add_i32 s4, s11, 1
	s_cmp_ge_u32 s15, s13
	s_cbranch_scc0 .LBB89_5
; %bb.4:
	s_sub_i32 s14, s15, s13
	s_mul_i32 s13, s13, s4
	s_mul_i32 s14, s14, s11
	s_delay_alu instid0(SALU_CYCLE_1)
	s_add_i32 s34, s14, s13
	s_and_not1_b32 vcc_lo, exec_lo, s12
	s_cbranch_vccz .LBB89_6
	s_branch .LBB89_7
.LBB89_5:
                                        ; implicit-def: $sgpr34
.LBB89_6:
	s_mul_i32 s34, s4, s15
.LBB89_7:
	v_cndmask_b32_e64 v1, 0, 1, s2
	s_delay_alu instid0(VALU_DEP_1) | instskip(NEXT) | instid1(VALU_DEP_1)
	v_readfirstlane_b32 s2, v1
	s_add_i32 s4, s11, s2
	s_delay_alu instid0(SALU_CYCLE_1)
	s_cmp_lt_i32 s4, 1
	s_cbranch_scc1 .LBB89_23
; %bb.8:
	s_clause 0x1
	s_load_b64 s[20:21], s[0:1], 0x20
	s_load_b256 s[12:19], s[0:1], 0x0
	s_ashr_i32 s35, s34, 31
	v_dual_mov_b32 v7, 0 :: v_dual_and_b32 v6, 31, v0
	s_lshl_b64 s[24:25], s[34:35], 2
	v_lshrrev_b32_e32 v4, 3, v0
	v_and_b32_e32 v5, 15, v0
	v_lshlrev_b32_e32 v1, 5, v0
	v_cmp_eq_u32_e32 vcc_lo, 0, v0
	v_lshlrev_b32_e32 v3, 4, v0
	v_cmp_eq_u32_e64 s0, 31, v6
	v_and_b32_e32 v4, 0x7c, v4
	v_lshlrev_b32_e32 v6, 2, v6
	s_mov_b32 s23, -1
	s_mov_b32 s11, s3
	s_mov_b32 s33, 0
	;; [unrolled: 1-line block ×3, first 2 shown]
                                        ; implicit-def: $vgpr10
                                        ; implicit-def: $vgpr11
                                        ; implicit-def: $vgpr12
                                        ; implicit-def: $vgpr13
                                        ; implicit-def: $vgpr14
                                        ; implicit-def: $vgpr15
                                        ; implicit-def: $vgpr16
                                        ; implicit-def: $vgpr17
                                        ; implicit-def: $vgpr18
                                        ; implicit-def: $vgpr19
                                        ; implicit-def: $vgpr20
                                        ; implicit-def: $vgpr21
                                        ; implicit-def: $vgpr22
                                        ; implicit-def: $vgpr23
                                        ; implicit-def: $vgpr24
                                        ; implicit-def: $vgpr25
	s_waitcnt lgkmcnt(0)
	s_add_u32 s24, s20, s24
	s_addc_u32 s1, s21, s25
	s_abs_i32 s35, s6
	s_abs_i32 s40, s5
	v_cvt_f32_u32_e32 v8, s35
	v_cvt_f32_u32_e32 v9, s40
	s_add_i32 s20, s3, 3
	s_add_i32 s2, s3, 15
	s_ashr_i32 s21, s20, 31
	v_rcp_iflag_f32_e32 v8, v8
	v_rcp_iflag_f32_e32 v9, v9
	v_lshlrev_b32_e32 v2, 6, v0
	s_and_b32 s25, s1, 0xffff
	s_ashr_i32 s1, s2, 31
	s_lshr_b32 s21, s21, 30
	s_lshr_b32 s1, s1, 28
	s_add_i32 s20, s20, s21
	s_add_i32 s2, s2, s1
	s_sub_i32 s28, 0, s35
	s_waitcnt_depctr 0xfff
	v_dual_mul_f32 v8, 0x4f7ffffe, v8 :: v_dual_mul_f32 v9, 0x4f7ffffe, v9
	s_sub_i32 s29, 0, s40
	s_ashr_i32 s1, s2, 4
	s_lshl_b32 s22, s4, 2
	s_delay_alu instid0(VALU_DEP_1)
	v_cvt_u32_f32_e32 v8, v8
	v_cvt_u32_f32_e32 v9, v9
	v_cmp_gt_u32_e64 s1, s1, v0
	v_mov_b32_e32 v0, 0
	s_and_b32 s38, s20, -4
	v_readfirstlane_b32 s21, v8
	v_readfirstlane_b32 s31, v9
	v_dual_mov_b32 v8, 0xc3e00000 :: v_dual_lshlrev_b32 v5, 2, v5
	v_mov_b32_e32 v9, 0x43e00000
	s_delay_alu instid0(VALU_DEP_4) | instskip(NEXT) | instid1(VALU_DEP_3)
	s_mul_i32 s28, s28, s21
	s_mul_i32 s29, s29, s31
	s_mul_hi_u32 s2, s21, s28
	s_mul_hi_u32 s20, s31, s29
	s_lshl_b32 s30, s3, 1
	s_ashr_i32 s41, s6, 31
	s_ashr_i32 s42, s5, 31
	s_mov_b64 s[26:27], s[22:23]
	s_lshl_b32 s22, s3, 2
	s_add_i32 s43, s21, s2
	s_add_i32 s44, s31, s20
	s_mov_b32 s28, s23
	s_branch .LBB89_11
.LBB89_9:                               ;   in Loop: Header=BB89_11 Depth=1
	s_or_b32 exec_lo, exec_lo, s2
.LBB89_10:                              ;   in Loop: Header=BB89_11 Depth=1
	v_add_nc_u32_e32 v6, 4, v6
	s_add_i32 s33, s33, 1
	s_delay_alu instid0(SALU_CYCLE_1)
	s_cmp_eq_u32 s4, s33
	s_cbranch_scc1 .LBB89_23
.LBB89_11:                              ; =>This Inner Loop Header: Depth=1
	s_and_b32 s2, s33, 31
	s_delay_alu instid0(SALU_CYCLE_1)
	s_cmp_lg_u32 s2, 0
	s_cbranch_scc1 .LBB89_14
; %bb.12:                               ;   in Loop: Header=BB89_11 Depth=1
	buffer_load_b32 v7, v6, s[24:27], 0 offen
	s_cmp_lg_u32 s33, 0
	s_waitcnt vmcnt(3) expcnt(0) lgkmcnt(55)
	s_cbranch_scc1 .LBB89_14
; %bb.13:                               ;   in Loop: Header=BB89_11 Depth=1
	s_waitcnt vmcnt(0)
	s_waitcnt_vscnt null, 0x0
	s_barrier
	buffer_gl0_inv
.LBB89_14:                              ;   in Loop: Header=BB89_11 Depth=1
	s_waitcnt vmcnt(0)
	v_readlane_b32 s2, v7, s2
	s_delay_alu instid0(VALU_DEP_1)
	s_cmp_lt_i32 s2, 0
	s_cbranch_scc1 .LBB89_10
; %bb.15:                               ;   in Loop: Header=BB89_11 Depth=1
	s_add_i32 s36, s34, s33
	s_delay_alu instid0(SALU_CYCLE_1)
	s_abs_i32 s37, s36
	s_ashr_i32 s39, s36, 31
	s_mul_hi_u32 s20, s37, s43
	s_xor_b32 s29, s39, s41
	s_mul_i32 s21, s20, s35
	s_add_i32 s31, s20, 1
	s_sub_i32 s21, s37, s21
	s_delay_alu instid0(SALU_CYCLE_1)
	s_sub_i32 s46, s21, s35
	s_cmp_ge_u32 s21, s35
	s_cselect_b32 s20, s31, s20
	s_cselect_b32 s21, s46, s21
	s_add_i32 s31, s20, 1
	s_cmp_ge_u32 s21, s35
	s_cselect_b32 s20, s31, s20
	s_delay_alu instid0(SALU_CYCLE_1) | instskip(NEXT) | instid1(SALU_CYCLE_1)
	s_xor_b32 s20, s20, s29
	s_sub_i32 s20, s20, s29
	s_delay_alu instid0(SALU_CYCLE_1) | instskip(SKIP_2) | instid1(SALU_CYCLE_1)
	s_mul_i32 s21, s20, s6
	s_mul_i32 s20, s20, s7
	s_sub_i32 s21, s36, s21
	s_mul_i32 s21, s21, s8
	s_delay_alu instid0(SALU_CYCLE_1) | instskip(NEXT) | instid1(SALU_CYCLE_1)
	s_add_i32 s20, s21, s20
	s_cmp_eq_u32 s20, s28
	s_cbranch_scc1 .LBB89_17
; %bb.16:                               ;   in Loop: Header=BB89_11 Depth=1
	s_mul_hi_i32 s29, s20, s11
	s_mul_i32 s28, s20, s11
	s_mov_b32 s31, s23
	s_lshl_b64 s[28:29], s[28:29], 1
	s_delay_alu instid0(SALU_CYCLE_1) | instskip(SKIP_1) | instid1(SALU_CYCLE_1)
	s_add_u32 s28, s16, s28
	s_addc_u32 s21, s17, s29
	s_and_b32 s29, s21, 0xffff
	s_clause 0x1
	buffer_load_b128 v[10:13], v1, s[28:31], 0 offen
	buffer_load_b128 v[14:17], v1, s[28:31], 16 offen
	s_mov_b32 s28, s20
	s_waitcnt vmcnt(1)
	v_and_b32_e32 v18, 0xffff, v10
	v_lshrrev_b32_e32 v19, 16, v10
	v_and_b32_e32 v20, 0xffff, v11
	v_lshrrev_b32_e32 v21, 16, v11
	;; [unrolled: 2-line block ×4, first 2 shown]
	s_waitcnt vmcnt(0)
	v_and_b32_e32 v26, 0xffff, v14
	v_lshrrev_b32_e32 v27, 16, v14
	v_and_b32_e32 v28, 0xffff, v15
	v_lshrrev_b32_e32 v29, 16, v15
	;; [unrolled: 2-line block ×4, first 2 shown]
	v_cvt_f32_u32_e32 v10, v18
	v_cvt_f32_u32_e32 v11, v19
	;; [unrolled: 1-line block ×16, first 2 shown]
.LBB89_17:                              ;   in Loop: Header=BB89_11 Depth=1
	s_mul_i32 s20, s2, s3
	s_delay_alu instid0(SALU_CYCLE_1) | instskip(NEXT) | instid1(SALU_CYCLE_1)
	s_ashr_i32 s21, s20, 31
	s_lshl_b64 s[20:21], s[20:21], 2
	s_delay_alu instid0(SALU_CYCLE_1) | instskip(SKIP_1) | instid1(SALU_CYCLE_1)
	s_add_u32 s20, s18, s20
	s_addc_u32 s2, s19, s21
	s_and_b32 s21, s2, 0xffff
	s_clause 0x3
	buffer_load_b128 v[26:29], v2, s[20:23], 0 offen
	buffer_load_b128 v[30:33], v2, s[20:23], 16 offen
	;; [unrolled: 1-line block ×4, first 2 shown]
	s_waitcnt vmcnt(3)
	v_dual_mul_f32 v40, v10, v26 :: v_dual_mul_f32 v41, v11, v27
	v_dual_mul_f32 v38, v12, v28 :: v_dual_mul_f32 v39, v13, v29
	s_waitcnt vmcnt(2)
	v_dual_mul_f32 v36, v14, v30 :: v_dual_mul_f32 v37, v15, v31
	s_delay_alu instid0(VALU_DEP_3) | instskip(SKIP_3) | instid1(VALU_DEP_3)
	v_max3_f32 v26, |v40|, 0x2edbe6ff, |v41|
	v_dual_mul_f32 v34, v16, v32 :: v_dual_mul_f32 v35, v17, v33
	s_waitcnt vmcnt(1)
	v_dual_mul_f32 v33, v18, v42 :: v_dual_mul_f32 v32, v19, v43
	v_max3_f32 v26, v26, |v38|, |v39|
	v_dual_mul_f32 v30, v20, v44 :: v_dual_mul_f32 v31, v21, v45
	s_waitcnt vmcnt(0)
	v_dual_mul_f32 v27, v22, v46 :: v_dual_mul_f32 v28, v23, v47
	s_delay_alu instid0(VALU_DEP_3) | instskip(SKIP_1) | instid1(VALU_DEP_2)
	v_max3_f32 v26, v26, |v36|, |v37|
	v_mul_f32_e32 v29, v25, v49
	v_max3_f32 v26, v26, |v34|, |v35|
	s_delay_alu instid0(VALU_DEP_1) | instskip(NEXT) | instid1(VALU_DEP_1)
	v_max3_f32 v26, v26, |v33|, |v32|
	v_max3_f32 v42, v26, |v30|, |v31|
	v_mul_f32_e32 v26, v24, v48
	s_delay_alu instid0(VALU_DEP_2) | instskip(NEXT) | instid1(VALU_DEP_1)
	v_max3_f32 v42, v42, |v27|, |v28|
	v_max3_f32 v42, v42, |v26|, |v29|
	s_delay_alu instid0(VALU_DEP_1) | instskip(NEXT) | instid1(VALU_DEP_1)
	v_mov_b32_dpp v43, v42 quad_perm:[1,0,3,2] row_mask:0xf bank_mask:0xf
	v_cmp_gt_f32_e64 s2, v42, v43
	s_delay_alu instid0(VALU_DEP_1) | instskip(NEXT) | instid1(VALU_DEP_1)
	v_cndmask_b32_e64 v42, v43, v42, s2
	v_mov_b32_dpp v43, v42 quad_perm:[2,3,0,1] row_mask:0xf bank_mask:0xf
	s_delay_alu instid0(VALU_DEP_1) | instskip(NEXT) | instid1(VALU_DEP_1)
	v_cmp_gt_f32_e64 s2, v42, v43
	v_cndmask_b32_e64 v42, v43, v42, s2
	s_delay_alu instid0(VALU_DEP_1) | instskip(NEXT) | instid1(VALU_DEP_1)
	v_mov_b32_dpp v43, v42 row_xmask:7 row_mask:0xf bank_mask:0xf
	v_cmp_gt_f32_e64 s2, v42, v43
	s_delay_alu instid0(VALU_DEP_1) | instskip(NEXT) | instid1(VALU_DEP_1)
	v_cndmask_b32_e64 v42, v43, v42, s2
	v_mov_b32_dpp v43, v42 row_xmask:15 row_mask:0xf bank_mask:0xf
	s_delay_alu instid0(VALU_DEP_1)
	v_cmp_gt_f32_e64 s2, v42, v43
	s_and_saveexec_b32 s20, s0
	s_cbranch_execz .LBB89_19
; %bb.18:                               ;   in Loop: Header=BB89_11 Depth=1
	s_delay_alu instid0(VALU_DEP_1) | instskip(NEXT) | instid1(VALU_DEP_1)
	v_cndmask_b32_e64 v42, v43, v42, s2
	v_permlanex16_b32 v43, v42, s45, 0xfedcba98 op_sel:[1,1]
	s_delay_alu instid0(VALU_DEP_1) | instskip(NEXT) | instid1(VALU_DEP_1)
	v_cmp_gt_f32_e64 s2, v42, v43
	v_cndmask_b32_e64 v42, v43, v42, s2
	ds_store_b32 v4, v42
.LBB89_19:                              ;   in Loop: Header=BB89_11 Depth=1
	s_or_b32 exec_lo, exec_lo, s20
	s_waitcnt lgkmcnt(0)
	s_waitcnt_vscnt null, 0x0
	s_barrier
	buffer_gl0_inv
	ds_load_b32 v42, v5
	s_mul_hi_u32 s20, s37, s44
	s_xor_b32 s29, s39, s42
	s_mul_i32 s21, s20, s40
	s_waitcnt lgkmcnt(0)
	v_mov_b32_dpp v43, v42 quad_perm:[1,0,3,2] row_mask:0xf bank_mask:0xf
	s_delay_alu instid0(VALU_DEP_1) | instskip(NEXT) | instid1(VALU_DEP_1)
	v_cmp_gt_f32_e64 s2, v42, v43
	v_cndmask_b32_e64 v42, v43, v42, s2
	s_delay_alu instid0(VALU_DEP_1) | instskip(NEXT) | instid1(VALU_DEP_1)
	v_mov_b32_dpp v43, v42 quad_perm:[2,3,0,1] row_mask:0xf bank_mask:0xf
	v_cmp_gt_f32_e64 s2, v42, v43
	s_delay_alu instid0(VALU_DEP_1)
	v_cndmask_b32_e64 v42, v43, v42, s2
	s_sub_i32 s2, s37, s21
	s_add_i32 s21, s20, 1
	s_sub_i32 s31, s2, s40
	s_cmp_ge_u32 s2, s40
	v_mov_b32_dpp v43, v42 row_xmask:7 row_mask:0xf bank_mask:0xf
	s_cselect_b32 s20, s21, s20
	s_cselect_b32 s21, s31, s2
	s_delay_alu instid0(VALU_DEP_1) | instskip(NEXT) | instid1(VALU_DEP_1)
	v_cmp_gt_f32_e64 s2, v42, v43
	v_cndmask_b32_e64 v42, v43, v42, s2
	s_add_i32 s2, s20, 1
	s_cmp_ge_u32 s21, s40
	s_cselect_b32 s2, s2, s20
	s_delay_alu instid0(VALU_DEP_1) | instskip(SKIP_1) | instid1(SALU_CYCLE_1)
	v_mov_b32_dpp v43, v42 row_xmask:15 row_mask:0xf bank_mask:0xf
	s_xor_b32 s2, s2, s29
	s_sub_i32 s20, s2, s29
	s_delay_alu instid0(VALU_DEP_1) | instskip(NEXT) | instid1(VALU_DEP_1)
	v_cmp_gt_f32_e64 s2, v42, v43
	v_cndmask_b32_e64 v42, v43, v42, s2
	s_mul_i32 s2, s20, s5
	s_mul_i32 s20, s20, s9
	s_sub_i32 s2, s36, s2
	s_delay_alu instid0(VALU_DEP_1) | instskip(SKIP_1) | instid1(SALU_CYCLE_1)
	v_mul_f32_e32 v42, 0x3b124925, v42
	s_mul_i32 s2, s2, s10
	s_add_i32 s20, s2, s20
	s_and_saveexec_b32 s2, vcc_lo
	s_cbranch_execz .LBB89_21
; %bb.20:                               ;   in Loop: Header=BB89_11 Depth=1
	s_ashr_i32 s21, s20, 31
	s_delay_alu instid0(SALU_CYCLE_1) | instskip(NEXT) | instid1(SALU_CYCLE_1)
	s_lshl_b64 s[36:37], s[20:21], 2
	s_add_u32 s36, s14, s36
	s_addc_u32 s37, s15, s37
	global_store_b32 v0, v42, s[36:37]
.LBB89_21:                              ;   in Loop: Header=BB89_11 Depth=1
	s_or_b32 exec_lo, exec_lo, s2
	s_and_saveexec_b32 s2, s1
	s_cbranch_execz .LBB89_9
; %bb.22:                               ;   in Loop: Header=BB89_11 Depth=1
	v_rcp_f32_e32 v42, v42
	s_mul_i32 s21, s20, s11
	s_mul_hi_i32 s20, s20, s11
	s_add_u32 s36, s12, s21
	s_addc_u32 s20, s13, s20
	s_mov_b32 s39, s23
	s_and_b32 s37, s20, 0xffff
	s_waitcnt_depctr 0xfff
	v_mul_f32_e32 v40, v40, v42
	v_mul_f32_e32 v41, v41, v42
	;; [unrolled: 1-line block ×5, first 2 shown]
	;;#ASMSTART
	v_med3_f32 v40, v40, v8, v9
v_med3_f32 v41, v41, v8, v9
v_cvt_pk_fp8_f32 v33, v40, v41
	;;#ASMEND
	;;#ASMSTART
	v_med3_f32 v38, v38, v8, v9
v_med3_f32 v39, v39, v8, v9
v_cvt_pk_fp8_f32 v40, v38, v39
	;;#ASMEND
	v_perm_b32 v38, v40, v33, 0x5040100
	v_mul_f32_e32 v36, v36, v42
	v_mul_f32_e32 v37, v37, v42
	v_mul_f32_e32 v34, v34, v42
	v_mul_f32_e32 v35, v35, v42
	v_mul_f32_e32 v39, v32, v42
	;;#ASMSTART
	v_med3_f32 v36, v36, v8, v9
v_med3_f32 v37, v37, v8, v9
v_cvt_pk_fp8_f32 v32, v36, v37
	;;#ASMEND
	;;#ASMSTART
	v_med3_f32 v34, v34, v8, v9
v_med3_f32 v35, v35, v8, v9
v_cvt_pk_fp8_f32 v33, v34, v35
	;;#ASMEND
	v_mul_f32_e32 v30, v30, v42
	v_mul_f32_e32 v31, v31, v42
	;; [unrolled: 1-line block ×4, first 2 shown]
	;;#ASMSTART
	v_med3_f32 v43, v43, v8, v9
v_med3_f32 v39, v39, v8, v9
v_cvt_pk_fp8_f32 v34, v43, v39
	;;#ASMEND
	;;#ASMSTART
	v_med3_f32 v30, v30, v8, v9
v_med3_f32 v31, v31, v8, v9
v_cvt_pk_fp8_f32 v35, v30, v31
	;;#ASMEND
	v_mul_f32_e32 v26, v26, v42
	v_mul_f32_e32 v29, v29, v42
	;;#ASMSTART
	v_med3_f32 v27, v27, v8, v9
v_med3_f32 v28, v28, v8, v9
v_cvt_pk_fp8_f32 v30, v27, v28
	;;#ASMEND
	v_perm_b32 v33, v32, v33, 0x1000504
	v_perm_b32 v32, v38, v40, 0x1060504
	;; [unrolled: 1-line block ×3, first 2 shown]
	;;#ASMSTART
	v_med3_f32 v26, v26, v8, v9
v_med3_f32 v29, v29, v8, v9
v_cvt_pk_fp8_f32 v27, v26, v29
	;;#ASMEND
	v_perm_b32 v35, v30, v27, 0x1000504
	buffer_store_b128 v[32:35], v3, s[36:39], 0 offen
	;;#ASMSTART
	s_nop 0
	;;#ASMEND
	s_branch .LBB89_9
.LBB89_23:
	s_nop 0
	s_sendmsg sendmsg(MSG_DEALLOC_VGPRS)
	s_endpgm
.LBB89_24:
                                        ; implicit-def: $sgpr4
	s_branch .LBB89_2
	.section	.rodata,"a",@progbits
	.p2align	6, 0x0
	.amdhsa_kernel _ZN5aiter36smooth_per_token_scaled_quant_kernelItDB8_Li512ELi16ELb1ELb1ELb0ELi1024EEEvPT0_PfPT_S4_PiS7_iiPKiiiiiiiii
		.amdhsa_group_segment_fixed_size 64
		.amdhsa_private_segment_fixed_size 0
		.amdhsa_kernarg_size 96
		.amdhsa_user_sgpr_count 15
		.amdhsa_user_sgpr_dispatch_ptr 0
		.amdhsa_user_sgpr_queue_ptr 0
		.amdhsa_user_sgpr_kernarg_segment_ptr 1
		.amdhsa_user_sgpr_dispatch_id 0
		.amdhsa_user_sgpr_private_segment_size 0
		.amdhsa_wavefront_size32 1
		.amdhsa_uses_dynamic_stack 0
		.amdhsa_enable_private_segment 0
		.amdhsa_system_sgpr_workgroup_id_x 1
		.amdhsa_system_sgpr_workgroup_id_y 0
		.amdhsa_system_sgpr_workgroup_id_z 0
		.amdhsa_system_sgpr_workgroup_info 0
		.amdhsa_system_vgpr_workitem_id 0
		.amdhsa_next_free_vgpr 50
		.amdhsa_next_free_sgpr 47
		.amdhsa_reserve_vcc 1
		.amdhsa_float_round_mode_32 0
		.amdhsa_float_round_mode_16_64 0
		.amdhsa_float_denorm_mode_32 3
		.amdhsa_float_denorm_mode_16_64 3
		.amdhsa_dx10_clamp 1
		.amdhsa_ieee_mode 1
		.amdhsa_fp16_overflow 0
		.amdhsa_workgroup_processor_mode 1
		.amdhsa_memory_ordered 1
		.amdhsa_forward_progress 0
		.amdhsa_shared_vgpr_count 0
		.amdhsa_exception_fp_ieee_invalid_op 0
		.amdhsa_exception_fp_denorm_src 0
		.amdhsa_exception_fp_ieee_div_zero 0
		.amdhsa_exception_fp_ieee_overflow 0
		.amdhsa_exception_fp_ieee_underflow 0
		.amdhsa_exception_fp_ieee_inexact 0
		.amdhsa_exception_int_div_zero 0
	.end_amdhsa_kernel
	.section	.text._ZN5aiter36smooth_per_token_scaled_quant_kernelItDB8_Li512ELi16ELb1ELb1ELb0ELi1024EEEvPT0_PfPT_S4_PiS7_iiPKiiiiiiiii,"axG",@progbits,_ZN5aiter36smooth_per_token_scaled_quant_kernelItDB8_Li512ELi16ELb1ELb1ELb0ELi1024EEEvPT0_PfPT_S4_PiS7_iiPKiiiiiiiii,comdat
.Lfunc_end89:
	.size	_ZN5aiter36smooth_per_token_scaled_quant_kernelItDB8_Li512ELi16ELb1ELb1ELb0ELi1024EEEvPT0_PfPT_S4_PiS7_iiPKiiiiiiiii, .Lfunc_end89-_ZN5aiter36smooth_per_token_scaled_quant_kernelItDB8_Li512ELi16ELb1ELb1ELb0ELi1024EEEvPT0_PfPT_S4_PiS7_iiPKiiiiiiiii
                                        ; -- End function
	.section	.AMDGPU.csdata,"",@progbits
; Kernel info:
; codeLenInByte = 2460
; NumSgprs: 49
; NumVgprs: 50
; ScratchSize: 0
; MemoryBound: 0
; FloatMode: 240
; IeeeMode: 1
; LDSByteSize: 64 bytes/workgroup (compile time only)
; SGPRBlocks: 6
; VGPRBlocks: 6
; NumSGPRsForWavesPerEU: 49
; NumVGPRsForWavesPerEU: 50
; Occupancy: 16
; WaveLimiterHint : 0
; COMPUTE_PGM_RSRC2:SCRATCH_EN: 0
; COMPUTE_PGM_RSRC2:USER_SGPR: 15
; COMPUTE_PGM_RSRC2:TRAP_HANDLER: 0
; COMPUTE_PGM_RSRC2:TGID_X_EN: 1
; COMPUTE_PGM_RSRC2:TGID_Y_EN: 0
; COMPUTE_PGM_RSRC2:TGID_Z_EN: 0
; COMPUTE_PGM_RSRC2:TIDIG_COMP_CNT: 0
	.section	.text._ZN5aiter36smooth_per_token_scaled_quant_kernelIDF16_DB8_Li512ELi16ELb1ELb0ELb0ELi1024EEEvPT0_PfPT_S4_PiS7_iiPKiiiiiiiii,"axG",@progbits,_ZN5aiter36smooth_per_token_scaled_quant_kernelIDF16_DB8_Li512ELi16ELb1ELb0ELb0ELi1024EEEvPT0_PfPT_S4_PiS7_iiPKiiiiiiiii,comdat
	.protected	_ZN5aiter36smooth_per_token_scaled_quant_kernelIDF16_DB8_Li512ELi16ELb1ELb0ELb0ELi1024EEEvPT0_PfPT_S4_PiS7_iiPKiiiiiiiii ; -- Begin function _ZN5aiter36smooth_per_token_scaled_quant_kernelIDF16_DB8_Li512ELi16ELb1ELb0ELb0ELi1024EEEvPT0_PfPT_S4_PiS7_iiPKiiiiiiiii
	.globl	_ZN5aiter36smooth_per_token_scaled_quant_kernelIDF16_DB8_Li512ELi16ELb1ELb0ELb0ELi1024EEEvPT0_PfPT_S4_PiS7_iiPKiiiiiiiii
	.p2align	8
	.type	_ZN5aiter36smooth_per_token_scaled_quant_kernelIDF16_DB8_Li512ELi16ELb1ELb0ELb0ELi1024EEEvPT0_PfPT_S4_PiS7_iiPKiiiiiiiii,@function
_ZN5aiter36smooth_per_token_scaled_quant_kernelIDF16_DB8_Li512ELi16ELb1ELb0ELb0ELi1024EEEvPT0_PfPT_S4_PiS7_iiPKiiiiiiiii: ; @_ZN5aiter36smooth_per_token_scaled_quant_kernelIDF16_DB8_Li512ELi16ELb1ELb0ELb0ELi1024EEEvPT0_PfPT_S4_PiS7_iiPKiiiiiiiii
; %bb.0:
	s_clause 0x1
	s_load_b64 s[2:3], s[0:1], 0x38
	s_load_b256 s[4:11], s[0:1], 0x40
	s_waitcnt lgkmcnt(0)
	s_cmp_lg_u64 s[2:3], 0
	s_cbranch_scc0 .LBB90_19
; %bb.1:
	s_load_b32 s2, s[2:3], 0x0
	s_waitcnt lgkmcnt(0)
	s_mul_i32 s4, s2, s4
	s_cbranch_execnz .LBB90_3
.LBB90_2:
	s_mul_i32 s4, s6, s5
.LBB90_3:
	s_load_b64 s[2:3], s[0:1], 0x30
	s_abs_i32 s14, s4
	s_waitcnt lgkmcnt(0)
	s_abs_i32 s11, s2
	s_delay_alu instid0(SALU_CYCLE_1) | instskip(SKIP_1) | instid1(VALU_DEP_1)
	v_cvt_f32_u32_e32 v1, s11
	s_sub_i32 s13, 0, s11
	v_rcp_iflag_f32_e32 v1, v1
	s_waitcnt_depctr 0xfff
	v_mul_f32_e32 v1, 0x4f7ffffe, v1
	s_delay_alu instid0(VALU_DEP_1) | instskip(NEXT) | instid1(VALU_DEP_1)
	v_cvt_u32_f32_e32 v1, v1
	v_readfirstlane_b32 s12, v1
	s_delay_alu instid0(VALU_DEP_1) | instskip(NEXT) | instid1(SALU_CYCLE_1)
	s_mul_i32 s13, s13, s12
	s_mul_hi_u32 s13, s12, s13
	s_delay_alu instid0(SALU_CYCLE_1) | instskip(SKIP_4) | instid1(SALU_CYCLE_1)
	s_add_i32 s12, s12, s13
	s_xor_b32 s13, s4, s2
	s_mul_hi_u32 s12, s14, s12
	s_ashr_i32 s13, s13, 31
	s_mul_i32 s16, s12, s11
	s_sub_i32 s14, s14, s16
	s_add_i32 s16, s12, 1
	s_sub_i32 s17, s14, s11
	s_cmp_ge_u32 s14, s11
	s_cselect_b32 s12, s16, s12
	s_cselect_b32 s14, s17, s14
	s_add_i32 s16, s12, 1
	s_cmp_ge_u32 s14, s11
	s_cselect_b32 s11, s16, s12
	s_delay_alu instid0(SALU_CYCLE_1) | instskip(NEXT) | instid1(SALU_CYCLE_1)
	s_xor_b32 s11, s11, s13
	s_sub_i32 s11, s11, s13
	s_mov_b32 s13, 0
	s_mul_i32 s2, s11, s2
	s_delay_alu instid0(SALU_CYCLE_1) | instskip(NEXT) | instid1(SALU_CYCLE_1)
	s_sub_i32 s4, s4, s2
	s_cmp_lt_u32 s15, s4
	s_cselect_b32 s2, -1, 0
	s_add_i32 s12, s11, 1
	s_cmp_ge_u32 s15, s4
	s_cbranch_scc0 .LBB90_5
; %bb.4:
	s_sub_i32 s14, s15, s4
	s_mul_i32 s4, s4, s12
	s_mul_i32 s14, s14, s11
	s_delay_alu instid0(SALU_CYCLE_1)
	s_add_i32 s4, s14, s4
	s_and_not1_b32 vcc_lo, exec_lo, s13
	s_cbranch_vccz .LBB90_6
	s_branch .LBB90_7
.LBB90_5:
                                        ; implicit-def: $sgpr4
.LBB90_6:
	s_mul_i32 s4, s12, s15
.LBB90_7:
	v_cndmask_b32_e64 v1, 0, 1, s2
	s_delay_alu instid0(VALU_DEP_1) | instskip(NEXT) | instid1(VALU_DEP_1)
	v_readfirstlane_b32 s2, v1
	s_add_i32 s11, s11, s2
	s_delay_alu instid0(SALU_CYCLE_1)
	s_cmp_lt_i32 s11, 1
	s_cbranch_scc1 .LBB90_18
; %bb.8:
	s_abs_i32 s34, s6
	s_abs_i32 s35, s5
	v_cvt_f32_u32_e32 v6, s34
	v_cvt_f32_u32_e32 v7, s35
	v_and_b32_e32 v3, 31, v0
	v_lshrrev_b32_e32 v4, 3, v0
	v_and_b32_e32 v5, 15, v0
	v_rcp_iflag_f32_e32 v6, v6
	v_rcp_iflag_f32_e32 v7, v7
	s_load_b256 s[12:19], s[0:1], 0x0
	s_add_i32 s1, s3, 15
	v_lshlrev_b32_e32 v2, 6, v0
	s_ashr_i32 s0, s1, 31
	v_cmp_eq_u32_e32 vcc_lo, 31, v3
	v_and_b32_e32 v3, 0x7c, v4
	v_lshlrev_b32_e32 v4, 2, v5
	s_lshr_b32 s2, s0, 28
	s_waitcnt_depctr 0xfff
	v_mul_f32_e32 v5, 0x4f7ffffe, v6
	v_dual_mul_f32 v6, 0x4f7ffffe, v7 :: v_dual_lshlrev_b32 v1, 5, v0
	s_add_i32 s1, s1, s2
	s_add_i32 s2, s3, 3
	s_mov_b32 s33, s3
	s_lshl_b32 s22, s3, 1
	s_lshl_b32 s26, s3, 2
	s_ashr_i32 s3, s2, 31
	v_cvt_u32_f32_e32 v5, v5
	s_lshr_b32 s3, s3, 30
	v_cvt_u32_f32_e32 v6, v6
	s_add_i32 s2, s2, s3
	s_sub_i32 s3, 0, s34
	s_and_b32 s30, s2, -4
	v_readfirstlane_b32 s2, v5
	v_readfirstlane_b32 s20, v6
	s_sub_i32 s21, 0, s35
	s_ashr_i32 s1, s1, 4
	v_cmp_eq_u32_e64 s0, 0, v0
	s_mul_i32 s3, s3, s2
	s_mul_i32 s21, s21, s20
	s_mul_hi_u32 s3, s2, s3
	v_cmp_gt_u32_e64 s1, s1, v0
	v_dual_mov_b32 v7, 0x43e00000 :: v_dual_lshlrev_b32 v0, 4, v0
	v_dual_mov_b32 v5, 0 :: v_dual_mov_b32 v6, 0xc3e00000
	s_mov_b32 s23, -1
	s_waitcnt lgkmcnt(0)
	s_and_b32 s19, s19, 0xffff
	s_add_i32 s37, s2, s3
	s_mul_hi_u32 s2, s20, s21
	s_mov_b32 s27, s23
	s_ashr_i32 s36, s6, 31
	s_ashr_i32 s38, s5, 31
	s_add_i32 s39, s20, s2
	s_mov_b32 s24, s18
	s_mov_b32 s25, s19
	;; [unrolled: 1-line block ×4, first 2 shown]
                                        ; implicit-def: $vgpr8
                                        ; implicit-def: $vgpr13
                                        ; implicit-def: $vgpr9
                                        ; implicit-def: $vgpr15
                                        ; implicit-def: $vgpr10
                                        ; implicit-def: $vgpr16
                                        ; implicit-def: $vgpr11
                                        ; implicit-def: $vgpr18
                                        ; implicit-def: $vgpr12
                                        ; implicit-def: $vgpr20
                                        ; implicit-def: $vgpr14
                                        ; implicit-def: $vgpr21
                                        ; implicit-def: $vgpr17
                                        ; implicit-def: $vgpr22
                                        ; implicit-def: $vgpr19
                                        ; implicit-def: $vgpr23
	s_branch .LBB90_10
.LBB90_9:                               ;   in Loop: Header=BB90_10 Depth=1
	s_or_b32 exec_lo, exec_lo, s3
	s_add_i32 s11, s11, -1
	s_add_i32 s4, s4, 1
	s_cmp_eq_u32 s11, 0
	s_cbranch_scc1 .LBB90_18
.LBB90_10:                              ; =>This Inner Loop Header: Depth=1
	s_abs_i32 s3, s4
	s_ashr_i32 s28, s4, 31
	s_mul_hi_u32 s2, s3, s37
	s_xor_b32 s21, s28, s36
	s_mul_i32 s20, s2, s34
	s_add_i32 s29, s2, 1
	s_sub_i32 s20, s3, s20
	s_delay_alu instid0(SALU_CYCLE_1)
	s_sub_i32 s31, s20, s34
	s_cmp_ge_u32 s20, s34
	s_cselect_b32 s2, s29, s2
	s_cselect_b32 s20, s31, s20
	s_add_i32 s29, s2, 1
	s_cmp_ge_u32 s20, s34
	s_cselect_b32 s2, s29, s2
	s_delay_alu instid0(SALU_CYCLE_1) | instskip(NEXT) | instid1(SALU_CYCLE_1)
	s_xor_b32 s2, s2, s21
	s_sub_i32 s2, s2, s21
	s_delay_alu instid0(SALU_CYCLE_1) | instskip(SKIP_2) | instid1(SALU_CYCLE_1)
	s_mul_i32 s20, s2, s6
	s_mul_i32 s2, s2, s7
	s_sub_i32 s20, s4, s20
	s_mul_i32 s20, s20, s8
	s_delay_alu instid0(SALU_CYCLE_1) | instskip(NEXT) | instid1(SALU_CYCLE_1)
	s_add_i32 s2, s20, s2
	s_cmp_eq_u32 s2, s19
	s_cbranch_scc1 .LBB90_12
; %bb.11:                               ;   in Loop: Header=BB90_10 Depth=1
	s_mul_hi_i32 s21, s2, s33
	s_mul_i32 s20, s2, s33
	s_delay_alu instid0(SALU_CYCLE_1) | instskip(NEXT) | instid1(SALU_CYCLE_1)
	s_lshl_b64 s[20:21], s[20:21], 1
	s_add_u32 s20, s16, s20
	s_addc_u32 s19, s17, s21
	s_delay_alu instid0(SALU_CYCLE_1)
	s_and_b32 s21, s19, 0xffff
	s_clause 0x1
	buffer_load_b128 v[9:12], v1, s[20:23], 0 offen
	buffer_load_b128 v[17:20], v1, s[20:23], 16 offen
	s_mov_b32 s19, s2
	s_waitcnt vmcnt(1)
	v_lshrrev_b32_e32 v13, 16, v9
	v_lshrrev_b32_e32 v15, 16, v10
	;; [unrolled: 1-line block ×4, first 2 shown]
	s_waitcnt vmcnt(0)
	v_lshrrev_b32_e32 v22, 16, v17
	v_lshrrev_b32_e32 v23, 16, v18
	;; [unrolled: 1-line block ×4, first 2 shown]
	v_cvt_f32_f16_e32 v8, v9
	v_cvt_f32_f16_e32 v9, v10
	;; [unrolled: 1-line block ×16, first 2 shown]
.LBB90_12:                              ;   in Loop: Header=BB90_10 Depth=1
	s_clause 0x3
	buffer_load_b128 v[24:27], v2, s[24:27], 0 offen
	buffer_load_b128 v[28:31], v2, s[24:27], 16 offen
	;; [unrolled: 1-line block ×4, first 2 shown]
	s_waitcnt vmcnt(3)
	v_dual_mul_f32 v38, v8, v24 :: v_dual_mul_f32 v39, v13, v25
	v_dual_mul_f32 v36, v9, v26 :: v_dual_mul_f32 v37, v15, v27
	s_waitcnt vmcnt(2)
	v_dual_mul_f32 v34, v10, v28 :: v_dual_mul_f32 v35, v16, v29
	s_delay_alu instid0(VALU_DEP_3) | instskip(SKIP_3) | instid1(VALU_DEP_3)
	v_max3_f32 v24, |v38|, 0x2edbe6ff, |v39|
	v_dual_mul_f32 v32, v11, v30 :: v_dual_mul_f32 v33, v18, v31
	s_waitcnt vmcnt(1)
	v_dual_mul_f32 v31, v12, v40 :: v_dual_mul_f32 v28, v14, v42
	v_max3_f32 v24, v24, |v36|, |v37|
	v_dual_mul_f32 v30, v20, v41 :: v_dual_mul_f32 v29, v21, v43
	s_waitcnt vmcnt(0)
	v_dual_mul_f32 v25, v17, v44 :: v_dual_mul_f32 v26, v22, v45
	s_delay_alu instid0(VALU_DEP_3) | instskip(SKIP_1) | instid1(VALU_DEP_2)
	v_max3_f32 v24, v24, |v34|, |v35|
	v_mul_f32_e32 v27, v23, v47
	v_max3_f32 v24, v24, |v32|, |v33|
	s_delay_alu instid0(VALU_DEP_1) | instskip(NEXT) | instid1(VALU_DEP_1)
	v_max3_f32 v24, v24, |v31|, |v30|
	v_max3_f32 v40, v24, |v28|, |v29|
	v_mul_f32_e32 v24, v19, v46
	s_delay_alu instid0(VALU_DEP_2) | instskip(NEXT) | instid1(VALU_DEP_1)
	v_max3_f32 v40, v40, |v25|, |v26|
	v_max3_f32 v40, v40, |v24|, |v27|
	s_delay_alu instid0(VALU_DEP_1) | instskip(NEXT) | instid1(VALU_DEP_1)
	v_mov_b32_dpp v41, v40 quad_perm:[1,0,3,2] row_mask:0xf bank_mask:0xf
	v_cmp_gt_f32_e64 s2, v40, v41
	s_delay_alu instid0(VALU_DEP_1) | instskip(NEXT) | instid1(VALU_DEP_1)
	v_cndmask_b32_e64 v40, v41, v40, s2
	v_mov_b32_dpp v41, v40 quad_perm:[2,3,0,1] row_mask:0xf bank_mask:0xf
	s_delay_alu instid0(VALU_DEP_1) | instskip(NEXT) | instid1(VALU_DEP_1)
	v_cmp_gt_f32_e64 s2, v40, v41
	v_cndmask_b32_e64 v40, v41, v40, s2
	s_delay_alu instid0(VALU_DEP_1) | instskip(NEXT) | instid1(VALU_DEP_1)
	v_mov_b32_dpp v41, v40 row_xmask:7 row_mask:0xf bank_mask:0xf
	v_cmp_gt_f32_e64 s2, v40, v41
	s_delay_alu instid0(VALU_DEP_1) | instskip(NEXT) | instid1(VALU_DEP_1)
	v_cndmask_b32_e64 v40, v41, v40, s2
	v_mov_b32_dpp v41, v40 row_xmask:15 row_mask:0xf bank_mask:0xf
	s_delay_alu instid0(VALU_DEP_1)
	v_cmp_gt_f32_e64 s2, v40, v41
	s_and_saveexec_b32 s20, vcc_lo
	s_cbranch_execz .LBB90_14
; %bb.13:                               ;   in Loop: Header=BB90_10 Depth=1
	s_delay_alu instid0(VALU_DEP_1) | instskip(NEXT) | instid1(VALU_DEP_1)
	v_cndmask_b32_e64 v40, v41, v40, s2
	v_permlanex16_b32 v41, v40, s18, 0xfedcba98 op_sel:[1,1]
	s_delay_alu instid0(VALU_DEP_1) | instskip(NEXT) | instid1(VALU_DEP_1)
	v_cmp_gt_f32_e64 s2, v40, v41
	v_cndmask_b32_e64 v40, v41, v40, s2
	ds_store_b32 v3, v40
.LBB90_14:                              ;   in Loop: Header=BB90_10 Depth=1
	s_or_b32 exec_lo, exec_lo, s20
	s_waitcnt lgkmcnt(0)
	s_waitcnt_vscnt null, 0x0
	s_barrier
	buffer_gl0_inv
	ds_load_b32 v40, v4
	s_mul_hi_u32 s20, s3, s39
	s_xor_b32 s28, s28, s38
	s_mul_i32 s21, s20, s35
	s_waitcnt lgkmcnt(0)
	v_mov_b32_dpp v41, v40 quad_perm:[1,0,3,2] row_mask:0xf bank_mask:0xf
	s_delay_alu instid0(VALU_DEP_1) | instskip(NEXT) | instid1(VALU_DEP_1)
	v_cmp_gt_f32_e64 s2, v40, v41
	v_cndmask_b32_e64 v40, v41, v40, s2
	s_delay_alu instid0(VALU_DEP_1) | instskip(NEXT) | instid1(VALU_DEP_1)
	v_mov_b32_dpp v41, v40 quad_perm:[2,3,0,1] row_mask:0xf bank_mask:0xf
	v_cmp_gt_f32_e64 s2, v40, v41
	s_delay_alu instid0(VALU_DEP_1)
	v_cndmask_b32_e64 v40, v41, v40, s2
	s_sub_i32 s2, s3, s21
	s_add_i32 s3, s20, 1
	s_sub_i32 s21, s2, s35
	s_cmp_ge_u32 s2, s35
	v_mov_b32_dpp v41, v40 row_xmask:7 row_mask:0xf bank_mask:0xf
	s_cselect_b32 s3, s3, s20
	s_cselect_b32 s20, s21, s2
	s_delay_alu instid0(VALU_DEP_1) | instskip(NEXT) | instid1(VALU_DEP_1)
	v_cmp_gt_f32_e64 s2, v40, v41
	v_cndmask_b32_e64 v40, v41, v40, s2
	s_add_i32 s2, s3, 1
	s_cmp_ge_u32 s20, s35
	s_cselect_b32 s2, s2, s3
	s_delay_alu instid0(VALU_DEP_1) | instskip(SKIP_1) | instid1(SALU_CYCLE_1)
	v_mov_b32_dpp v41, v40 row_xmask:15 row_mask:0xf bank_mask:0xf
	s_xor_b32 s2, s2, s28
	s_sub_i32 s3, s2, s28
	s_delay_alu instid0(VALU_DEP_1) | instskip(NEXT) | instid1(VALU_DEP_1)
	v_cmp_gt_f32_e64 s2, v40, v41
	v_cndmask_b32_e64 v40, v41, v40, s2
	s_mul_i32 s2, s3, s5
	s_mul_i32 s3, s3, s9
	s_sub_i32 s2, s4, s2
	s_delay_alu instid0(VALU_DEP_1) | instskip(SKIP_1) | instid1(SALU_CYCLE_1)
	v_mul_f32_e32 v40, 0x3b124925, v40
	s_mul_i32 s2, s2, s10
	s_add_i32 s2, s2, s3
	s_and_saveexec_b32 s20, s0
	s_cbranch_execz .LBB90_16
; %bb.15:                               ;   in Loop: Header=BB90_10 Depth=1
	s_ashr_i32 s3, s2, 31
	s_delay_alu instid0(SALU_CYCLE_1) | instskip(NEXT) | instid1(SALU_CYCLE_1)
	s_lshl_b64 s[28:29], s[2:3], 2
	s_add_u32 s28, s14, s28
	s_addc_u32 s29, s15, s29
	global_store_b32 v5, v40, s[28:29]
.LBB90_16:                              ;   in Loop: Header=BB90_10 Depth=1
	s_or_b32 exec_lo, exec_lo, s20
	s_and_saveexec_b32 s3, s1
	s_cbranch_execz .LBB90_9
; %bb.17:                               ;   in Loop: Header=BB90_10 Depth=1
	v_rcp_f32_e32 v40, v40
	s_mul_i32 s20, s2, s33
	s_mul_hi_i32 s2, s2, s33
	s_add_u32 s28, s12, s20
	s_addc_u32 s2, s13, s2
	s_mov_b32 s31, s23
	s_and_b32 s29, s2, 0xffff
	s_waitcnt_depctr 0xfff
	v_mul_f32_e32 v38, v38, v40
	v_mul_f32_e32 v39, v39, v40
	;; [unrolled: 1-line block ×5, first 2 shown]
	;;#ASMSTART
	v_med3_f32 v38, v38, v6, v7
v_med3_f32 v39, v39, v6, v7
v_cvt_pk_fp8_f32 v31, v38, v39
	;;#ASMEND
	;;#ASMSTART
	v_med3_f32 v36, v36, v6, v7
v_med3_f32 v37, v37, v6, v7
v_cvt_pk_fp8_f32 v38, v36, v37
	;;#ASMEND
	v_perm_b32 v36, v38, v31, 0x5040100
	v_mul_f32_e32 v34, v34, v40
	v_mul_f32_e32 v35, v35, v40
	;; [unrolled: 1-line block ×5, first 2 shown]
	;;#ASMSTART
	v_med3_f32 v34, v34, v6, v7
v_med3_f32 v35, v35, v6, v7
v_cvt_pk_fp8_f32 v30, v34, v35
	;;#ASMEND
	;;#ASMSTART
	v_med3_f32 v32, v32, v6, v7
v_med3_f32 v33, v33, v6, v7
v_cvt_pk_fp8_f32 v31, v32, v33
	;;#ASMEND
	v_mul_f32_e32 v28, v28, v40
	v_mul_f32_e32 v29, v29, v40
	;; [unrolled: 1-line block ×4, first 2 shown]
	;;#ASMSTART
	v_med3_f32 v41, v41, v6, v7
v_med3_f32 v37, v37, v6, v7
v_cvt_pk_fp8_f32 v32, v41, v37
	;;#ASMEND
	;;#ASMSTART
	v_med3_f32 v28, v28, v6, v7
v_med3_f32 v29, v29, v6, v7
v_cvt_pk_fp8_f32 v33, v28, v29
	;;#ASMEND
	v_mul_f32_e32 v24, v24, v40
	v_mul_f32_e32 v27, v27, v40
	;;#ASMSTART
	v_med3_f32 v25, v25, v6, v7
v_med3_f32 v26, v26, v6, v7
v_cvt_pk_fp8_f32 v28, v25, v26
	;;#ASMEND
	v_perm_b32 v31, v30, v31, 0x1000504
	v_perm_b32 v30, v36, v38, 0x1060504
	v_perm_b32 v32, v32, v33, 0x1000504
	;;#ASMSTART
	v_med3_f32 v24, v24, v6, v7
v_med3_f32 v27, v27, v6, v7
v_cvt_pk_fp8_f32 v25, v24, v27
	;;#ASMEND
	v_perm_b32 v33, v28, v25, 0x1000504
	buffer_store_b128 v[30:33], v0, s[28:31], 0 offen
	;;#ASMSTART
	s_nop 0
	;;#ASMEND
	s_branch .LBB90_9
.LBB90_18:
	s_nop 0
	s_sendmsg sendmsg(MSG_DEALLOC_VGPRS)
	s_endpgm
.LBB90_19:
                                        ; implicit-def: $sgpr4
	s_branch .LBB90_2
	.section	.rodata,"a",@progbits
	.p2align	6, 0x0
	.amdhsa_kernel _ZN5aiter36smooth_per_token_scaled_quant_kernelIDF16_DB8_Li512ELi16ELb1ELb0ELb0ELi1024EEEvPT0_PfPT_S4_PiS7_iiPKiiiiiiiii
		.amdhsa_group_segment_fixed_size 64
		.amdhsa_private_segment_fixed_size 0
		.amdhsa_kernarg_size 96
		.amdhsa_user_sgpr_count 15
		.amdhsa_user_sgpr_dispatch_ptr 0
		.amdhsa_user_sgpr_queue_ptr 0
		.amdhsa_user_sgpr_kernarg_segment_ptr 1
		.amdhsa_user_sgpr_dispatch_id 0
		.amdhsa_user_sgpr_private_segment_size 0
		.amdhsa_wavefront_size32 1
		.amdhsa_uses_dynamic_stack 0
		.amdhsa_enable_private_segment 0
		.amdhsa_system_sgpr_workgroup_id_x 1
		.amdhsa_system_sgpr_workgroup_id_y 0
		.amdhsa_system_sgpr_workgroup_id_z 0
		.amdhsa_system_sgpr_workgroup_info 0
		.amdhsa_system_vgpr_workitem_id 0
		.amdhsa_next_free_vgpr 48
		.amdhsa_next_free_sgpr 40
		.amdhsa_reserve_vcc 1
		.amdhsa_float_round_mode_32 0
		.amdhsa_float_round_mode_16_64 0
		.amdhsa_float_denorm_mode_32 3
		.amdhsa_float_denorm_mode_16_64 3
		.amdhsa_dx10_clamp 1
		.amdhsa_ieee_mode 1
		.amdhsa_fp16_overflow 0
		.amdhsa_workgroup_processor_mode 1
		.amdhsa_memory_ordered 1
		.amdhsa_forward_progress 0
		.amdhsa_shared_vgpr_count 0
		.amdhsa_exception_fp_ieee_invalid_op 0
		.amdhsa_exception_fp_denorm_src 0
		.amdhsa_exception_fp_ieee_div_zero 0
		.amdhsa_exception_fp_ieee_overflow 0
		.amdhsa_exception_fp_ieee_underflow 0
		.amdhsa_exception_fp_ieee_inexact 0
		.amdhsa_exception_int_div_zero 0
	.end_amdhsa_kernel
	.section	.text._ZN5aiter36smooth_per_token_scaled_quant_kernelIDF16_DB8_Li512ELi16ELb1ELb0ELb0ELi1024EEEvPT0_PfPT_S4_PiS7_iiPKiiiiiiiii,"axG",@progbits,_ZN5aiter36smooth_per_token_scaled_quant_kernelIDF16_DB8_Li512ELi16ELb1ELb0ELb0ELi1024EEEvPT0_PfPT_S4_PiS7_iiPKiiiiiiiii,comdat
.Lfunc_end90:
	.size	_ZN5aiter36smooth_per_token_scaled_quant_kernelIDF16_DB8_Li512ELi16ELb1ELb0ELb0ELi1024EEEvPT0_PfPT_S4_PiS7_iiPKiiiiiiiii, .Lfunc_end90-_ZN5aiter36smooth_per_token_scaled_quant_kernelIDF16_DB8_Li512ELi16ELb1ELb0ELb0ELi1024EEEvPT0_PfPT_S4_PiS7_iiPKiiiiiiiii
                                        ; -- End function
	.section	.AMDGPU.csdata,"",@progbits
; Kernel info:
; codeLenInByte = 2228
; NumSgprs: 42
; NumVgprs: 48
; ScratchSize: 0
; MemoryBound: 0
; FloatMode: 240
; IeeeMode: 1
; LDSByteSize: 64 bytes/workgroup (compile time only)
; SGPRBlocks: 5
; VGPRBlocks: 5
; NumSGPRsForWavesPerEU: 42
; NumVGPRsForWavesPerEU: 48
; Occupancy: 16
; WaveLimiterHint : 0
; COMPUTE_PGM_RSRC2:SCRATCH_EN: 0
; COMPUTE_PGM_RSRC2:USER_SGPR: 15
; COMPUTE_PGM_RSRC2:TRAP_HANDLER: 0
; COMPUTE_PGM_RSRC2:TGID_X_EN: 1
; COMPUTE_PGM_RSRC2:TGID_Y_EN: 0
; COMPUTE_PGM_RSRC2:TGID_Z_EN: 0
; COMPUTE_PGM_RSRC2:TIDIG_COMP_CNT: 0
	.section	.text._ZN5aiter36smooth_per_token_scaled_quant_kernelItDB8_Li512ELi16ELb1ELb0ELb0ELi1024EEEvPT0_PfPT_S4_PiS7_iiPKiiiiiiiii,"axG",@progbits,_ZN5aiter36smooth_per_token_scaled_quant_kernelItDB8_Li512ELi16ELb1ELb0ELb0ELi1024EEEvPT0_PfPT_S4_PiS7_iiPKiiiiiiiii,comdat
	.protected	_ZN5aiter36smooth_per_token_scaled_quant_kernelItDB8_Li512ELi16ELb1ELb0ELb0ELi1024EEEvPT0_PfPT_S4_PiS7_iiPKiiiiiiiii ; -- Begin function _ZN5aiter36smooth_per_token_scaled_quant_kernelItDB8_Li512ELi16ELb1ELb0ELb0ELi1024EEEvPT0_PfPT_S4_PiS7_iiPKiiiiiiiii
	.globl	_ZN5aiter36smooth_per_token_scaled_quant_kernelItDB8_Li512ELi16ELb1ELb0ELb0ELi1024EEEvPT0_PfPT_S4_PiS7_iiPKiiiiiiiii
	.p2align	8
	.type	_ZN5aiter36smooth_per_token_scaled_quant_kernelItDB8_Li512ELi16ELb1ELb0ELb0ELi1024EEEvPT0_PfPT_S4_PiS7_iiPKiiiiiiiii,@function
_ZN5aiter36smooth_per_token_scaled_quant_kernelItDB8_Li512ELi16ELb1ELb0ELb0ELi1024EEEvPT0_PfPT_S4_PiS7_iiPKiiiiiiiii: ; @_ZN5aiter36smooth_per_token_scaled_quant_kernelItDB8_Li512ELi16ELb1ELb0ELb0ELi1024EEEvPT0_PfPT_S4_PiS7_iiPKiiiiiiiii
; %bb.0:
	s_clause 0x1
	s_load_b64 s[2:3], s[0:1], 0x38
	s_load_b256 s[4:11], s[0:1], 0x40
	s_waitcnt lgkmcnt(0)
	s_cmp_lg_u64 s[2:3], 0
	s_cbranch_scc0 .LBB91_19
; %bb.1:
	s_load_b32 s2, s[2:3], 0x0
	s_waitcnt lgkmcnt(0)
	s_mul_i32 s4, s2, s4
	s_cbranch_execnz .LBB91_3
.LBB91_2:
	s_mul_i32 s4, s6, s5
.LBB91_3:
	s_load_b64 s[2:3], s[0:1], 0x30
	s_abs_i32 s14, s4
	s_waitcnt lgkmcnt(0)
	s_abs_i32 s11, s2
	s_delay_alu instid0(SALU_CYCLE_1) | instskip(SKIP_1) | instid1(VALU_DEP_1)
	v_cvt_f32_u32_e32 v1, s11
	s_sub_i32 s13, 0, s11
	v_rcp_iflag_f32_e32 v1, v1
	s_waitcnt_depctr 0xfff
	v_mul_f32_e32 v1, 0x4f7ffffe, v1
	s_delay_alu instid0(VALU_DEP_1) | instskip(NEXT) | instid1(VALU_DEP_1)
	v_cvt_u32_f32_e32 v1, v1
	v_readfirstlane_b32 s12, v1
	s_delay_alu instid0(VALU_DEP_1) | instskip(NEXT) | instid1(SALU_CYCLE_1)
	s_mul_i32 s13, s13, s12
	s_mul_hi_u32 s13, s12, s13
	s_delay_alu instid0(SALU_CYCLE_1) | instskip(SKIP_4) | instid1(SALU_CYCLE_1)
	s_add_i32 s12, s12, s13
	s_xor_b32 s13, s4, s2
	s_mul_hi_u32 s12, s14, s12
	s_ashr_i32 s13, s13, 31
	s_mul_i32 s16, s12, s11
	s_sub_i32 s14, s14, s16
	s_add_i32 s16, s12, 1
	s_sub_i32 s17, s14, s11
	s_cmp_ge_u32 s14, s11
	s_cselect_b32 s12, s16, s12
	s_cselect_b32 s14, s17, s14
	s_add_i32 s16, s12, 1
	s_cmp_ge_u32 s14, s11
	s_cselect_b32 s11, s16, s12
	s_delay_alu instid0(SALU_CYCLE_1) | instskip(NEXT) | instid1(SALU_CYCLE_1)
	s_xor_b32 s11, s11, s13
	s_sub_i32 s11, s11, s13
	s_mov_b32 s13, 0
	s_mul_i32 s2, s11, s2
	s_delay_alu instid0(SALU_CYCLE_1) | instskip(NEXT) | instid1(SALU_CYCLE_1)
	s_sub_i32 s4, s4, s2
	s_cmp_lt_u32 s15, s4
	s_cselect_b32 s2, -1, 0
	s_add_i32 s12, s11, 1
	s_cmp_ge_u32 s15, s4
	s_cbranch_scc0 .LBB91_5
; %bb.4:
	s_sub_i32 s14, s15, s4
	s_mul_i32 s4, s4, s12
	s_mul_i32 s14, s14, s11
	s_delay_alu instid0(SALU_CYCLE_1)
	s_add_i32 s4, s14, s4
	s_and_not1_b32 vcc_lo, exec_lo, s13
	s_cbranch_vccz .LBB91_6
	s_branch .LBB91_7
.LBB91_5:
                                        ; implicit-def: $sgpr4
.LBB91_6:
	s_mul_i32 s4, s12, s15
.LBB91_7:
	v_cndmask_b32_e64 v1, 0, 1, s2
	s_delay_alu instid0(VALU_DEP_1) | instskip(NEXT) | instid1(VALU_DEP_1)
	v_readfirstlane_b32 s2, v1
	s_add_i32 s11, s11, s2
	s_delay_alu instid0(SALU_CYCLE_1)
	s_cmp_lt_i32 s11, 1
	s_cbranch_scc1 .LBB91_18
; %bb.8:
	s_abs_i32 s34, s6
	s_abs_i32 s35, s5
	v_cvt_f32_u32_e32 v6, s34
	v_cvt_f32_u32_e32 v7, s35
	v_and_b32_e32 v3, 31, v0
	v_lshrrev_b32_e32 v4, 3, v0
	v_and_b32_e32 v5, 15, v0
	v_rcp_iflag_f32_e32 v6, v6
	v_rcp_iflag_f32_e32 v7, v7
	s_load_b256 s[12:19], s[0:1], 0x0
	s_add_i32 s1, s3, 15
	v_lshlrev_b32_e32 v2, 6, v0
	s_ashr_i32 s0, s1, 31
	v_cmp_eq_u32_e32 vcc_lo, 31, v3
	v_and_b32_e32 v3, 0x7c, v4
	v_lshlrev_b32_e32 v4, 2, v5
	s_lshr_b32 s2, s0, 28
	s_waitcnt_depctr 0xfff
	v_mul_f32_e32 v5, 0x4f7ffffe, v6
	v_dual_mul_f32 v6, 0x4f7ffffe, v7 :: v_dual_lshlrev_b32 v1, 5, v0
	s_add_i32 s1, s1, s2
	s_add_i32 s2, s3, 3
	s_mov_b32 s33, s3
	s_lshl_b32 s22, s3, 1
	s_lshl_b32 s26, s3, 2
	s_ashr_i32 s3, s2, 31
	v_cvt_u32_f32_e32 v5, v5
	s_lshr_b32 s3, s3, 30
	v_cvt_u32_f32_e32 v6, v6
	s_add_i32 s2, s2, s3
	s_sub_i32 s3, 0, s34
	s_and_b32 s30, s2, -4
	v_readfirstlane_b32 s2, v5
	v_readfirstlane_b32 s20, v6
	s_sub_i32 s21, 0, s35
	s_ashr_i32 s1, s1, 4
	v_cmp_eq_u32_e64 s0, 0, v0
	s_mul_i32 s3, s3, s2
	s_mul_i32 s21, s21, s20
	s_mul_hi_u32 s3, s2, s3
	v_cmp_gt_u32_e64 s1, s1, v0
	v_dual_mov_b32 v7, 0x43e00000 :: v_dual_lshlrev_b32 v0, 4, v0
	v_dual_mov_b32 v5, 0 :: v_dual_mov_b32 v6, 0xc3e00000
	s_mov_b32 s23, -1
	s_waitcnt lgkmcnt(0)
	s_and_b32 s19, s19, 0xffff
	s_add_i32 s37, s2, s3
	s_mul_hi_u32 s2, s20, s21
	s_mov_b32 s27, s23
	s_ashr_i32 s36, s6, 31
	s_ashr_i32 s38, s5, 31
	s_add_i32 s39, s20, s2
	s_mov_b32 s24, s18
	s_mov_b32 s25, s19
	;; [unrolled: 1-line block ×4, first 2 shown]
                                        ; implicit-def: $vgpr8
                                        ; implicit-def: $vgpr9
                                        ; implicit-def: $vgpr10
                                        ; implicit-def: $vgpr11
                                        ; implicit-def: $vgpr12
                                        ; implicit-def: $vgpr13
                                        ; implicit-def: $vgpr14
                                        ; implicit-def: $vgpr15
                                        ; implicit-def: $vgpr16
                                        ; implicit-def: $vgpr17
                                        ; implicit-def: $vgpr18
                                        ; implicit-def: $vgpr19
                                        ; implicit-def: $vgpr20
                                        ; implicit-def: $vgpr21
                                        ; implicit-def: $vgpr22
                                        ; implicit-def: $vgpr23
	s_branch .LBB91_10
.LBB91_9:                               ;   in Loop: Header=BB91_10 Depth=1
	s_or_b32 exec_lo, exec_lo, s3
	s_add_i32 s11, s11, -1
	s_add_i32 s4, s4, 1
	s_cmp_eq_u32 s11, 0
	s_cbranch_scc1 .LBB91_18
.LBB91_10:                              ; =>This Inner Loop Header: Depth=1
	s_abs_i32 s3, s4
	s_ashr_i32 s28, s4, 31
	s_mul_hi_u32 s2, s3, s37
	s_xor_b32 s21, s28, s36
	s_mul_i32 s20, s2, s34
	s_add_i32 s29, s2, 1
	s_sub_i32 s20, s3, s20
	s_delay_alu instid0(SALU_CYCLE_1)
	s_sub_i32 s31, s20, s34
	s_cmp_ge_u32 s20, s34
	s_cselect_b32 s2, s29, s2
	s_cselect_b32 s20, s31, s20
	s_add_i32 s29, s2, 1
	s_cmp_ge_u32 s20, s34
	s_cselect_b32 s2, s29, s2
	s_delay_alu instid0(SALU_CYCLE_1) | instskip(NEXT) | instid1(SALU_CYCLE_1)
	s_xor_b32 s2, s2, s21
	s_sub_i32 s2, s2, s21
	s_delay_alu instid0(SALU_CYCLE_1) | instskip(SKIP_2) | instid1(SALU_CYCLE_1)
	s_mul_i32 s20, s2, s6
	s_mul_i32 s2, s2, s7
	s_sub_i32 s20, s4, s20
	s_mul_i32 s20, s20, s8
	s_delay_alu instid0(SALU_CYCLE_1) | instskip(NEXT) | instid1(SALU_CYCLE_1)
	s_add_i32 s2, s20, s2
	s_cmp_eq_u32 s2, s19
	s_cbranch_scc1 .LBB91_12
; %bb.11:                               ;   in Loop: Header=BB91_10 Depth=1
	s_mul_hi_i32 s21, s2, s33
	s_mul_i32 s20, s2, s33
	s_delay_alu instid0(SALU_CYCLE_1) | instskip(NEXT) | instid1(SALU_CYCLE_1)
	s_lshl_b64 s[20:21], s[20:21], 1
	s_add_u32 s20, s16, s20
	s_addc_u32 s19, s17, s21
	s_delay_alu instid0(SALU_CYCLE_1)
	s_and_b32 s21, s19, 0xffff
	s_clause 0x1
	buffer_load_b128 v[8:11], v1, s[20:23], 0 offen
	buffer_load_b128 v[12:15], v1, s[20:23], 16 offen
	s_mov_b32 s19, s2
	s_waitcnt vmcnt(1)
	v_and_b32_e32 v16, 0xffff, v8
	v_lshrrev_b32_e32 v17, 16, v8
	v_and_b32_e32 v18, 0xffff, v9
	v_lshrrev_b32_e32 v19, 16, v9
	;; [unrolled: 2-line block ×4, first 2 shown]
	s_waitcnt vmcnt(0)
	v_and_b32_e32 v24, 0xffff, v12
	v_lshrrev_b32_e32 v25, 16, v12
	v_and_b32_e32 v26, 0xffff, v13
	v_lshrrev_b32_e32 v27, 16, v13
	;; [unrolled: 2-line block ×4, first 2 shown]
	v_cvt_f32_u32_e32 v8, v16
	v_cvt_f32_u32_e32 v9, v17
	;; [unrolled: 1-line block ×16, first 2 shown]
.LBB91_12:                              ;   in Loop: Header=BB91_10 Depth=1
	s_clause 0x3
	buffer_load_b128 v[24:27], v2, s[24:27], 0 offen
	buffer_load_b128 v[28:31], v2, s[24:27], 16 offen
	;; [unrolled: 1-line block ×4, first 2 shown]
	s_waitcnt vmcnt(3)
	v_dual_mul_f32 v38, v8, v24 :: v_dual_mul_f32 v39, v9, v25
	v_dual_mul_f32 v36, v10, v26 :: v_dual_mul_f32 v37, v11, v27
	s_waitcnt vmcnt(2)
	v_dual_mul_f32 v34, v12, v28 :: v_dual_mul_f32 v35, v13, v29
	s_delay_alu instid0(VALU_DEP_3) | instskip(SKIP_3) | instid1(VALU_DEP_3)
	v_max3_f32 v24, |v38|, 0x2edbe6ff, |v39|
	v_dual_mul_f32 v32, v14, v30 :: v_dual_mul_f32 v33, v15, v31
	s_waitcnt vmcnt(1)
	v_dual_mul_f32 v31, v16, v40 :: v_dual_mul_f32 v30, v17, v41
	v_max3_f32 v24, v24, |v36|, |v37|
	v_dual_mul_f32 v28, v18, v42 :: v_dual_mul_f32 v29, v19, v43
	s_waitcnt vmcnt(0)
	v_dual_mul_f32 v25, v20, v44 :: v_dual_mul_f32 v26, v21, v45
	s_delay_alu instid0(VALU_DEP_3) | instskip(SKIP_1) | instid1(VALU_DEP_2)
	v_max3_f32 v24, v24, |v34|, |v35|
	v_mul_f32_e32 v27, v23, v47
	v_max3_f32 v24, v24, |v32|, |v33|
	s_delay_alu instid0(VALU_DEP_1) | instskip(NEXT) | instid1(VALU_DEP_1)
	v_max3_f32 v24, v24, |v31|, |v30|
	v_max3_f32 v40, v24, |v28|, |v29|
	v_mul_f32_e32 v24, v22, v46
	s_delay_alu instid0(VALU_DEP_2) | instskip(NEXT) | instid1(VALU_DEP_1)
	v_max3_f32 v40, v40, |v25|, |v26|
	v_max3_f32 v40, v40, |v24|, |v27|
	s_delay_alu instid0(VALU_DEP_1) | instskip(NEXT) | instid1(VALU_DEP_1)
	v_mov_b32_dpp v41, v40 quad_perm:[1,0,3,2] row_mask:0xf bank_mask:0xf
	v_cmp_gt_f32_e64 s2, v40, v41
	s_delay_alu instid0(VALU_DEP_1) | instskip(NEXT) | instid1(VALU_DEP_1)
	v_cndmask_b32_e64 v40, v41, v40, s2
	v_mov_b32_dpp v41, v40 quad_perm:[2,3,0,1] row_mask:0xf bank_mask:0xf
	s_delay_alu instid0(VALU_DEP_1) | instskip(NEXT) | instid1(VALU_DEP_1)
	v_cmp_gt_f32_e64 s2, v40, v41
	v_cndmask_b32_e64 v40, v41, v40, s2
	s_delay_alu instid0(VALU_DEP_1) | instskip(NEXT) | instid1(VALU_DEP_1)
	v_mov_b32_dpp v41, v40 row_xmask:7 row_mask:0xf bank_mask:0xf
	v_cmp_gt_f32_e64 s2, v40, v41
	s_delay_alu instid0(VALU_DEP_1) | instskip(NEXT) | instid1(VALU_DEP_1)
	v_cndmask_b32_e64 v40, v41, v40, s2
	v_mov_b32_dpp v41, v40 row_xmask:15 row_mask:0xf bank_mask:0xf
	s_delay_alu instid0(VALU_DEP_1)
	v_cmp_gt_f32_e64 s2, v40, v41
	s_and_saveexec_b32 s20, vcc_lo
	s_cbranch_execz .LBB91_14
; %bb.13:                               ;   in Loop: Header=BB91_10 Depth=1
	s_delay_alu instid0(VALU_DEP_1) | instskip(NEXT) | instid1(VALU_DEP_1)
	v_cndmask_b32_e64 v40, v41, v40, s2
	v_permlanex16_b32 v41, v40, s18, 0xfedcba98 op_sel:[1,1]
	s_delay_alu instid0(VALU_DEP_1) | instskip(NEXT) | instid1(VALU_DEP_1)
	v_cmp_gt_f32_e64 s2, v40, v41
	v_cndmask_b32_e64 v40, v41, v40, s2
	ds_store_b32 v3, v40
.LBB91_14:                              ;   in Loop: Header=BB91_10 Depth=1
	s_or_b32 exec_lo, exec_lo, s20
	s_waitcnt lgkmcnt(0)
	s_waitcnt_vscnt null, 0x0
	s_barrier
	buffer_gl0_inv
	ds_load_b32 v40, v4
	s_mul_hi_u32 s20, s3, s39
	s_xor_b32 s28, s28, s38
	s_mul_i32 s21, s20, s35
	s_waitcnt lgkmcnt(0)
	v_mov_b32_dpp v41, v40 quad_perm:[1,0,3,2] row_mask:0xf bank_mask:0xf
	s_delay_alu instid0(VALU_DEP_1) | instskip(NEXT) | instid1(VALU_DEP_1)
	v_cmp_gt_f32_e64 s2, v40, v41
	v_cndmask_b32_e64 v40, v41, v40, s2
	s_delay_alu instid0(VALU_DEP_1) | instskip(NEXT) | instid1(VALU_DEP_1)
	v_mov_b32_dpp v41, v40 quad_perm:[2,3,0,1] row_mask:0xf bank_mask:0xf
	v_cmp_gt_f32_e64 s2, v40, v41
	s_delay_alu instid0(VALU_DEP_1)
	v_cndmask_b32_e64 v40, v41, v40, s2
	s_sub_i32 s2, s3, s21
	s_add_i32 s3, s20, 1
	s_sub_i32 s21, s2, s35
	s_cmp_ge_u32 s2, s35
	v_mov_b32_dpp v41, v40 row_xmask:7 row_mask:0xf bank_mask:0xf
	s_cselect_b32 s3, s3, s20
	s_cselect_b32 s20, s21, s2
	s_delay_alu instid0(VALU_DEP_1) | instskip(NEXT) | instid1(VALU_DEP_1)
	v_cmp_gt_f32_e64 s2, v40, v41
	v_cndmask_b32_e64 v40, v41, v40, s2
	s_add_i32 s2, s3, 1
	s_cmp_ge_u32 s20, s35
	s_cselect_b32 s2, s2, s3
	s_delay_alu instid0(VALU_DEP_1) | instskip(SKIP_1) | instid1(SALU_CYCLE_1)
	v_mov_b32_dpp v41, v40 row_xmask:15 row_mask:0xf bank_mask:0xf
	s_xor_b32 s2, s2, s28
	s_sub_i32 s3, s2, s28
	s_delay_alu instid0(VALU_DEP_1) | instskip(NEXT) | instid1(VALU_DEP_1)
	v_cmp_gt_f32_e64 s2, v40, v41
	v_cndmask_b32_e64 v40, v41, v40, s2
	s_mul_i32 s2, s3, s5
	s_mul_i32 s3, s3, s9
	s_sub_i32 s2, s4, s2
	s_delay_alu instid0(VALU_DEP_1) | instskip(SKIP_1) | instid1(SALU_CYCLE_1)
	v_mul_f32_e32 v40, 0x3b124925, v40
	s_mul_i32 s2, s2, s10
	s_add_i32 s2, s2, s3
	s_and_saveexec_b32 s20, s0
	s_cbranch_execz .LBB91_16
; %bb.15:                               ;   in Loop: Header=BB91_10 Depth=1
	s_ashr_i32 s3, s2, 31
	s_delay_alu instid0(SALU_CYCLE_1) | instskip(NEXT) | instid1(SALU_CYCLE_1)
	s_lshl_b64 s[28:29], s[2:3], 2
	s_add_u32 s28, s14, s28
	s_addc_u32 s29, s15, s29
	global_store_b32 v5, v40, s[28:29]
.LBB91_16:                              ;   in Loop: Header=BB91_10 Depth=1
	s_or_b32 exec_lo, exec_lo, s20
	s_and_saveexec_b32 s3, s1
	s_cbranch_execz .LBB91_9
; %bb.17:                               ;   in Loop: Header=BB91_10 Depth=1
	v_rcp_f32_e32 v40, v40
	s_mul_i32 s20, s2, s33
	s_mul_hi_i32 s2, s2, s33
	s_add_u32 s28, s12, s20
	s_addc_u32 s2, s13, s2
	s_mov_b32 s31, s23
	s_and_b32 s29, s2, 0xffff
	s_waitcnt_depctr 0xfff
	v_mul_f32_e32 v38, v38, v40
	v_mul_f32_e32 v39, v39, v40
	;; [unrolled: 1-line block ×5, first 2 shown]
	;;#ASMSTART
	v_med3_f32 v38, v38, v6, v7
v_med3_f32 v39, v39, v6, v7
v_cvt_pk_fp8_f32 v31, v38, v39
	;;#ASMEND
	;;#ASMSTART
	v_med3_f32 v36, v36, v6, v7
v_med3_f32 v37, v37, v6, v7
v_cvt_pk_fp8_f32 v38, v36, v37
	;;#ASMEND
	v_perm_b32 v36, v38, v31, 0x5040100
	v_mul_f32_e32 v34, v34, v40
	v_mul_f32_e32 v35, v35, v40
	v_mul_f32_e32 v32, v32, v40
	v_mul_f32_e32 v33, v33, v40
	v_mul_f32_e32 v37, v30, v40
	;;#ASMSTART
	v_med3_f32 v34, v34, v6, v7
v_med3_f32 v35, v35, v6, v7
v_cvt_pk_fp8_f32 v30, v34, v35
	;;#ASMEND
	;;#ASMSTART
	v_med3_f32 v32, v32, v6, v7
v_med3_f32 v33, v33, v6, v7
v_cvt_pk_fp8_f32 v31, v32, v33
	;;#ASMEND
	v_mul_f32_e32 v28, v28, v40
	v_mul_f32_e32 v29, v29, v40
	;; [unrolled: 1-line block ×4, first 2 shown]
	;;#ASMSTART
	v_med3_f32 v41, v41, v6, v7
v_med3_f32 v37, v37, v6, v7
v_cvt_pk_fp8_f32 v32, v41, v37
	;;#ASMEND
	;;#ASMSTART
	v_med3_f32 v28, v28, v6, v7
v_med3_f32 v29, v29, v6, v7
v_cvt_pk_fp8_f32 v33, v28, v29
	;;#ASMEND
	v_mul_f32_e32 v24, v24, v40
	v_mul_f32_e32 v27, v27, v40
	;;#ASMSTART
	v_med3_f32 v25, v25, v6, v7
v_med3_f32 v26, v26, v6, v7
v_cvt_pk_fp8_f32 v28, v25, v26
	;;#ASMEND
	v_perm_b32 v31, v30, v31, 0x1000504
	v_perm_b32 v30, v36, v38, 0x1060504
	;; [unrolled: 1-line block ×3, first 2 shown]
	;;#ASMSTART
	v_med3_f32 v24, v24, v6, v7
v_med3_f32 v27, v27, v6, v7
v_cvt_pk_fp8_f32 v25, v24, v27
	;;#ASMEND
	v_perm_b32 v33, v28, v25, 0x1000504
	buffer_store_b128 v[30:33], v0, s[28:31], 0 offen
	;;#ASMSTART
	s_nop 0
	;;#ASMEND
	s_branch .LBB91_9
.LBB91_18:
	s_nop 0
	s_sendmsg sendmsg(MSG_DEALLOC_VGPRS)
	s_endpgm
.LBB91_19:
                                        ; implicit-def: $sgpr4
	s_branch .LBB91_2
	.section	.rodata,"a",@progbits
	.p2align	6, 0x0
	.amdhsa_kernel _ZN5aiter36smooth_per_token_scaled_quant_kernelItDB8_Li512ELi16ELb1ELb0ELb0ELi1024EEEvPT0_PfPT_S4_PiS7_iiPKiiiiiiiii
		.amdhsa_group_segment_fixed_size 64
		.amdhsa_private_segment_fixed_size 0
		.amdhsa_kernarg_size 96
		.amdhsa_user_sgpr_count 15
		.amdhsa_user_sgpr_dispatch_ptr 0
		.amdhsa_user_sgpr_queue_ptr 0
		.amdhsa_user_sgpr_kernarg_segment_ptr 1
		.amdhsa_user_sgpr_dispatch_id 0
		.amdhsa_user_sgpr_private_segment_size 0
		.amdhsa_wavefront_size32 1
		.amdhsa_uses_dynamic_stack 0
		.amdhsa_enable_private_segment 0
		.amdhsa_system_sgpr_workgroup_id_x 1
		.amdhsa_system_sgpr_workgroup_id_y 0
		.amdhsa_system_sgpr_workgroup_id_z 0
		.amdhsa_system_sgpr_workgroup_info 0
		.amdhsa_system_vgpr_workitem_id 0
		.amdhsa_next_free_vgpr 48
		.amdhsa_next_free_sgpr 40
		.amdhsa_reserve_vcc 1
		.amdhsa_float_round_mode_32 0
		.amdhsa_float_round_mode_16_64 0
		.amdhsa_float_denorm_mode_32 3
		.amdhsa_float_denorm_mode_16_64 3
		.amdhsa_dx10_clamp 1
		.amdhsa_ieee_mode 1
		.amdhsa_fp16_overflow 0
		.amdhsa_workgroup_processor_mode 1
		.amdhsa_memory_ordered 1
		.amdhsa_forward_progress 0
		.amdhsa_shared_vgpr_count 0
		.amdhsa_exception_fp_ieee_invalid_op 0
		.amdhsa_exception_fp_denorm_src 0
		.amdhsa_exception_fp_ieee_div_zero 0
		.amdhsa_exception_fp_ieee_overflow 0
		.amdhsa_exception_fp_ieee_underflow 0
		.amdhsa_exception_fp_ieee_inexact 0
		.amdhsa_exception_int_div_zero 0
	.end_amdhsa_kernel
	.section	.text._ZN5aiter36smooth_per_token_scaled_quant_kernelItDB8_Li512ELi16ELb1ELb0ELb0ELi1024EEEvPT0_PfPT_S4_PiS7_iiPKiiiiiiiii,"axG",@progbits,_ZN5aiter36smooth_per_token_scaled_quant_kernelItDB8_Li512ELi16ELb1ELb0ELb0ELi1024EEEvPT0_PfPT_S4_PiS7_iiPKiiiiiiiii,comdat
.Lfunc_end91:
	.size	_ZN5aiter36smooth_per_token_scaled_quant_kernelItDB8_Li512ELi16ELb1ELb0ELb0ELi1024EEEvPT0_PfPT_S4_PiS7_iiPKiiiiiiiii, .Lfunc_end91-_ZN5aiter36smooth_per_token_scaled_quant_kernelItDB8_Li512ELi16ELb1ELb0ELb0ELi1024EEEvPT0_PfPT_S4_PiS7_iiPKiiiiiiiii
                                        ; -- End function
	.section	.AMDGPU.csdata,"",@progbits
; Kernel info:
; codeLenInByte = 2292
; NumSgprs: 42
; NumVgprs: 48
; ScratchSize: 0
; MemoryBound: 0
; FloatMode: 240
; IeeeMode: 1
; LDSByteSize: 64 bytes/workgroup (compile time only)
; SGPRBlocks: 5
; VGPRBlocks: 5
; NumSGPRsForWavesPerEU: 42
; NumVGPRsForWavesPerEU: 48
; Occupancy: 16
; WaveLimiterHint : 0
; COMPUTE_PGM_RSRC2:SCRATCH_EN: 0
; COMPUTE_PGM_RSRC2:USER_SGPR: 15
; COMPUTE_PGM_RSRC2:TRAP_HANDLER: 0
; COMPUTE_PGM_RSRC2:TGID_X_EN: 1
; COMPUTE_PGM_RSRC2:TGID_Y_EN: 0
; COMPUTE_PGM_RSRC2:TGID_Z_EN: 0
; COMPUTE_PGM_RSRC2:TIDIG_COMP_CNT: 0
	.section	.text._ZN5aiter36smooth_per_token_scaled_quant_kernelIDF16_DB8_Li512ELi16ELb0ELb1ELb1ELi1024EEEvPT0_PfPT_S4_PiS7_iiPKiiiiiiiii,"axG",@progbits,_ZN5aiter36smooth_per_token_scaled_quant_kernelIDF16_DB8_Li512ELi16ELb0ELb1ELb1ELi1024EEEvPT0_PfPT_S4_PiS7_iiPKiiiiiiiii,comdat
	.protected	_ZN5aiter36smooth_per_token_scaled_quant_kernelIDF16_DB8_Li512ELi16ELb0ELb1ELb1ELi1024EEEvPT0_PfPT_S4_PiS7_iiPKiiiiiiiii ; -- Begin function _ZN5aiter36smooth_per_token_scaled_quant_kernelIDF16_DB8_Li512ELi16ELb0ELb1ELb1ELi1024EEEvPT0_PfPT_S4_PiS7_iiPKiiiiiiiii
	.globl	_ZN5aiter36smooth_per_token_scaled_quant_kernelIDF16_DB8_Li512ELi16ELb0ELb1ELb1ELi1024EEEvPT0_PfPT_S4_PiS7_iiPKiiiiiiiii
	.p2align	8
	.type	_ZN5aiter36smooth_per_token_scaled_quant_kernelIDF16_DB8_Li512ELi16ELb0ELb1ELb1ELi1024EEEvPT0_PfPT_S4_PiS7_iiPKiiiiiiiii,@function
_ZN5aiter36smooth_per_token_scaled_quant_kernelIDF16_DB8_Li512ELi16ELb0ELb1ELb1ELi1024EEEvPT0_PfPT_S4_PiS7_iiPKiiiiiiiii: ; @_ZN5aiter36smooth_per_token_scaled_quant_kernelIDF16_DB8_Li512ELi16ELb0ELb1ELb1ELi1024EEEvPT0_PfPT_S4_PiS7_iiPKiiiiiiiii
; %bb.0:
	s_clause 0x2
	s_load_b64 s[2:3], s[0:1], 0x38
	s_load_b64 s[16:17], s[0:1], 0x28
	s_load_b256 s[4:11], s[0:1], 0x40
	s_waitcnt lgkmcnt(0)
	s_cmp_lg_u64 s[2:3], 0
	s_cbranch_scc0 .LBB92_11
; %bb.1:
	s_load_b32 s2, s[2:3], 0x0
	s_waitcnt lgkmcnt(0)
	s_mul_i32 s4, s2, s4
	s_cbranch_execnz .LBB92_3
.LBB92_2:
	s_mul_i32 s4, s6, s5
.LBB92_3:
	v_lshlrev_b32_e32 v1, 2, v0
	s_lshl_b32 s18, s11, 2
	s_and_b32 s17, s17, 0xffff
	s_mov_b32 s19, -1
	s_load_b64 s[2:3], s[0:1], 0x30
	s_clause 0x1
	buffer_load_b32 v2, v1, s[16:19], 0 offen
	buffer_load_b32 v3, v1, s[16:19], 0 offen offset:2048
	s_abs_i32 s13, s4
	s_waitcnt lgkmcnt(0)
	s_abs_i32 s5, s2
	s_delay_alu instid0(SALU_CYCLE_1) | instskip(SKIP_1) | instid1(VALU_DEP_1)
	v_cvt_f32_u32_e32 v4, s5
	s_sub_i32 s12, 0, s5
	v_rcp_iflag_f32_e32 v4, v4
	s_waitcnt_depctr 0xfff
	v_mul_f32_e32 v4, 0x4f7ffffe, v4
	s_delay_alu instid0(VALU_DEP_1) | instskip(NEXT) | instid1(VALU_DEP_1)
	v_cvt_u32_f32_e32 v4, v4
	v_readfirstlane_b32 s11, v4
	s_delay_alu instid0(VALU_DEP_1) | instskip(NEXT) | instid1(SALU_CYCLE_1)
	s_mul_i32 s12, s12, s11
	s_mul_hi_u32 s12, s11, s12
	s_delay_alu instid0(SALU_CYCLE_1) | instskip(SKIP_4) | instid1(SALU_CYCLE_1)
	s_add_i32 s11, s11, s12
	s_xor_b32 s12, s4, s2
	s_mul_hi_u32 s11, s13, s11
	s_ashr_i32 s12, s12, 31
	s_mul_i32 s14, s11, s5
	s_sub_i32 s13, s13, s14
	s_add_i32 s14, s11, 1
	s_sub_i32 s16, s13, s5
	s_cmp_ge_u32 s13, s5
	s_cselect_b32 s11, s14, s11
	s_cselect_b32 s13, s16, s13
	s_add_i32 s14, s11, 1
	s_cmp_ge_u32 s13, s5
	s_cselect_b32 s5, s14, s11
	s_delay_alu instid0(SALU_CYCLE_1) | instskip(NEXT) | instid1(SALU_CYCLE_1)
	s_xor_b32 s5, s5, s12
	s_sub_i32 s11, s5, s12
	s_delay_alu instid0(SALU_CYCLE_1) | instskip(NEXT) | instid1(SALU_CYCLE_1)
	s_mul_i32 s2, s11, s2
	s_sub_i32 s12, s4, s2
                                        ; implicit-def: $sgpr4
	s_delay_alu instid0(SALU_CYCLE_1)
	s_cmp_lt_u32 s15, s12
	s_cselect_b32 s2, -1, 0
	s_add_i32 s5, s11, 1
	s_cmp_ge_u32 s15, s12
	s_waitcnt vmcnt(0)
	ds_store_2addr_stride64_b32 v1, v2, v3 offset1:8
	s_cbranch_scc0 .LBB92_5
; %bb.4:
	s_sub_i32 s4, s15, s12
	s_mul_i32 s12, s12, s5
	s_mul_i32 s4, s4, s11
	s_mov_b32 s19, 0
	s_add_i32 s4, s4, s12
.LBB92_5:
	s_and_not1_b32 vcc_lo, exec_lo, s19
	s_cbranch_vccnz .LBB92_7
; %bb.6:
	s_mul_i32 s4, s5, s15
.LBB92_7:
	v_cndmask_b32_e64 v1, 0, 1, s2
	s_delay_alu instid0(VALU_DEP_1) | instskip(NEXT) | instid1(VALU_DEP_1)
	v_readfirstlane_b32 s2, v1
	s_add_i32 s11, s11, s2
	s_delay_alu instid0(SALU_CYCLE_1)
	s_cmp_lt_i32 s11, 1
	s_cbranch_scc1 .LBB92_35
; %bb.8:
	s_load_b64 s[12:13], s[0:1], 0x20
	s_ashr_i32 s5, s4, 31
	v_and_b32_e32 v1, 31, v0
	s_lshl_b64 s[14:15], s[4:5], 2
	s_mov_b32 s34, -1
	v_and_b32_e32 v4, 15, v0
	s_mov_b32 s23, s34
	v_cmp_eq_u32_e32 vcc_lo, 31, v1
	v_lshlrev_b32_e32 v16, 5, v0
	v_lshlrev_b32_e32 v17, 6, v0
	v_lshl_or_b32 v19, v4, 2, 0x1000
	v_lshlrev_b32_e32 v21, 4, v0
	s_mov_b32 s41, s3
	s_waitcnt lgkmcnt(0)
	s_add_u32 s20, s12, s14
	s_addc_u32 s2, s13, s15
	s_abs_i32 s33, s6
	s_lshl_b32 s22, s11, 2
	v_cvt_f32_u32_e32 v3, s33
	s_and_b32 s21, s2, 0xffff
	s_load_b256 s[12:19], s[0:1], 0x0
	s_movk_i32 s0, 0x7c
	s_add_i32 s1, s3, 15
	v_rcp_iflag_f32_e32 v3, v3
	v_lshlrev_b32_e32 v22, 2, v1
	v_lshrrev_b32_e32 v1, 3, v0
	s_ashr_i32 s2, s1, 31
	s_lshl_b32 s26, s3, 1
	s_lshr_b32 s2, s2, 28
	s_lshl_b32 s30, s3, 2
	v_and_or_b32 v18, v1, s0, 0x1000
	s_add_i32 s1, s1, s2
	v_cmp_eq_u32_e64 s0, 0, v0
	s_waitcnt_depctr 0xfff
	v_mul_f32_e32 v1, 0x4f7ffffe, v3
	buffer_load_b32 v2, v22, s[20:23], 0 offen
	s_waitcnt vmcnt(0) expcnt(0) lgkmcnt(0)
	s_barrier
	buffer_gl0_inv
	v_cvt_u32_f32_e32 v1, v1
	s_add_i32 s23, s3, 3
	s_ashr_i32 s1, s1, 4
	s_ashr_i32 s2, s23, 31
	v_cmp_gt_u32_e64 s1, s1, v0
	v_readfirstlane_b32 s40, v1
	s_lshr_b32 s2, s2, 30
	s_ashr_i32 s35, s6, 31
	s_add_i32 s23, s23, s2
	s_sub_i32 s2, 0, s33
	s_and_b32 s38, s23, -4
	s_mul_i32 s23, s2, s40
	s_delay_alu instid0(SALU_CYCLE_1) | instskip(NEXT) | instid1(SALU_CYCLE_1)
	s_mul_hi_u32 s23, s40, s23
	s_add_i32 s40, s40, s23
	v_lshlrev_b32_e32 v2, 2, v2
	ds_load_b32 v20, v2
	s_waitcnt lgkmcnt(0)
	v_readlane_b32 s2, v20, 0
	s_delay_alu instid0(VALU_DEP_1)
	s_cmp_lt_i32 s2, 0
	s_cbranch_scc1 .LBB92_12
; %bb.9:
	s_abs_i32 s23, s4
	s_xor_b32 s5, s5, s35
	s_mul_hi_u32 s24, s23, s40
	s_mov_b32 s31, -1
	s_mul_i32 s25, s24, s33
	s_delay_alu instid0(SALU_CYCLE_1)
	s_sub_i32 s23, s23, s25
	s_add_i32 s25, s24, 1
	s_sub_i32 s27, s23, s33
	s_cmp_ge_u32 s23, s33
	s_cselect_b32 s24, s25, s24
	s_cselect_b32 s23, s27, s23
	s_add_i32 s25, s24, 1
	s_cmp_ge_u32 s23, s33
	s_cselect_b32 s23, s25, s24
	s_delay_alu instid0(SALU_CYCLE_1) | instskip(NEXT) | instid1(SALU_CYCLE_1)
	s_xor_b32 s23, s23, s5
	s_sub_i32 s5, s23, s5
	s_delay_alu instid0(SALU_CYCLE_1) | instskip(SKIP_2) | instid1(SALU_CYCLE_1)
	s_mul_i32 s23, s5, s6
	s_mul_i32 s25, s5, s7
	s_sub_i32 s23, s4, s23
	s_mul_i32 s24, s23, s8
	s_delay_alu instid0(SALU_CYCLE_1) | instskip(NEXT) | instid1(SALU_CYCLE_1)
	s_add_i32 s34, s24, s25
	s_cmp_eq_u32 s34, -1
	s_cbranch_scc1 .LBB92_13
; %bb.10:
	s_mul_hi_i32 s25, s34, s41
	s_mul_i32 s24, s34, s41
	s_mov_b32 s27, s31
	s_lshl_b64 s[24:25], s[24:25], 1
	s_delay_alu instid0(SALU_CYCLE_1) | instskip(SKIP_1) | instid1(SALU_CYCLE_1)
	s_add_u32 s24, s16, s24
	s_addc_u32 s25, s17, s25
	s_and_b32 s25, s25, 0xffff
	s_clause 0x1
	buffer_load_b128 v[4:7], v16, s[24:27], 0 offen
	buffer_load_b128 v[12:15], v16, s[24:27], 16 offen
	s_waitcnt vmcnt(1)
	v_cvt_f32_f16_e32 v0, v4
	v_lshrrev_b32_e32 v1, 16, v4
	v_cvt_f32_f16_e32 v2, v5
	v_lshrrev_b32_e32 v3, 16, v5
	;; [unrolled: 2-line block ×4, first 2 shown]
	s_waitcnt vmcnt(0)
	v_cvt_f32_f16_e32 v8, v12
	v_lshrrev_b32_e32 v9, 16, v12
	v_cvt_f32_f16_e32 v10, v13
	v_lshrrev_b32_e32 v11, 16, v13
	;; [unrolled: 2-line block ×4, first 2 shown]
	v_cvt_f32_f16_e32 v1, v1
	v_cvt_f32_f16_e32 v3, v3
	;; [unrolled: 1-line block ×8, first 2 shown]
	s_branch .LBB92_14
.LBB92_11:
                                        ; implicit-def: $sgpr4
	s_branch .LBB92_2
.LBB92_12:
                                        ; implicit-def: $vgpr0_vgpr1_vgpr2_vgpr3_vgpr4_vgpr5_vgpr6_vgpr7_vgpr8_vgpr9_vgpr10_vgpr11_vgpr12_vgpr13_vgpr14_vgpr15
	s_cmp_eq_u32 s11, 1
	s_mov_b32 s5, 1
	s_cbranch_scc0 .LBB92_21
	s_branch .LBB92_35
.LBB92_13:
                                        ; implicit-def: $vgpr0_vgpr1_vgpr2_vgpr3_vgpr4_vgpr5_vgpr6_vgpr7_vgpr8_vgpr9_vgpr10_vgpr11_vgpr12_vgpr13_vgpr14_vgpr15
.LBB92_14:
	s_mul_i32 s24, s2, s3
	s_delay_alu instid0(SALU_CYCLE_1) | instskip(NEXT) | instid1(SALU_CYCLE_1)
	s_ashr_i32 s25, s24, 31
	s_lshl_b64 s[24:25], s[24:25], 2
	s_delay_alu instid0(SALU_CYCLE_1) | instskip(SKIP_1) | instid1(SALU_CYCLE_1)
	s_add_u32 s28, s18, s24
	s_addc_u32 s2, s19, s25
	s_and_b32 s29, s2, 0xffff
	s_clause 0x3
	buffer_load_b128 v[23:26], v17, s[28:31], 0 offen
	buffer_load_b128 v[27:30], v17, s[28:31], 16 offen
	;; [unrolled: 1-line block ×4, first 2 shown]
	s_waitcnt vmcnt(3)
	v_dual_mul_f32 v37, v0, v23 :: v_dual_mul_f32 v38, v1, v24
	v_dual_mul_f32 v35, v2, v25 :: v_dual_mul_f32 v36, v3, v26
	s_waitcnt vmcnt(2)
	v_dual_mul_f32 v33, v4, v27 :: v_dual_mul_f32 v34, v5, v28
	s_delay_alu instid0(VALU_DEP_3) | instskip(SKIP_3) | instid1(VALU_DEP_3)
	v_max3_f32 v23, |v37|, 0x2edbe6ff, |v38|
	v_dual_mul_f32 v31, v6, v29 :: v_dual_mul_f32 v32, v7, v30
	s_waitcnt vmcnt(1)
	v_dual_mul_f32 v29, v8, v39 :: v_dual_mul_f32 v30, v9, v40
	v_max3_f32 v23, v23, |v35|, |v36|
	v_dual_mul_f32 v27, v10, v41 :: v_dual_mul_f32 v28, v11, v42
	s_waitcnt vmcnt(0)
	v_dual_mul_f32 v25, v12, v43 :: v_dual_mul_f32 v26, v13, v44
	s_delay_alu instid0(VALU_DEP_3) | instskip(SKIP_1) | instid1(VALU_DEP_2)
	v_max3_f32 v23, v23, |v33|, |v34|
	v_mul_f32_e32 v24, v15, v46
	v_max3_f32 v23, v23, |v31|, |v32|
	s_delay_alu instid0(VALU_DEP_1) | instskip(NEXT) | instid1(VALU_DEP_1)
	v_max3_f32 v23, v23, |v29|, |v30|
	v_max3_f32 v39, v23, |v27|, |v28|
	v_mul_f32_e32 v23, v14, v45
	s_delay_alu instid0(VALU_DEP_2) | instskip(NEXT) | instid1(VALU_DEP_1)
	v_max3_f32 v39, v39, |v25|, |v26|
	v_max3_f32 v39, v39, |v23|, |v24|
	s_delay_alu instid0(VALU_DEP_1) | instskip(NEXT) | instid1(VALU_DEP_1)
	v_mov_b32_dpp v40, v39 quad_perm:[1,0,3,2] row_mask:0xf bank_mask:0xf
	v_cmp_gt_f32_e64 s2, v39, v40
	s_delay_alu instid0(VALU_DEP_1) | instskip(NEXT) | instid1(VALU_DEP_1)
	v_cndmask_b32_e64 v39, v40, v39, s2
	v_mov_b32_dpp v40, v39 quad_perm:[2,3,0,1] row_mask:0xf bank_mask:0xf
	s_delay_alu instid0(VALU_DEP_1) | instskip(NEXT) | instid1(VALU_DEP_1)
	v_cmp_gt_f32_e64 s2, v39, v40
	v_cndmask_b32_e64 v39, v40, v39, s2
	s_delay_alu instid0(VALU_DEP_1) | instskip(NEXT) | instid1(VALU_DEP_1)
	v_mov_b32_dpp v40, v39 row_xmask:7 row_mask:0xf bank_mask:0xf
	v_cmp_gt_f32_e64 s2, v39, v40
	s_delay_alu instid0(VALU_DEP_1) | instskip(NEXT) | instid1(VALU_DEP_1)
	v_cndmask_b32_e64 v39, v40, v39, s2
	v_mov_b32_dpp v40, v39 row_xmask:15 row_mask:0xf bank_mask:0xf
	s_delay_alu instid0(VALU_DEP_1)
	v_cmp_gt_f32_e64 s2, v39, v40
	s_and_saveexec_b32 s24, vcc_lo
	s_cbranch_execz .LBB92_16
; %bb.15:
	s_delay_alu instid0(VALU_DEP_1)
	v_cndmask_b32_e64 v39, v40, v39, s2
	s_mov_b32 s2, 0x76543210
	s_delay_alu instid0(VALU_DEP_1) | instid1(SALU_CYCLE_1)
	v_permlanex16_b32 v40, v39, s2, 0xfedcba98 op_sel:[1,1]
	s_delay_alu instid0(VALU_DEP_1) | instskip(NEXT) | instid1(VALU_DEP_1)
	v_cmp_gt_f32_e64 s2, v39, v40
	v_cndmask_b32_e64 v39, v40, v39, s2
	ds_store_b32 v18, v39
.LBB92_16:
	s_or_b32 exec_lo, exec_lo, s24
	s_waitcnt lgkmcnt(0)
	s_barrier
	buffer_gl0_inv
	ds_load_b32 v39, v19
	s_mul_i32 s5, s5, s9
	s_waitcnt lgkmcnt(0)
	v_mov_b32_dpp v40, v39 quad_perm:[1,0,3,2] row_mask:0xf bank_mask:0xf
	s_delay_alu instid0(VALU_DEP_1) | instskip(NEXT) | instid1(VALU_DEP_1)
	v_cmp_gt_f32_e64 s2, v39, v40
	v_cndmask_b32_e64 v39, v40, v39, s2
	s_delay_alu instid0(VALU_DEP_1) | instskip(NEXT) | instid1(VALU_DEP_1)
	v_mov_b32_dpp v40, v39 quad_perm:[2,3,0,1] row_mask:0xf bank_mask:0xf
	v_cmp_gt_f32_e64 s2, v39, v40
	s_delay_alu instid0(VALU_DEP_1) | instskip(NEXT) | instid1(VALU_DEP_1)
	v_cndmask_b32_e64 v39, v40, v39, s2
	v_mov_b32_dpp v40, v39 row_xmask:7 row_mask:0xf bank_mask:0xf
	s_delay_alu instid0(VALU_DEP_1) | instskip(NEXT) | instid1(VALU_DEP_1)
	v_cmp_gt_f32_e64 s2, v39, v40
	v_cndmask_b32_e64 v39, v40, v39, s2
	s_delay_alu instid0(VALU_DEP_1) | instskip(NEXT) | instid1(VALU_DEP_1)
	v_mov_b32_dpp v40, v39 row_xmask:15 row_mask:0xf bank_mask:0xf
	v_cmp_gt_f32_e64 s2, v39, v40
	s_delay_alu instid0(VALU_DEP_1) | instskip(SKIP_1) | instid1(SALU_CYCLE_1)
	v_cndmask_b32_e64 v39, v40, v39, s2
	s_mul_i32 s2, s23, s10
	s_add_i32 s24, s2, s5
	s_delay_alu instid0(VALU_DEP_1)
	v_mul_f32_e32 v39, 0x3b124925, v39
	s_and_saveexec_b32 s2, s0
	s_cbranch_execz .LBB92_18
; %bb.17:
	s_ashr_i32 s25, s24, 31
	v_mov_b32_e32 v40, 0
	s_lshl_b64 s[28:29], s[24:25], 2
	s_delay_alu instid0(SALU_CYCLE_1)
	s_add_u32 s28, s14, s28
	s_addc_u32 s29, s15, s29
	global_store_b32 v40, v39, s[28:29]
.LBB92_18:
	s_or_b32 exec_lo, exec_lo, s2
	s_and_saveexec_b32 s2, s1
	s_cbranch_execz .LBB92_20
; %bb.19:
	v_rcp_f32_e32 v39, v39
	v_mov_b32_e32 v40, 0xc3e00000
	v_mov_b32_e32 v41, 0x43e00000
	s_mul_i32 s23, s24, s41
	s_mul_hi_i32 s5, s24, s41
	s_add_u32 s36, s12, s23
	s_addc_u32 s5, s13, s5
	s_mov_b32 s39, -1
	s_and_b32 s37, s5, 0xffff
	s_waitcnt_depctr 0xfff
	v_mul_f32_e32 v38, v38, v39
	v_mul_f32_e32 v37, v37, v39
	;; [unrolled: 1-line block ×4, first 2 shown]
	;;#ASMSTART
	v_med3_f32 v37, v37, v40, v41
v_med3_f32 v38, v38, v40, v41
v_cvt_pk_fp8_f32 v42, v37, v38
	;;#ASMEND
	v_mul_f32_e32 v33, v33, v39
	v_mul_f32_e32 v34, v34, v39
	;;#ASMSTART
	v_med3_f32 v35, v35, v40, v41
v_med3_f32 v36, v36, v40, v41
v_cvt_pk_fp8_f32 v37, v35, v36
	;;#ASMEND
	v_mul_f32_e32 v31, v31, v39
	v_mul_f32_e32 v32, v32, v39
	v_perm_b32 v35, v37, v42, 0x5040100
	;;#ASMSTART
	v_med3_f32 v33, v33, v40, v41
v_med3_f32 v34, v34, v40, v41
v_cvt_pk_fp8_f32 v36, v33, v34
	;;#ASMEND
	;;#ASMSTART
	v_med3_f32 v31, v31, v40, v41
v_med3_f32 v32, v32, v40, v41
v_cvt_pk_fp8_f32 v33, v31, v32
	;;#ASMEND
	v_mul_f32_e32 v29, v29, v39
	v_mul_f32_e32 v30, v30, v39
	v_perm_b32 v32, v36, v33, 0x1000504
	v_mul_f32_e32 v27, v27, v39
	v_mul_f32_e32 v28, v28, v39
	;;#ASMSTART
	v_med3_f32 v29, v29, v40, v41
v_med3_f32 v30, v30, v40, v41
v_cvt_pk_fp8_f32 v33, v29, v30
	;;#ASMEND
	v_mul_f32_e32 v25, v25, v39
	v_mul_f32_e32 v26, v26, v39
	;;#ASMSTART
	v_med3_f32 v27, v27, v40, v41
v_med3_f32 v28, v28, v40, v41
v_cvt_pk_fp8_f32 v29, v27, v28
	;;#ASMEND
	;; [unrolled: 7-line block ×3, first 2 shown]
	v_perm_b32 v31, v35, v37, 0x1060504
	v_perm_b32 v33, v33, v29, 0x1000504
	;;#ASMSTART
	v_med3_f32 v23, v23, v40, v41
v_med3_f32 v24, v24, v40, v41
v_cvt_pk_fp8_f32 v25, v23, v24
	;;#ASMEND
	v_perm_b32 v34, v27, v25, 0x1000504
	buffer_store_b128 v[31:34], v21, s[36:39], 0 offen
	;;#ASMSTART
	s_nop 0
	;;#ASMEND
.LBB92_20:
	s_or_b32 exec_lo, exec_lo, s2
	s_cmp_eq_u32 s11, 1
	s_mov_b32 s5, 1
	s_cbranch_scc1 .LBB92_35
.LBB92_21:
	v_dual_mov_b32 v23, 0 :: v_dual_add_nc_u32 v22, 4, v22
	v_mov_b32_e32 v24, 0xc3e00000
	v_mov_b32_e32 v25, 0x43e00000
	s_mov_b32 s31, -1
	s_mov_b32 s42, 0x76543210
	s_branch .LBB92_24
.LBB92_22:                              ;   in Loop: Header=BB92_24 Depth=1
	s_or_b32 exec_lo, exec_lo, s2
.LBB92_23:                              ;   in Loop: Header=BB92_24 Depth=1
	v_add_nc_u32_e32 v22, 4, v22
	s_add_i32 s5, s5, 1
	s_delay_alu instid0(SALU_CYCLE_1)
	s_cmp_eq_u32 s11, s5
	s_cbranch_scc1 .LBB92_35
.LBB92_24:                              ; =>This Inner Loop Header: Depth=1
	s_and_b32 s2, s5, 31
	s_delay_alu instid0(SALU_CYCLE_1)
	s_cmp_lg_u32 s2, 0
	s_cbranch_scc1 .LBB92_26
; %bb.25:                               ;   in Loop: Header=BB92_24 Depth=1
	s_mov_b32 s23, s31
	buffer_load_b32 v20, v22, s[20:23], 0 offen
	s_waitcnt vmcnt(0) expcnt(0) lgkmcnt(55)
	v_lshlrev_b32_e32 v20, 2, v20
	ds_load_b32 v20, v20
.LBB92_26:                              ;   in Loop: Header=BB92_24 Depth=1
	s_waitcnt lgkmcnt(0)
	v_readlane_b32 s2, v20, s2
	s_delay_alu instid0(VALU_DEP_1)
	s_cmp_lt_i32 s2, 0
	s_cbranch_scc1 .LBB92_23
; %bb.27:                               ;   in Loop: Header=BB92_24 Depth=1
	s_add_i32 s24, s4, s5
	s_delay_alu instid0(SALU_CYCLE_1) | instskip(SKIP_4) | instid1(SALU_CYCLE_1)
	s_abs_i32 s23, s24
	s_ashr_i32 s27, s24, 31
	s_mul_hi_u32 s25, s23, s40
	s_xor_b32 s27, s27, s35
	s_mul_i32 s28, s25, s33
	s_sub_i32 s23, s23, s28
	s_add_i32 s28, s25, 1
	s_sub_i32 s29, s23, s33
	s_cmp_ge_u32 s23, s33
	s_cselect_b32 s25, s28, s25
	s_cselect_b32 s23, s29, s23
	s_add_i32 s28, s25, 1
	s_cmp_ge_u32 s23, s33
	s_cselect_b32 s23, s28, s25
	s_delay_alu instid0(SALU_CYCLE_1) | instskip(NEXT) | instid1(SALU_CYCLE_1)
	s_xor_b32 s23, s23, s27
	s_sub_i32 s23, s23, s27
	s_delay_alu instid0(SALU_CYCLE_1) | instskip(NEXT) | instid1(SALU_CYCLE_1)
	s_mul_i32 s25, s23, s6
	s_sub_i32 s36, s24, s25
	s_mul_i32 s24, s23, s7
	s_mul_i32 s28, s36, s8
	s_delay_alu instid0(SALU_CYCLE_1) | instskip(NEXT) | instid1(SALU_CYCLE_1)
	s_add_i32 s28, s28, s24
	s_cmp_eq_u32 s28, s34
	s_cbranch_scc1 .LBB92_29
; %bb.28:                               ;   in Loop: Header=BB92_24 Depth=1
	s_mul_hi_i32 s25, s28, s41
	s_mul_i32 s24, s28, s41
	s_mov_b32 s27, s31
	s_lshl_b64 s[24:25], s[24:25], 1
	s_mov_b32 s34, s28
	s_add_u32 s24, s16, s24
	s_addc_u32 s25, s17, s25
	s_delay_alu instid0(SALU_CYCLE_1)
	s_and_b32 s25, s25, 0xffff
	s_clause 0x1
	buffer_load_b128 v[4:7], v16, s[24:27], 0 offen
	buffer_load_b128 v[12:15], v16, s[24:27], 16 offen
	s_waitcnt vmcnt(1)
	v_cvt_f32_f16_e32 v0, v4
	v_lshrrev_b32_e32 v1, 16, v4
	v_cvt_f32_f16_e32 v2, v5
	v_lshrrev_b32_e32 v3, 16, v5
	;; [unrolled: 2-line block ×4, first 2 shown]
	s_waitcnt vmcnt(0)
	v_cvt_f32_f16_e32 v8, v12
	v_lshrrev_b32_e32 v9, 16, v12
	v_cvt_f32_f16_e32 v10, v13
	v_lshrrev_b32_e32 v11, 16, v13
	;; [unrolled: 2-line block ×4, first 2 shown]
	v_cvt_f32_f16_e32 v1, v1
	v_cvt_f32_f16_e32 v3, v3
	;; [unrolled: 1-line block ×8, first 2 shown]
.LBB92_29:                              ;   in Loop: Header=BB92_24 Depth=1
	s_mul_i32 s24, s2, s3
	s_delay_alu instid0(SALU_CYCLE_1) | instskip(NEXT) | instid1(SALU_CYCLE_1)
	s_ashr_i32 s25, s24, 31
	s_lshl_b64 s[24:25], s[24:25], 2
	s_delay_alu instid0(SALU_CYCLE_1) | instskip(SKIP_1) | instid1(SALU_CYCLE_1)
	s_add_u32 s28, s18, s24
	s_addc_u32 s2, s19, s25
	s_and_b32 s29, s2, 0xffff
	s_clause 0x3
	buffer_load_b128 v[26:29], v17, s[28:31], 0 offen
	buffer_load_b128 v[30:33], v17, s[28:31], 16 offen
	;; [unrolled: 1-line block ×4, first 2 shown]
	s_waitcnt vmcnt(3)
	v_dual_mul_f32 v40, v0, v26 :: v_dual_mul_f32 v41, v1, v27
	v_dual_mul_f32 v38, v2, v28 :: v_dual_mul_f32 v39, v3, v29
	s_waitcnt vmcnt(2)
	v_dual_mul_f32 v36, v4, v30 :: v_dual_mul_f32 v37, v5, v31
	s_delay_alu instid0(VALU_DEP_3) | instskip(SKIP_3) | instid1(VALU_DEP_3)
	v_max3_f32 v26, |v40|, 0x2edbe6ff, |v41|
	v_dual_mul_f32 v34, v6, v32 :: v_dual_mul_f32 v35, v7, v33
	s_waitcnt vmcnt(1)
	v_dual_mul_f32 v33, v8, v42 :: v_dual_mul_f32 v32, v9, v43
	v_max3_f32 v26, v26, |v38|, |v39|
	v_dual_mul_f32 v30, v10, v44 :: v_dual_mul_f32 v31, v11, v45
	s_waitcnt vmcnt(0)
	v_dual_mul_f32 v28, v12, v46 :: v_dual_mul_f32 v29, v13, v47
	s_delay_alu instid0(VALU_DEP_3) | instskip(SKIP_1) | instid1(VALU_DEP_2)
	v_max3_f32 v26, v26, |v36|, |v37|
	v_mul_f32_e32 v27, v15, v49
	v_max3_f32 v26, v26, |v34|, |v35|
	s_delay_alu instid0(VALU_DEP_1) | instskip(NEXT) | instid1(VALU_DEP_1)
	v_max3_f32 v26, v26, |v33|, |v32|
	v_max3_f32 v42, v26, |v30|, |v31|
	v_mul_f32_e32 v26, v14, v48
	s_delay_alu instid0(VALU_DEP_2) | instskip(NEXT) | instid1(VALU_DEP_1)
	v_max3_f32 v42, v42, |v28|, |v29|
	v_max3_f32 v42, v42, |v26|, |v27|
	s_delay_alu instid0(VALU_DEP_1) | instskip(NEXT) | instid1(VALU_DEP_1)
	v_mov_b32_dpp v43, v42 quad_perm:[1,0,3,2] row_mask:0xf bank_mask:0xf
	v_cmp_gt_f32_e64 s2, v42, v43
	s_delay_alu instid0(VALU_DEP_1) | instskip(NEXT) | instid1(VALU_DEP_1)
	v_cndmask_b32_e64 v42, v43, v42, s2
	v_mov_b32_dpp v43, v42 quad_perm:[2,3,0,1] row_mask:0xf bank_mask:0xf
	s_delay_alu instid0(VALU_DEP_1) | instskip(NEXT) | instid1(VALU_DEP_1)
	v_cmp_gt_f32_e64 s2, v42, v43
	v_cndmask_b32_e64 v42, v43, v42, s2
	s_delay_alu instid0(VALU_DEP_1) | instskip(NEXT) | instid1(VALU_DEP_1)
	v_mov_b32_dpp v43, v42 row_xmask:7 row_mask:0xf bank_mask:0xf
	v_cmp_gt_f32_e64 s2, v42, v43
	s_delay_alu instid0(VALU_DEP_1) | instskip(NEXT) | instid1(VALU_DEP_1)
	v_cndmask_b32_e64 v42, v43, v42, s2
	v_mov_b32_dpp v43, v42 row_xmask:15 row_mask:0xf bank_mask:0xf
	s_delay_alu instid0(VALU_DEP_1)
	v_cmp_gt_f32_e64 s2, v42, v43
	s_and_saveexec_b32 s24, vcc_lo
	s_cbranch_execz .LBB92_31
; %bb.30:                               ;   in Loop: Header=BB92_24 Depth=1
	s_delay_alu instid0(VALU_DEP_1) | instskip(NEXT) | instid1(VALU_DEP_1)
	v_cndmask_b32_e64 v42, v43, v42, s2
	v_permlanex16_b32 v43, v42, s42, 0xfedcba98 op_sel:[1,1]
	s_delay_alu instid0(VALU_DEP_1) | instskip(NEXT) | instid1(VALU_DEP_1)
	v_cmp_gt_f32_e64 s2, v42, v43
	v_cndmask_b32_e64 v42, v43, v42, s2
	ds_store_b32 v18, v42
.LBB92_31:                              ;   in Loop: Header=BB92_24 Depth=1
	s_or_b32 exec_lo, exec_lo, s24
	s_waitcnt lgkmcnt(0)
	s_waitcnt_vscnt null, 0x0
	s_barrier
	buffer_gl0_inv
	ds_load_b32 v42, v19
	s_mul_i32 s23, s23, s9
	s_waitcnt lgkmcnt(0)
	v_mov_b32_dpp v43, v42 quad_perm:[1,0,3,2] row_mask:0xf bank_mask:0xf
	s_delay_alu instid0(VALU_DEP_1) | instskip(NEXT) | instid1(VALU_DEP_1)
	v_cmp_gt_f32_e64 s2, v42, v43
	v_cndmask_b32_e64 v42, v43, v42, s2
	s_delay_alu instid0(VALU_DEP_1) | instskip(NEXT) | instid1(VALU_DEP_1)
	v_mov_b32_dpp v43, v42 quad_perm:[2,3,0,1] row_mask:0xf bank_mask:0xf
	v_cmp_gt_f32_e64 s2, v42, v43
	s_delay_alu instid0(VALU_DEP_1) | instskip(NEXT) | instid1(VALU_DEP_1)
	v_cndmask_b32_e64 v42, v43, v42, s2
	v_mov_b32_dpp v43, v42 row_xmask:7 row_mask:0xf bank_mask:0xf
	s_delay_alu instid0(VALU_DEP_1) | instskip(NEXT) | instid1(VALU_DEP_1)
	v_cmp_gt_f32_e64 s2, v42, v43
	v_cndmask_b32_e64 v42, v43, v42, s2
	s_delay_alu instid0(VALU_DEP_1) | instskip(NEXT) | instid1(VALU_DEP_1)
	v_mov_b32_dpp v43, v42 row_xmask:15 row_mask:0xf bank_mask:0xf
	v_cmp_gt_f32_e64 s2, v42, v43
	s_delay_alu instid0(VALU_DEP_1) | instskip(SKIP_1) | instid1(SALU_CYCLE_1)
	v_cndmask_b32_e64 v42, v43, v42, s2
	s_mul_i32 s2, s36, s10
	s_add_i32 s24, s2, s23
	s_delay_alu instid0(VALU_DEP_1)
	v_mul_f32_e32 v42, 0x3b124925, v42
	s_and_saveexec_b32 s2, s0
	s_cbranch_execz .LBB92_33
; %bb.32:                               ;   in Loop: Header=BB92_24 Depth=1
	s_ashr_i32 s25, s24, 31
	s_delay_alu instid0(SALU_CYCLE_1) | instskip(NEXT) | instid1(SALU_CYCLE_1)
	s_lshl_b64 s[28:29], s[24:25], 2
	s_add_u32 s28, s14, s28
	s_addc_u32 s29, s15, s29
	global_store_b32 v23, v42, s[28:29]
.LBB92_33:                              ;   in Loop: Header=BB92_24 Depth=1
	s_or_b32 exec_lo, exec_lo, s2
	s_and_saveexec_b32 s2, s1
	s_cbranch_execz .LBB92_22
; %bb.34:                               ;   in Loop: Header=BB92_24 Depth=1
	v_rcp_f32_e32 v42, v42
	s_mul_i32 s23, s24, s41
	s_mul_hi_i32 s24, s24, s41
	s_add_u32 s36, s12, s23
	s_addc_u32 s23, s13, s24
	s_mov_b32 s39, s31
	s_and_b32 s37, s23, 0xffff
	s_waitcnt_depctr 0xfff
	v_mul_f32_e32 v40, v40, v42
	v_mul_f32_e32 v41, v41, v42
	;; [unrolled: 1-line block ×5, first 2 shown]
	;;#ASMSTART
	v_med3_f32 v40, v40, v24, v25
v_med3_f32 v41, v41, v24, v25
v_cvt_pk_fp8_f32 v33, v40, v41
	;;#ASMEND
	;;#ASMSTART
	v_med3_f32 v38, v38, v24, v25
v_med3_f32 v39, v39, v24, v25
v_cvt_pk_fp8_f32 v40, v38, v39
	;;#ASMEND
	v_perm_b32 v38, v40, v33, 0x5040100
	v_mul_f32_e32 v36, v36, v42
	v_mul_f32_e32 v37, v37, v42
	;; [unrolled: 1-line block ×5, first 2 shown]
	;;#ASMSTART
	v_med3_f32 v36, v36, v24, v25
v_med3_f32 v37, v37, v24, v25
v_cvt_pk_fp8_f32 v32, v36, v37
	;;#ASMEND
	;;#ASMSTART
	v_med3_f32 v34, v34, v24, v25
v_med3_f32 v35, v35, v24, v25
v_cvt_pk_fp8_f32 v33, v34, v35
	;;#ASMEND
	v_mul_f32_e32 v30, v30, v42
	v_mul_f32_e32 v31, v31, v42
	;; [unrolled: 1-line block ×4, first 2 shown]
	;;#ASMSTART
	v_med3_f32 v43, v43, v24, v25
v_med3_f32 v39, v39, v24, v25
v_cvt_pk_fp8_f32 v34, v43, v39
	;;#ASMEND
	;;#ASMSTART
	v_med3_f32 v30, v30, v24, v25
v_med3_f32 v31, v31, v24, v25
v_cvt_pk_fp8_f32 v35, v30, v31
	;;#ASMEND
	v_mul_f32_e32 v26, v26, v42
	v_mul_f32_e32 v27, v27, v42
	;;#ASMSTART
	v_med3_f32 v28, v28, v24, v25
v_med3_f32 v29, v29, v24, v25
v_cvt_pk_fp8_f32 v30, v28, v29
	;;#ASMEND
	v_perm_b32 v33, v32, v33, 0x1000504
	v_perm_b32 v32, v38, v40, 0x1060504
	;; [unrolled: 1-line block ×3, first 2 shown]
	;;#ASMSTART
	v_med3_f32 v26, v26, v24, v25
v_med3_f32 v27, v27, v24, v25
v_cvt_pk_fp8_f32 v28, v26, v27
	;;#ASMEND
	v_perm_b32 v35, v30, v28, 0x1000504
	buffer_store_b128 v[32:35], v21, s[36:39], 0 offen
	;;#ASMSTART
	s_nop 0
	;;#ASMEND
	s_branch .LBB92_22
.LBB92_35:
	s_nop 0
	s_sendmsg sendmsg(MSG_DEALLOC_VGPRS)
	s_endpgm
	.section	.rodata,"a",@progbits
	.p2align	6, 0x0
	.amdhsa_kernel _ZN5aiter36smooth_per_token_scaled_quant_kernelIDF16_DB8_Li512ELi16ELb0ELb1ELb1ELi1024EEEvPT0_PfPT_S4_PiS7_iiPKiiiiiiiii
		.amdhsa_group_segment_fixed_size 4160
		.amdhsa_private_segment_fixed_size 0
		.amdhsa_kernarg_size 96
		.amdhsa_user_sgpr_count 15
		.amdhsa_user_sgpr_dispatch_ptr 0
		.amdhsa_user_sgpr_queue_ptr 0
		.amdhsa_user_sgpr_kernarg_segment_ptr 1
		.amdhsa_user_sgpr_dispatch_id 0
		.amdhsa_user_sgpr_private_segment_size 0
		.amdhsa_wavefront_size32 1
		.amdhsa_uses_dynamic_stack 0
		.amdhsa_enable_private_segment 0
		.amdhsa_system_sgpr_workgroup_id_x 1
		.amdhsa_system_sgpr_workgroup_id_y 0
		.amdhsa_system_sgpr_workgroup_id_z 0
		.amdhsa_system_sgpr_workgroup_info 0
		.amdhsa_system_vgpr_workitem_id 0
		.amdhsa_next_free_vgpr 50
		.amdhsa_next_free_sgpr 43
		.amdhsa_reserve_vcc 1
		.amdhsa_float_round_mode_32 0
		.amdhsa_float_round_mode_16_64 0
		.amdhsa_float_denorm_mode_32 3
		.amdhsa_float_denorm_mode_16_64 3
		.amdhsa_dx10_clamp 1
		.amdhsa_ieee_mode 1
		.amdhsa_fp16_overflow 0
		.amdhsa_workgroup_processor_mode 1
		.amdhsa_memory_ordered 1
		.amdhsa_forward_progress 0
		.amdhsa_shared_vgpr_count 0
		.amdhsa_exception_fp_ieee_invalid_op 0
		.amdhsa_exception_fp_denorm_src 0
		.amdhsa_exception_fp_ieee_div_zero 0
		.amdhsa_exception_fp_ieee_overflow 0
		.amdhsa_exception_fp_ieee_underflow 0
		.amdhsa_exception_fp_ieee_inexact 0
		.amdhsa_exception_int_div_zero 0
	.end_amdhsa_kernel
	.section	.text._ZN5aiter36smooth_per_token_scaled_quant_kernelIDF16_DB8_Li512ELi16ELb0ELb1ELb1ELi1024EEEvPT0_PfPT_S4_PiS7_iiPKiiiiiiiii,"axG",@progbits,_ZN5aiter36smooth_per_token_scaled_quant_kernelIDF16_DB8_Li512ELi16ELb0ELb1ELb1ELi1024EEEvPT0_PfPT_S4_PiS7_iiPKiiiiiiiii,comdat
.Lfunc_end92:
	.size	_ZN5aiter36smooth_per_token_scaled_quant_kernelIDF16_DB8_Li512ELi16ELb0ELb1ELb1ELi1024EEEvPT0_PfPT_S4_PiS7_iiPKiiiiiiiii, .Lfunc_end92-_ZN5aiter36smooth_per_token_scaled_quant_kernelIDF16_DB8_Li512ELi16ELb0ELb1ELb1ELi1024EEEvPT0_PfPT_S4_PiS7_iiPKiiiiiiiii
                                        ; -- End function
	.section	.AMDGPU.csdata,"",@progbits
; Kernel info:
; codeLenInByte = 4028
; NumSgprs: 45
; NumVgprs: 50
; ScratchSize: 0
; MemoryBound: 0
; FloatMode: 240
; IeeeMode: 1
; LDSByteSize: 4160 bytes/workgroup (compile time only)
; SGPRBlocks: 5
; VGPRBlocks: 6
; NumSGPRsForWavesPerEU: 45
; NumVGPRsForWavesPerEU: 50
; Occupancy: 16
; WaveLimiterHint : 0
; COMPUTE_PGM_RSRC2:SCRATCH_EN: 0
; COMPUTE_PGM_RSRC2:USER_SGPR: 15
; COMPUTE_PGM_RSRC2:TRAP_HANDLER: 0
; COMPUTE_PGM_RSRC2:TGID_X_EN: 1
; COMPUTE_PGM_RSRC2:TGID_Y_EN: 0
; COMPUTE_PGM_RSRC2:TGID_Z_EN: 0
; COMPUTE_PGM_RSRC2:TIDIG_COMP_CNT: 0
	.section	.text._ZN5aiter36smooth_per_token_scaled_quant_kernelItDB8_Li512ELi16ELb0ELb1ELb1ELi1024EEEvPT0_PfPT_S4_PiS7_iiPKiiiiiiiii,"axG",@progbits,_ZN5aiter36smooth_per_token_scaled_quant_kernelItDB8_Li512ELi16ELb0ELb1ELb1ELi1024EEEvPT0_PfPT_S4_PiS7_iiPKiiiiiiiii,comdat
	.protected	_ZN5aiter36smooth_per_token_scaled_quant_kernelItDB8_Li512ELi16ELb0ELb1ELb1ELi1024EEEvPT0_PfPT_S4_PiS7_iiPKiiiiiiiii ; -- Begin function _ZN5aiter36smooth_per_token_scaled_quant_kernelItDB8_Li512ELi16ELb0ELb1ELb1ELi1024EEEvPT0_PfPT_S4_PiS7_iiPKiiiiiiiii
	.globl	_ZN5aiter36smooth_per_token_scaled_quant_kernelItDB8_Li512ELi16ELb0ELb1ELb1ELi1024EEEvPT0_PfPT_S4_PiS7_iiPKiiiiiiiii
	.p2align	8
	.type	_ZN5aiter36smooth_per_token_scaled_quant_kernelItDB8_Li512ELi16ELb0ELb1ELb1ELi1024EEEvPT0_PfPT_S4_PiS7_iiPKiiiiiiiii,@function
_ZN5aiter36smooth_per_token_scaled_quant_kernelItDB8_Li512ELi16ELb0ELb1ELb1ELi1024EEEvPT0_PfPT_S4_PiS7_iiPKiiiiiiiii: ; @_ZN5aiter36smooth_per_token_scaled_quant_kernelItDB8_Li512ELi16ELb0ELb1ELb1ELi1024EEEvPT0_PfPT_S4_PiS7_iiPKiiiiiiiii
; %bb.0:
	s_clause 0x2
	s_load_b64 s[2:3], s[0:1], 0x38
	s_load_b64 s[16:17], s[0:1], 0x28
	s_load_b256 s[4:11], s[0:1], 0x40
	s_waitcnt lgkmcnt(0)
	s_cmp_lg_u64 s[2:3], 0
	s_cbranch_scc0 .LBB93_11
; %bb.1:
	s_load_b32 s2, s[2:3], 0x0
	s_waitcnt lgkmcnt(0)
	s_mul_i32 s4, s2, s4
	s_cbranch_execnz .LBB93_3
.LBB93_2:
	s_mul_i32 s4, s6, s5
.LBB93_3:
	v_lshlrev_b32_e32 v1, 2, v0
	s_lshl_b32 s18, s11, 2
	s_and_b32 s17, s17, 0xffff
	s_mov_b32 s19, -1
	s_load_b64 s[2:3], s[0:1], 0x30
	s_clause 0x1
	buffer_load_b32 v2, v1, s[16:19], 0 offen
	buffer_load_b32 v3, v1, s[16:19], 0 offen offset:2048
	s_abs_i32 s13, s4
	s_waitcnt lgkmcnt(0)
	s_abs_i32 s5, s2
	s_delay_alu instid0(SALU_CYCLE_1) | instskip(SKIP_1) | instid1(VALU_DEP_1)
	v_cvt_f32_u32_e32 v4, s5
	s_sub_i32 s12, 0, s5
	v_rcp_iflag_f32_e32 v4, v4
	s_waitcnt_depctr 0xfff
	v_mul_f32_e32 v4, 0x4f7ffffe, v4
	s_delay_alu instid0(VALU_DEP_1) | instskip(NEXT) | instid1(VALU_DEP_1)
	v_cvt_u32_f32_e32 v4, v4
	v_readfirstlane_b32 s11, v4
	s_delay_alu instid0(VALU_DEP_1) | instskip(NEXT) | instid1(SALU_CYCLE_1)
	s_mul_i32 s12, s12, s11
	s_mul_hi_u32 s12, s11, s12
	s_delay_alu instid0(SALU_CYCLE_1) | instskip(SKIP_4) | instid1(SALU_CYCLE_1)
	s_add_i32 s11, s11, s12
	s_xor_b32 s12, s4, s2
	s_mul_hi_u32 s11, s13, s11
	s_ashr_i32 s12, s12, 31
	s_mul_i32 s14, s11, s5
	s_sub_i32 s13, s13, s14
	s_add_i32 s14, s11, 1
	s_sub_i32 s16, s13, s5
	s_cmp_ge_u32 s13, s5
	s_cselect_b32 s11, s14, s11
	s_cselect_b32 s13, s16, s13
	s_add_i32 s14, s11, 1
	s_cmp_ge_u32 s13, s5
	s_cselect_b32 s5, s14, s11
	s_delay_alu instid0(SALU_CYCLE_1) | instskip(NEXT) | instid1(SALU_CYCLE_1)
	s_xor_b32 s5, s5, s12
	s_sub_i32 s11, s5, s12
	s_delay_alu instid0(SALU_CYCLE_1) | instskip(NEXT) | instid1(SALU_CYCLE_1)
	s_mul_i32 s2, s11, s2
	s_sub_i32 s12, s4, s2
                                        ; implicit-def: $sgpr4
	s_delay_alu instid0(SALU_CYCLE_1)
	s_cmp_lt_u32 s15, s12
	s_cselect_b32 s2, -1, 0
	s_add_i32 s5, s11, 1
	s_cmp_ge_u32 s15, s12
	s_waitcnt vmcnt(0)
	ds_store_2addr_stride64_b32 v1, v2, v3 offset1:8
	s_cbranch_scc0 .LBB93_5
; %bb.4:
	s_sub_i32 s4, s15, s12
	s_mul_i32 s12, s12, s5
	s_mul_i32 s4, s4, s11
	s_mov_b32 s19, 0
	s_add_i32 s4, s4, s12
.LBB93_5:
	s_and_not1_b32 vcc_lo, exec_lo, s19
	s_cbranch_vccnz .LBB93_7
; %bb.6:
	s_mul_i32 s4, s5, s15
.LBB93_7:
	v_cndmask_b32_e64 v1, 0, 1, s2
	s_delay_alu instid0(VALU_DEP_1) | instskip(NEXT) | instid1(VALU_DEP_1)
	v_readfirstlane_b32 s2, v1
	s_add_i32 s11, s11, s2
	s_delay_alu instid0(SALU_CYCLE_1)
	s_cmp_lt_i32 s11, 1
	s_cbranch_scc1 .LBB93_35
; %bb.8:
	s_load_b64 s[12:13], s[0:1], 0x20
	s_ashr_i32 s5, s4, 31
	v_and_b32_e32 v1, 31, v0
	s_lshl_b64 s[14:15], s[4:5], 2
	s_mov_b32 s41, -1
	v_and_b32_e32 v4, 15, v0
	s_mov_b32 s23, s41
	v_cmp_eq_u32_e32 vcc_lo, 31, v1
	v_lshlrev_b32_e32 v16, 5, v0
	v_lshlrev_b32_e32 v17, 6, v0
	v_lshl_or_b32 v19, v4, 2, 0x1000
	v_lshlrev_b32_e32 v21, 4, v0
	s_mov_b32 s40, s3
	s_waitcnt lgkmcnt(0)
	s_add_u32 s20, s12, s14
	s_addc_u32 s2, s13, s15
	s_abs_i32 s33, s6
	s_lshl_b32 s22, s11, 2
	v_cvt_f32_u32_e32 v3, s33
	s_and_b32 s21, s2, 0xffff
	s_load_b256 s[12:19], s[0:1], 0x0
	s_movk_i32 s0, 0x7c
	s_add_i32 s1, s3, 15
	v_rcp_iflag_f32_e32 v3, v3
	v_lshlrev_b32_e32 v22, 2, v1
	v_lshrrev_b32_e32 v1, 3, v0
	s_ashr_i32 s2, s1, 31
	s_lshl_b32 s26, s3, 1
	s_lshr_b32 s2, s2, 28
	s_lshl_b32 s30, s3, 2
	v_and_or_b32 v18, v1, s0, 0x1000
	s_add_i32 s1, s1, s2
	v_cmp_eq_u32_e64 s0, 0, v0
	s_waitcnt_depctr 0xfff
	v_mul_f32_e32 v1, 0x4f7ffffe, v3
	buffer_load_b32 v2, v22, s[20:23], 0 offen
	s_waitcnt vmcnt(0) expcnt(0) lgkmcnt(0)
	s_barrier
	buffer_gl0_inv
	v_cvt_u32_f32_e32 v1, v1
	s_add_i32 s23, s3, 3
	s_ashr_i32 s1, s1, 4
	s_ashr_i32 s2, s23, 31
	v_cmp_gt_u32_e64 s1, s1, v0
	v_readfirstlane_b32 s35, v1
	s_lshr_b32 s2, s2, 30
	s_ashr_i32 s34, s6, 31
	s_add_i32 s23, s23, s2
	s_sub_i32 s2, 0, s33
	s_and_b32 s38, s23, -4
	s_mul_i32 s23, s2, s35
	s_delay_alu instid0(SALU_CYCLE_1) | instskip(NEXT) | instid1(SALU_CYCLE_1)
	s_mul_hi_u32 s23, s35, s23
	s_add_i32 s35, s35, s23
	v_lshlrev_b32_e32 v2, 2, v2
	ds_load_b32 v20, v2
	s_waitcnt lgkmcnt(0)
	v_readlane_b32 s2, v20, 0
	s_delay_alu instid0(VALU_DEP_1)
	s_cmp_lt_i32 s2, 0
	s_cbranch_scc1 .LBB93_12
; %bb.9:
	s_abs_i32 s23, s4
	s_xor_b32 s5, s5, s34
	s_mul_hi_u32 s24, s23, s35
	s_mov_b32 s31, -1
	s_mul_i32 s25, s24, s33
	s_delay_alu instid0(SALU_CYCLE_1)
	s_sub_i32 s23, s23, s25
	s_add_i32 s25, s24, 1
	s_sub_i32 s27, s23, s33
	s_cmp_ge_u32 s23, s33
	s_cselect_b32 s24, s25, s24
	s_cselect_b32 s23, s27, s23
	s_add_i32 s25, s24, 1
	s_cmp_ge_u32 s23, s33
	s_cselect_b32 s23, s25, s24
	s_delay_alu instid0(SALU_CYCLE_1) | instskip(NEXT) | instid1(SALU_CYCLE_1)
	s_xor_b32 s23, s23, s5
	s_sub_i32 s5, s23, s5
	s_delay_alu instid0(SALU_CYCLE_1) | instskip(SKIP_2) | instid1(SALU_CYCLE_1)
	s_mul_i32 s23, s5, s6
	s_mul_i32 s25, s5, s7
	s_sub_i32 s23, s4, s23
	s_mul_i32 s24, s23, s8
	s_delay_alu instid0(SALU_CYCLE_1) | instskip(NEXT) | instid1(SALU_CYCLE_1)
	s_add_i32 s41, s24, s25
	s_cmp_eq_u32 s41, -1
	s_cbranch_scc1 .LBB93_13
; %bb.10:
	s_mul_hi_i32 s25, s41, s40
	s_mul_i32 s24, s41, s40
	s_mov_b32 s27, s31
	s_lshl_b64 s[24:25], s[24:25], 1
	s_delay_alu instid0(SALU_CYCLE_1) | instskip(SKIP_1) | instid1(SALU_CYCLE_1)
	s_add_u32 s24, s16, s24
	s_addc_u32 s25, s17, s25
	s_and_b32 s25, s25, 0xffff
	s_clause 0x1
	buffer_load_b128 v[0:3], v16, s[24:27], 0 offen
	buffer_load_b128 v[4:7], v16, s[24:27], 16 offen
	s_waitcnt vmcnt(1)
	v_lshrrev_b32_e32 v8, 16, v0
	v_and_b32_e32 v0, 0xffff, v0
	v_lshrrev_b32_e32 v9, 16, v1
	v_and_b32_e32 v10, 0xffff, v1
	;; [unrolled: 2-line block ×4, first 2 shown]
	s_waitcnt vmcnt(0)
	v_lshrrev_b32_e32 v15, 16, v4
	v_and_b32_e32 v23, 0xffff, v4
	v_lshrrev_b32_e32 v24, 16, v5
	v_and_b32_e32 v25, 0xffff, v5
	;; [unrolled: 2-line block ×4, first 2 shown]
	v_cvt_f32_u32_e32 v1, v8
	v_cvt_f32_u32_e32 v0, v0
	;; [unrolled: 1-line block ×16, first 2 shown]
	s_branch .LBB93_14
.LBB93_11:
                                        ; implicit-def: $sgpr4
	s_branch .LBB93_2
.LBB93_12:
                                        ; implicit-def: $vgpr0_vgpr1_vgpr2_vgpr3_vgpr4_vgpr5_vgpr6_vgpr7_vgpr8_vgpr9_vgpr10_vgpr11_vgpr12_vgpr13_vgpr14_vgpr15
	s_cmp_eq_u32 s11, 1
	s_mov_b32 s5, 1
	s_cbranch_scc0 .LBB93_21
	s_branch .LBB93_35
.LBB93_13:
                                        ; implicit-def: $vgpr0_vgpr1_vgpr2_vgpr3_vgpr4_vgpr5_vgpr6_vgpr7_vgpr8_vgpr9_vgpr10_vgpr11_vgpr12_vgpr13_vgpr14_vgpr15
.LBB93_14:
	s_mul_i32 s24, s2, s3
	s_delay_alu instid0(SALU_CYCLE_1) | instskip(NEXT) | instid1(SALU_CYCLE_1)
	s_ashr_i32 s25, s24, 31
	s_lshl_b64 s[24:25], s[24:25], 2
	s_delay_alu instid0(SALU_CYCLE_1) | instskip(SKIP_1) | instid1(SALU_CYCLE_1)
	s_add_u32 s28, s18, s24
	s_addc_u32 s2, s19, s25
	s_and_b32 s29, s2, 0xffff
	s_clause 0x3
	buffer_load_b128 v[23:26], v17, s[28:31], 0 offen
	buffer_load_b128 v[27:30], v17, s[28:31], 16 offen
	;; [unrolled: 1-line block ×4, first 2 shown]
	s_waitcnt vmcnt(3)
	v_dual_mul_f32 v37, v0, v23 :: v_dual_mul_f32 v38, v1, v24
	v_dual_mul_f32 v35, v2, v25 :: v_dual_mul_f32 v36, v3, v26
	s_waitcnt vmcnt(2)
	v_dual_mul_f32 v33, v4, v27 :: v_dual_mul_f32 v34, v5, v28
	s_delay_alu instid0(VALU_DEP_3) | instskip(SKIP_3) | instid1(VALU_DEP_3)
	v_max3_f32 v23, |v37|, 0x2edbe6ff, |v38|
	v_dual_mul_f32 v31, v6, v29 :: v_dual_mul_f32 v32, v7, v30
	s_waitcnt vmcnt(1)
	v_dual_mul_f32 v29, v8, v39 :: v_dual_mul_f32 v30, v9, v40
	v_max3_f32 v23, v23, |v35|, |v36|
	v_dual_mul_f32 v27, v10, v41 :: v_dual_mul_f32 v28, v11, v42
	s_waitcnt vmcnt(0)
	v_dual_mul_f32 v25, v12, v43 :: v_dual_mul_f32 v26, v13, v44
	s_delay_alu instid0(VALU_DEP_3) | instskip(SKIP_1) | instid1(VALU_DEP_2)
	v_max3_f32 v23, v23, |v33|, |v34|
	v_mul_f32_e32 v24, v15, v46
	v_max3_f32 v23, v23, |v31|, |v32|
	s_delay_alu instid0(VALU_DEP_1) | instskip(NEXT) | instid1(VALU_DEP_1)
	v_max3_f32 v23, v23, |v29|, |v30|
	v_max3_f32 v39, v23, |v27|, |v28|
	v_mul_f32_e32 v23, v14, v45
	s_delay_alu instid0(VALU_DEP_2) | instskip(NEXT) | instid1(VALU_DEP_1)
	v_max3_f32 v39, v39, |v25|, |v26|
	v_max3_f32 v39, v39, |v23|, |v24|
	s_delay_alu instid0(VALU_DEP_1) | instskip(NEXT) | instid1(VALU_DEP_1)
	v_mov_b32_dpp v40, v39 quad_perm:[1,0,3,2] row_mask:0xf bank_mask:0xf
	v_cmp_gt_f32_e64 s2, v39, v40
	s_delay_alu instid0(VALU_DEP_1) | instskip(NEXT) | instid1(VALU_DEP_1)
	v_cndmask_b32_e64 v39, v40, v39, s2
	v_mov_b32_dpp v40, v39 quad_perm:[2,3,0,1] row_mask:0xf bank_mask:0xf
	s_delay_alu instid0(VALU_DEP_1) | instskip(NEXT) | instid1(VALU_DEP_1)
	v_cmp_gt_f32_e64 s2, v39, v40
	v_cndmask_b32_e64 v39, v40, v39, s2
	s_delay_alu instid0(VALU_DEP_1) | instskip(NEXT) | instid1(VALU_DEP_1)
	v_mov_b32_dpp v40, v39 row_xmask:7 row_mask:0xf bank_mask:0xf
	v_cmp_gt_f32_e64 s2, v39, v40
	s_delay_alu instid0(VALU_DEP_1) | instskip(NEXT) | instid1(VALU_DEP_1)
	v_cndmask_b32_e64 v39, v40, v39, s2
	v_mov_b32_dpp v40, v39 row_xmask:15 row_mask:0xf bank_mask:0xf
	s_delay_alu instid0(VALU_DEP_1)
	v_cmp_gt_f32_e64 s2, v39, v40
	s_and_saveexec_b32 s24, vcc_lo
	s_cbranch_execz .LBB93_16
; %bb.15:
	s_delay_alu instid0(VALU_DEP_1)
	v_cndmask_b32_e64 v39, v40, v39, s2
	s_mov_b32 s2, 0x76543210
	s_delay_alu instid0(VALU_DEP_1) | instid1(SALU_CYCLE_1)
	v_permlanex16_b32 v40, v39, s2, 0xfedcba98 op_sel:[1,1]
	s_delay_alu instid0(VALU_DEP_1) | instskip(NEXT) | instid1(VALU_DEP_1)
	v_cmp_gt_f32_e64 s2, v39, v40
	v_cndmask_b32_e64 v39, v40, v39, s2
	ds_store_b32 v18, v39
.LBB93_16:
	s_or_b32 exec_lo, exec_lo, s24
	s_waitcnt lgkmcnt(0)
	s_barrier
	buffer_gl0_inv
	ds_load_b32 v39, v19
	s_mul_i32 s5, s5, s9
	s_waitcnt lgkmcnt(0)
	v_mov_b32_dpp v40, v39 quad_perm:[1,0,3,2] row_mask:0xf bank_mask:0xf
	s_delay_alu instid0(VALU_DEP_1) | instskip(NEXT) | instid1(VALU_DEP_1)
	v_cmp_gt_f32_e64 s2, v39, v40
	v_cndmask_b32_e64 v39, v40, v39, s2
	s_delay_alu instid0(VALU_DEP_1) | instskip(NEXT) | instid1(VALU_DEP_1)
	v_mov_b32_dpp v40, v39 quad_perm:[2,3,0,1] row_mask:0xf bank_mask:0xf
	v_cmp_gt_f32_e64 s2, v39, v40
	s_delay_alu instid0(VALU_DEP_1) | instskip(NEXT) | instid1(VALU_DEP_1)
	v_cndmask_b32_e64 v39, v40, v39, s2
	v_mov_b32_dpp v40, v39 row_xmask:7 row_mask:0xf bank_mask:0xf
	s_delay_alu instid0(VALU_DEP_1) | instskip(NEXT) | instid1(VALU_DEP_1)
	v_cmp_gt_f32_e64 s2, v39, v40
	v_cndmask_b32_e64 v39, v40, v39, s2
	s_delay_alu instid0(VALU_DEP_1) | instskip(NEXT) | instid1(VALU_DEP_1)
	v_mov_b32_dpp v40, v39 row_xmask:15 row_mask:0xf bank_mask:0xf
	v_cmp_gt_f32_e64 s2, v39, v40
	s_delay_alu instid0(VALU_DEP_1) | instskip(SKIP_1) | instid1(SALU_CYCLE_1)
	v_cndmask_b32_e64 v39, v40, v39, s2
	s_mul_i32 s2, s23, s10
	s_add_i32 s24, s2, s5
	s_delay_alu instid0(VALU_DEP_1)
	v_mul_f32_e32 v39, 0x3b124925, v39
	s_and_saveexec_b32 s2, s0
	s_cbranch_execz .LBB93_18
; %bb.17:
	s_ashr_i32 s25, s24, 31
	v_mov_b32_e32 v40, 0
	s_lshl_b64 s[28:29], s[24:25], 2
	s_delay_alu instid0(SALU_CYCLE_1)
	s_add_u32 s28, s14, s28
	s_addc_u32 s29, s15, s29
	global_store_b32 v40, v39, s[28:29]
.LBB93_18:
	s_or_b32 exec_lo, exec_lo, s2
	s_and_saveexec_b32 s2, s1
	s_cbranch_execz .LBB93_20
; %bb.19:
	v_rcp_f32_e32 v39, v39
	v_mov_b32_e32 v40, 0xc3e00000
	v_mov_b32_e32 v41, 0x43e00000
	s_mul_i32 s23, s24, s40
	s_mul_hi_i32 s5, s24, s40
	s_add_u32 s36, s12, s23
	s_addc_u32 s5, s13, s5
	s_mov_b32 s39, -1
	s_and_b32 s37, s5, 0xffff
	s_waitcnt_depctr 0xfff
	v_mul_f32_e32 v38, v38, v39
	v_mul_f32_e32 v37, v37, v39
	;; [unrolled: 1-line block ×4, first 2 shown]
	;;#ASMSTART
	v_med3_f32 v37, v37, v40, v41
v_med3_f32 v38, v38, v40, v41
v_cvt_pk_fp8_f32 v42, v37, v38
	;;#ASMEND
	v_mul_f32_e32 v33, v33, v39
	v_mul_f32_e32 v34, v34, v39
	;;#ASMSTART
	v_med3_f32 v35, v35, v40, v41
v_med3_f32 v36, v36, v40, v41
v_cvt_pk_fp8_f32 v37, v35, v36
	;;#ASMEND
	v_mul_f32_e32 v31, v31, v39
	v_mul_f32_e32 v32, v32, v39
	v_perm_b32 v35, v37, v42, 0x5040100
	;;#ASMSTART
	v_med3_f32 v33, v33, v40, v41
v_med3_f32 v34, v34, v40, v41
v_cvt_pk_fp8_f32 v36, v33, v34
	;;#ASMEND
	;;#ASMSTART
	v_med3_f32 v31, v31, v40, v41
v_med3_f32 v32, v32, v40, v41
v_cvt_pk_fp8_f32 v33, v31, v32
	;;#ASMEND
	v_mul_f32_e32 v29, v29, v39
	v_mul_f32_e32 v30, v30, v39
	v_perm_b32 v32, v36, v33, 0x1000504
	v_mul_f32_e32 v27, v27, v39
	v_mul_f32_e32 v28, v28, v39
	;;#ASMSTART
	v_med3_f32 v29, v29, v40, v41
v_med3_f32 v30, v30, v40, v41
v_cvt_pk_fp8_f32 v33, v29, v30
	;;#ASMEND
	v_mul_f32_e32 v25, v25, v39
	v_mul_f32_e32 v26, v26, v39
	;;#ASMSTART
	v_med3_f32 v27, v27, v40, v41
v_med3_f32 v28, v28, v40, v41
v_cvt_pk_fp8_f32 v29, v27, v28
	;;#ASMEND
	;; [unrolled: 7-line block ×3, first 2 shown]
	v_perm_b32 v31, v35, v37, 0x1060504
	v_perm_b32 v33, v33, v29, 0x1000504
	;;#ASMSTART
	v_med3_f32 v23, v23, v40, v41
v_med3_f32 v24, v24, v40, v41
v_cvt_pk_fp8_f32 v25, v23, v24
	;;#ASMEND
	v_perm_b32 v34, v27, v25, 0x1000504
	buffer_store_b128 v[31:34], v21, s[36:39], 0 offen
	;;#ASMSTART
	s_nop 0
	;;#ASMEND
.LBB93_20:
	s_or_b32 exec_lo, exec_lo, s2
	s_cmp_eq_u32 s11, 1
	s_mov_b32 s5, 1
	s_cbranch_scc1 .LBB93_35
.LBB93_21:
	v_dual_mov_b32 v23, 0 :: v_dual_add_nc_u32 v22, 4, v22
	v_mov_b32_e32 v24, 0xc3e00000
	v_mov_b32_e32 v25, 0x43e00000
	s_mov_b32 s31, -1
	s_mov_b32 s42, 0x76543210
	s_branch .LBB93_24
.LBB93_22:                              ;   in Loop: Header=BB93_24 Depth=1
	s_or_b32 exec_lo, exec_lo, s2
.LBB93_23:                              ;   in Loop: Header=BB93_24 Depth=1
	v_add_nc_u32_e32 v22, 4, v22
	s_add_i32 s5, s5, 1
	s_delay_alu instid0(SALU_CYCLE_1)
	s_cmp_eq_u32 s11, s5
	s_cbranch_scc1 .LBB93_35
.LBB93_24:                              ; =>This Inner Loop Header: Depth=1
	s_and_b32 s2, s5, 31
	s_delay_alu instid0(SALU_CYCLE_1)
	s_cmp_lg_u32 s2, 0
	s_cbranch_scc1 .LBB93_26
; %bb.25:                               ;   in Loop: Header=BB93_24 Depth=1
	s_mov_b32 s23, s31
	buffer_load_b32 v20, v22, s[20:23], 0 offen
	s_waitcnt vmcnt(0) expcnt(0) lgkmcnt(55)
	v_lshlrev_b32_e32 v20, 2, v20
	ds_load_b32 v20, v20
.LBB93_26:                              ;   in Loop: Header=BB93_24 Depth=1
	s_waitcnt lgkmcnt(0)
	v_readlane_b32 s2, v20, s2
	s_delay_alu instid0(VALU_DEP_1)
	s_cmp_lt_i32 s2, 0
	s_cbranch_scc1 .LBB93_23
; %bb.27:                               ;   in Loop: Header=BB93_24 Depth=1
	s_add_i32 s24, s4, s5
	s_delay_alu instid0(SALU_CYCLE_1) | instskip(SKIP_4) | instid1(SALU_CYCLE_1)
	s_abs_i32 s23, s24
	s_ashr_i32 s27, s24, 31
	s_mul_hi_u32 s25, s23, s35
	s_xor_b32 s27, s27, s34
	s_mul_i32 s28, s25, s33
	s_sub_i32 s23, s23, s28
	s_add_i32 s28, s25, 1
	s_sub_i32 s29, s23, s33
	s_cmp_ge_u32 s23, s33
	s_cselect_b32 s25, s28, s25
	s_cselect_b32 s23, s29, s23
	s_add_i32 s28, s25, 1
	s_cmp_ge_u32 s23, s33
	s_cselect_b32 s23, s28, s25
	s_delay_alu instid0(SALU_CYCLE_1) | instskip(NEXT) | instid1(SALU_CYCLE_1)
	s_xor_b32 s23, s23, s27
	s_sub_i32 s23, s23, s27
	s_delay_alu instid0(SALU_CYCLE_1) | instskip(NEXT) | instid1(SALU_CYCLE_1)
	s_mul_i32 s25, s23, s6
	s_sub_i32 s36, s24, s25
	s_mul_i32 s24, s23, s7
	s_mul_i32 s28, s36, s8
	s_delay_alu instid0(SALU_CYCLE_1) | instskip(NEXT) | instid1(SALU_CYCLE_1)
	s_add_i32 s28, s28, s24
	s_cmp_eq_u32 s28, s41
	s_cbranch_scc1 .LBB93_29
; %bb.28:                               ;   in Loop: Header=BB93_24 Depth=1
	s_mul_hi_i32 s25, s28, s40
	s_mul_i32 s24, s28, s40
	s_mov_b32 s27, s31
	s_lshl_b64 s[24:25], s[24:25], 1
	s_mov_b32 s41, s28
	s_add_u32 s24, s16, s24
	s_addc_u32 s25, s17, s25
	s_delay_alu instid0(SALU_CYCLE_1)
	s_and_b32 s25, s25, 0xffff
	s_clause 0x1
	buffer_load_b128 v[0:3], v16, s[24:27], 0 offen
	buffer_load_b128 v[4:7], v16, s[24:27], 16 offen
	s_waitcnt vmcnt(1)
	v_lshrrev_b32_e32 v8, 16, v0
	v_and_b32_e32 v0, 0xffff, v0
	v_lshrrev_b32_e32 v9, 16, v1
	v_and_b32_e32 v10, 0xffff, v1
	;; [unrolled: 2-line block ×4, first 2 shown]
	s_waitcnt vmcnt(0)
	v_lshrrev_b32_e32 v15, 16, v4
	v_and_b32_e32 v26, 0xffff, v4
	v_lshrrev_b32_e32 v27, 16, v5
	v_and_b32_e32 v28, 0xffff, v5
	;; [unrolled: 2-line block ×4, first 2 shown]
	v_cvt_f32_u32_e32 v1, v8
	v_cvt_f32_u32_e32 v0, v0
	;; [unrolled: 1-line block ×16, first 2 shown]
.LBB93_29:                              ;   in Loop: Header=BB93_24 Depth=1
	s_mul_i32 s24, s2, s3
	s_delay_alu instid0(SALU_CYCLE_1) | instskip(NEXT) | instid1(SALU_CYCLE_1)
	s_ashr_i32 s25, s24, 31
	s_lshl_b64 s[24:25], s[24:25], 2
	s_delay_alu instid0(SALU_CYCLE_1) | instskip(SKIP_1) | instid1(SALU_CYCLE_1)
	s_add_u32 s28, s18, s24
	s_addc_u32 s2, s19, s25
	s_and_b32 s29, s2, 0xffff
	s_clause 0x3
	buffer_load_b128 v[26:29], v17, s[28:31], 0 offen
	buffer_load_b128 v[30:33], v17, s[28:31], 16 offen
	;; [unrolled: 1-line block ×4, first 2 shown]
	s_waitcnt vmcnt(3)
	v_dual_mul_f32 v40, v0, v26 :: v_dual_mul_f32 v41, v1, v27
	v_dual_mul_f32 v38, v2, v28 :: v_dual_mul_f32 v39, v3, v29
	s_waitcnt vmcnt(2)
	v_dual_mul_f32 v36, v4, v30 :: v_dual_mul_f32 v37, v5, v31
	s_delay_alu instid0(VALU_DEP_3) | instskip(SKIP_3) | instid1(VALU_DEP_3)
	v_max3_f32 v26, |v40|, 0x2edbe6ff, |v41|
	v_dual_mul_f32 v34, v6, v32 :: v_dual_mul_f32 v35, v7, v33
	s_waitcnt vmcnt(1)
	v_dual_mul_f32 v33, v8, v42 :: v_dual_mul_f32 v32, v9, v43
	v_max3_f32 v26, v26, |v38|, |v39|
	v_dual_mul_f32 v30, v10, v44 :: v_dual_mul_f32 v31, v11, v45
	s_waitcnt vmcnt(0)
	v_dual_mul_f32 v28, v12, v46 :: v_dual_mul_f32 v29, v13, v47
	s_delay_alu instid0(VALU_DEP_3) | instskip(SKIP_1) | instid1(VALU_DEP_2)
	v_max3_f32 v26, v26, |v36|, |v37|
	v_mul_f32_e32 v27, v15, v49
	v_max3_f32 v26, v26, |v34|, |v35|
	s_delay_alu instid0(VALU_DEP_1) | instskip(NEXT) | instid1(VALU_DEP_1)
	v_max3_f32 v26, v26, |v33|, |v32|
	v_max3_f32 v42, v26, |v30|, |v31|
	v_mul_f32_e32 v26, v14, v48
	s_delay_alu instid0(VALU_DEP_2) | instskip(NEXT) | instid1(VALU_DEP_1)
	v_max3_f32 v42, v42, |v28|, |v29|
	v_max3_f32 v42, v42, |v26|, |v27|
	s_delay_alu instid0(VALU_DEP_1) | instskip(NEXT) | instid1(VALU_DEP_1)
	v_mov_b32_dpp v43, v42 quad_perm:[1,0,3,2] row_mask:0xf bank_mask:0xf
	v_cmp_gt_f32_e64 s2, v42, v43
	s_delay_alu instid0(VALU_DEP_1) | instskip(NEXT) | instid1(VALU_DEP_1)
	v_cndmask_b32_e64 v42, v43, v42, s2
	v_mov_b32_dpp v43, v42 quad_perm:[2,3,0,1] row_mask:0xf bank_mask:0xf
	s_delay_alu instid0(VALU_DEP_1) | instskip(NEXT) | instid1(VALU_DEP_1)
	v_cmp_gt_f32_e64 s2, v42, v43
	v_cndmask_b32_e64 v42, v43, v42, s2
	s_delay_alu instid0(VALU_DEP_1) | instskip(NEXT) | instid1(VALU_DEP_1)
	v_mov_b32_dpp v43, v42 row_xmask:7 row_mask:0xf bank_mask:0xf
	v_cmp_gt_f32_e64 s2, v42, v43
	s_delay_alu instid0(VALU_DEP_1) | instskip(NEXT) | instid1(VALU_DEP_1)
	v_cndmask_b32_e64 v42, v43, v42, s2
	v_mov_b32_dpp v43, v42 row_xmask:15 row_mask:0xf bank_mask:0xf
	s_delay_alu instid0(VALU_DEP_1)
	v_cmp_gt_f32_e64 s2, v42, v43
	s_and_saveexec_b32 s24, vcc_lo
	s_cbranch_execz .LBB93_31
; %bb.30:                               ;   in Loop: Header=BB93_24 Depth=1
	s_delay_alu instid0(VALU_DEP_1) | instskip(NEXT) | instid1(VALU_DEP_1)
	v_cndmask_b32_e64 v42, v43, v42, s2
	v_permlanex16_b32 v43, v42, s42, 0xfedcba98 op_sel:[1,1]
	s_delay_alu instid0(VALU_DEP_1) | instskip(NEXT) | instid1(VALU_DEP_1)
	v_cmp_gt_f32_e64 s2, v42, v43
	v_cndmask_b32_e64 v42, v43, v42, s2
	ds_store_b32 v18, v42
.LBB93_31:                              ;   in Loop: Header=BB93_24 Depth=1
	s_or_b32 exec_lo, exec_lo, s24
	s_waitcnt lgkmcnt(0)
	s_waitcnt_vscnt null, 0x0
	s_barrier
	buffer_gl0_inv
	ds_load_b32 v42, v19
	s_mul_i32 s23, s23, s9
	s_waitcnt lgkmcnt(0)
	v_mov_b32_dpp v43, v42 quad_perm:[1,0,3,2] row_mask:0xf bank_mask:0xf
	s_delay_alu instid0(VALU_DEP_1) | instskip(NEXT) | instid1(VALU_DEP_1)
	v_cmp_gt_f32_e64 s2, v42, v43
	v_cndmask_b32_e64 v42, v43, v42, s2
	s_delay_alu instid0(VALU_DEP_1) | instskip(NEXT) | instid1(VALU_DEP_1)
	v_mov_b32_dpp v43, v42 quad_perm:[2,3,0,1] row_mask:0xf bank_mask:0xf
	v_cmp_gt_f32_e64 s2, v42, v43
	s_delay_alu instid0(VALU_DEP_1) | instskip(NEXT) | instid1(VALU_DEP_1)
	v_cndmask_b32_e64 v42, v43, v42, s2
	v_mov_b32_dpp v43, v42 row_xmask:7 row_mask:0xf bank_mask:0xf
	s_delay_alu instid0(VALU_DEP_1) | instskip(NEXT) | instid1(VALU_DEP_1)
	v_cmp_gt_f32_e64 s2, v42, v43
	v_cndmask_b32_e64 v42, v43, v42, s2
	s_delay_alu instid0(VALU_DEP_1) | instskip(NEXT) | instid1(VALU_DEP_1)
	v_mov_b32_dpp v43, v42 row_xmask:15 row_mask:0xf bank_mask:0xf
	v_cmp_gt_f32_e64 s2, v42, v43
	s_delay_alu instid0(VALU_DEP_1) | instskip(SKIP_1) | instid1(SALU_CYCLE_1)
	v_cndmask_b32_e64 v42, v43, v42, s2
	s_mul_i32 s2, s36, s10
	s_add_i32 s24, s2, s23
	s_delay_alu instid0(VALU_DEP_1)
	v_mul_f32_e32 v42, 0x3b124925, v42
	s_and_saveexec_b32 s2, s0
	s_cbranch_execz .LBB93_33
; %bb.32:                               ;   in Loop: Header=BB93_24 Depth=1
	s_ashr_i32 s25, s24, 31
	s_delay_alu instid0(SALU_CYCLE_1) | instskip(NEXT) | instid1(SALU_CYCLE_1)
	s_lshl_b64 s[28:29], s[24:25], 2
	s_add_u32 s28, s14, s28
	s_addc_u32 s29, s15, s29
	global_store_b32 v23, v42, s[28:29]
.LBB93_33:                              ;   in Loop: Header=BB93_24 Depth=1
	s_or_b32 exec_lo, exec_lo, s2
	s_and_saveexec_b32 s2, s1
	s_cbranch_execz .LBB93_22
; %bb.34:                               ;   in Loop: Header=BB93_24 Depth=1
	v_rcp_f32_e32 v42, v42
	s_mul_i32 s23, s24, s40
	s_mul_hi_i32 s24, s24, s40
	s_add_u32 s36, s12, s23
	s_addc_u32 s23, s13, s24
	s_mov_b32 s39, s31
	s_and_b32 s37, s23, 0xffff
	s_waitcnt_depctr 0xfff
	v_mul_f32_e32 v40, v40, v42
	v_mul_f32_e32 v41, v41, v42
	;; [unrolled: 1-line block ×5, first 2 shown]
	;;#ASMSTART
	v_med3_f32 v40, v40, v24, v25
v_med3_f32 v41, v41, v24, v25
v_cvt_pk_fp8_f32 v33, v40, v41
	;;#ASMEND
	;;#ASMSTART
	v_med3_f32 v38, v38, v24, v25
v_med3_f32 v39, v39, v24, v25
v_cvt_pk_fp8_f32 v40, v38, v39
	;;#ASMEND
	v_perm_b32 v38, v40, v33, 0x5040100
	v_mul_f32_e32 v36, v36, v42
	v_mul_f32_e32 v37, v37, v42
	;; [unrolled: 1-line block ×5, first 2 shown]
	;;#ASMSTART
	v_med3_f32 v36, v36, v24, v25
v_med3_f32 v37, v37, v24, v25
v_cvt_pk_fp8_f32 v32, v36, v37
	;;#ASMEND
	;;#ASMSTART
	v_med3_f32 v34, v34, v24, v25
v_med3_f32 v35, v35, v24, v25
v_cvt_pk_fp8_f32 v33, v34, v35
	;;#ASMEND
	v_mul_f32_e32 v30, v30, v42
	v_mul_f32_e32 v31, v31, v42
	;; [unrolled: 1-line block ×4, first 2 shown]
	;;#ASMSTART
	v_med3_f32 v43, v43, v24, v25
v_med3_f32 v39, v39, v24, v25
v_cvt_pk_fp8_f32 v34, v43, v39
	;;#ASMEND
	;;#ASMSTART
	v_med3_f32 v30, v30, v24, v25
v_med3_f32 v31, v31, v24, v25
v_cvt_pk_fp8_f32 v35, v30, v31
	;;#ASMEND
	v_mul_f32_e32 v26, v26, v42
	v_mul_f32_e32 v27, v27, v42
	;;#ASMSTART
	v_med3_f32 v28, v28, v24, v25
v_med3_f32 v29, v29, v24, v25
v_cvt_pk_fp8_f32 v30, v28, v29
	;;#ASMEND
	v_perm_b32 v33, v32, v33, 0x1000504
	v_perm_b32 v32, v38, v40, 0x1060504
	;; [unrolled: 1-line block ×3, first 2 shown]
	;;#ASMSTART
	v_med3_f32 v26, v26, v24, v25
v_med3_f32 v27, v27, v24, v25
v_cvt_pk_fp8_f32 v28, v26, v27
	;;#ASMEND
	v_perm_b32 v35, v30, v28, 0x1000504
	buffer_store_b128 v[32:35], v21, s[36:39], 0 offen
	;;#ASMSTART
	s_nop 0
	;;#ASMEND
	s_branch .LBB93_22
.LBB93_35:
	s_nop 0
	s_sendmsg sendmsg(MSG_DEALLOC_VGPRS)
	s_endpgm
	.section	.rodata,"a",@progbits
	.p2align	6, 0x0
	.amdhsa_kernel _ZN5aiter36smooth_per_token_scaled_quant_kernelItDB8_Li512ELi16ELb0ELb1ELb1ELi1024EEEvPT0_PfPT_S4_PiS7_iiPKiiiiiiiii
		.amdhsa_group_segment_fixed_size 4160
		.amdhsa_private_segment_fixed_size 0
		.amdhsa_kernarg_size 96
		.amdhsa_user_sgpr_count 15
		.amdhsa_user_sgpr_dispatch_ptr 0
		.amdhsa_user_sgpr_queue_ptr 0
		.amdhsa_user_sgpr_kernarg_segment_ptr 1
		.amdhsa_user_sgpr_dispatch_id 0
		.amdhsa_user_sgpr_private_segment_size 0
		.amdhsa_wavefront_size32 1
		.amdhsa_uses_dynamic_stack 0
		.amdhsa_enable_private_segment 0
		.amdhsa_system_sgpr_workgroup_id_x 1
		.amdhsa_system_sgpr_workgroup_id_y 0
		.amdhsa_system_sgpr_workgroup_id_z 0
		.amdhsa_system_sgpr_workgroup_info 0
		.amdhsa_system_vgpr_workitem_id 0
		.amdhsa_next_free_vgpr 50
		.amdhsa_next_free_sgpr 43
		.amdhsa_reserve_vcc 1
		.amdhsa_float_round_mode_32 0
		.amdhsa_float_round_mode_16_64 0
		.amdhsa_float_denorm_mode_32 3
		.amdhsa_float_denorm_mode_16_64 3
		.amdhsa_dx10_clamp 1
		.amdhsa_ieee_mode 1
		.amdhsa_fp16_overflow 0
		.amdhsa_workgroup_processor_mode 1
		.amdhsa_memory_ordered 1
		.amdhsa_forward_progress 0
		.amdhsa_shared_vgpr_count 0
		.amdhsa_exception_fp_ieee_invalid_op 0
		.amdhsa_exception_fp_denorm_src 0
		.amdhsa_exception_fp_ieee_div_zero 0
		.amdhsa_exception_fp_ieee_overflow 0
		.amdhsa_exception_fp_ieee_underflow 0
		.amdhsa_exception_fp_ieee_inexact 0
		.amdhsa_exception_int_div_zero 0
	.end_amdhsa_kernel
	.section	.text._ZN5aiter36smooth_per_token_scaled_quant_kernelItDB8_Li512ELi16ELb0ELb1ELb1ELi1024EEEvPT0_PfPT_S4_PiS7_iiPKiiiiiiiii,"axG",@progbits,_ZN5aiter36smooth_per_token_scaled_quant_kernelItDB8_Li512ELi16ELb0ELb1ELb1ELi1024EEEvPT0_PfPT_S4_PiS7_iiPKiiiiiiiii,comdat
.Lfunc_end93:
	.size	_ZN5aiter36smooth_per_token_scaled_quant_kernelItDB8_Li512ELi16ELb0ELb1ELb1ELi1024EEEvPT0_PfPT_S4_PiS7_iiPKiiiiiiiii, .Lfunc_end93-_ZN5aiter36smooth_per_token_scaled_quant_kernelItDB8_Li512ELi16ELb0ELb1ELb1ELi1024EEEvPT0_PfPT_S4_PiS7_iiPKiiiiiiiii
                                        ; -- End function
	.section	.AMDGPU.csdata,"",@progbits
; Kernel info:
; codeLenInByte = 4156
; NumSgprs: 45
; NumVgprs: 50
; ScratchSize: 0
; MemoryBound: 0
; FloatMode: 240
; IeeeMode: 1
; LDSByteSize: 4160 bytes/workgroup (compile time only)
; SGPRBlocks: 5
; VGPRBlocks: 6
; NumSGPRsForWavesPerEU: 45
; NumVGPRsForWavesPerEU: 50
; Occupancy: 16
; WaveLimiterHint : 0
; COMPUTE_PGM_RSRC2:SCRATCH_EN: 0
; COMPUTE_PGM_RSRC2:USER_SGPR: 15
; COMPUTE_PGM_RSRC2:TRAP_HANDLER: 0
; COMPUTE_PGM_RSRC2:TGID_X_EN: 1
; COMPUTE_PGM_RSRC2:TGID_Y_EN: 0
; COMPUTE_PGM_RSRC2:TGID_Z_EN: 0
; COMPUTE_PGM_RSRC2:TIDIG_COMP_CNT: 0
	.section	.text._ZN5aiter36smooth_per_token_scaled_quant_kernelIDF16_DB8_Li512ELi16ELb0ELb1ELb0ELi1024EEEvPT0_PfPT_S4_PiS7_iiPKiiiiiiiii,"axG",@progbits,_ZN5aiter36smooth_per_token_scaled_quant_kernelIDF16_DB8_Li512ELi16ELb0ELb1ELb0ELi1024EEEvPT0_PfPT_S4_PiS7_iiPKiiiiiiiii,comdat
	.protected	_ZN5aiter36smooth_per_token_scaled_quant_kernelIDF16_DB8_Li512ELi16ELb0ELb1ELb0ELi1024EEEvPT0_PfPT_S4_PiS7_iiPKiiiiiiiii ; -- Begin function _ZN5aiter36smooth_per_token_scaled_quant_kernelIDF16_DB8_Li512ELi16ELb0ELb1ELb0ELi1024EEEvPT0_PfPT_S4_PiS7_iiPKiiiiiiiii
	.globl	_ZN5aiter36smooth_per_token_scaled_quant_kernelIDF16_DB8_Li512ELi16ELb0ELb1ELb0ELi1024EEEvPT0_PfPT_S4_PiS7_iiPKiiiiiiiii
	.p2align	8
	.type	_ZN5aiter36smooth_per_token_scaled_quant_kernelIDF16_DB8_Li512ELi16ELb0ELb1ELb0ELi1024EEEvPT0_PfPT_S4_PiS7_iiPKiiiiiiiii,@function
_ZN5aiter36smooth_per_token_scaled_quant_kernelIDF16_DB8_Li512ELi16ELb0ELb1ELb0ELi1024EEEvPT0_PfPT_S4_PiS7_iiPKiiiiiiiii: ; @_ZN5aiter36smooth_per_token_scaled_quant_kernelIDF16_DB8_Li512ELi16ELb0ELb1ELb0ELi1024EEEvPT0_PfPT_S4_PiS7_iiPKiiiiiiiii
; %bb.0:
	s_clause 0x1
	s_load_b64 s[2:3], s[0:1], 0x38
	s_load_b256 s[4:11], s[0:1], 0x40
	s_waitcnt lgkmcnt(0)
	s_cmp_lg_u64 s[2:3], 0
	s_cbranch_scc0 .LBB94_24
; %bb.1:
	s_load_b32 s2, s[2:3], 0x0
	s_waitcnt lgkmcnt(0)
	s_mul_i32 s4, s2, s4
	s_cbranch_execnz .LBB94_3
.LBB94_2:
	s_mul_i32 s4, s6, s5
.LBB94_3:
	s_load_b64 s[2:3], s[0:1], 0x30
	s_abs_i32 s13, s4
	s_waitcnt lgkmcnt(0)
	s_abs_i32 s5, s2
	s_delay_alu instid0(SALU_CYCLE_1) | instskip(SKIP_1) | instid1(VALU_DEP_1)
	v_cvt_f32_u32_e32 v1, s5
	s_sub_i32 s12, 0, s5
	v_rcp_iflag_f32_e32 v1, v1
	s_waitcnt_depctr 0xfff
	v_mul_f32_e32 v1, 0x4f7ffffe, v1
	s_delay_alu instid0(VALU_DEP_1) | instskip(NEXT) | instid1(VALU_DEP_1)
	v_cvt_u32_f32_e32 v1, v1
	v_readfirstlane_b32 s11, v1
	s_delay_alu instid0(VALU_DEP_1) | instskip(NEXT) | instid1(SALU_CYCLE_1)
	s_mul_i32 s12, s12, s11
	s_mul_hi_u32 s12, s11, s12
	s_delay_alu instid0(SALU_CYCLE_1) | instskip(SKIP_4) | instid1(SALU_CYCLE_1)
	s_add_i32 s11, s11, s12
	s_xor_b32 s12, s4, s2
	s_mul_hi_u32 s11, s13, s11
	s_ashr_i32 s12, s12, 31
	s_mul_i32 s14, s11, s5
	s_sub_i32 s13, s13, s14
	s_add_i32 s14, s11, 1
	s_sub_i32 s16, s13, s5
	s_cmp_ge_u32 s13, s5
	s_cselect_b32 s11, s14, s11
	s_cselect_b32 s13, s16, s13
	s_add_i32 s14, s11, 1
	s_cmp_ge_u32 s13, s5
	s_cselect_b32 s5, s14, s11
	s_delay_alu instid0(SALU_CYCLE_1) | instskip(NEXT) | instid1(SALU_CYCLE_1)
	s_xor_b32 s5, s5, s12
	s_sub_i32 s11, s5, s12
	s_mov_b32 s12, 0
	s_mul_i32 s2, s11, s2
	s_delay_alu instid0(SALU_CYCLE_1) | instskip(NEXT) | instid1(SALU_CYCLE_1)
	s_sub_i32 s4, s4, s2
	s_cmp_lt_u32 s15, s4
	s_cselect_b32 s2, -1, 0
	s_add_i32 s5, s11, 1
	s_cmp_ge_u32 s15, s4
	s_cbranch_scc0 .LBB94_5
; %bb.4:
	s_sub_i32 s13, s15, s4
	s_mul_i32 s4, s4, s5
	s_mul_i32 s13, s13, s11
	s_delay_alu instid0(SALU_CYCLE_1)
	s_add_i32 s4, s13, s4
	s_and_not1_b32 vcc_lo, exec_lo, s12
	s_cbranch_vccz .LBB94_6
	s_branch .LBB94_7
.LBB94_5:
                                        ; implicit-def: $sgpr4
.LBB94_6:
	s_mul_i32 s4, s5, s15
.LBB94_7:
	v_cndmask_b32_e64 v1, 0, 1, s2
	s_delay_alu instid0(VALU_DEP_1) | instskip(NEXT) | instid1(VALU_DEP_1)
	v_readfirstlane_b32 s2, v1
	s_add_i32 s11, s11, s2
	s_delay_alu instid0(SALU_CYCLE_1)
	s_cmp_lt_i32 s11, 1
	s_cbranch_scc1 .LBB94_23
; %bb.8:
	s_clause 0x1
	s_load_b64 s[20:21], s[0:1], 0x20
	s_load_b256 s[12:19], s[0:1], 0x0
	s_ashr_i32 s5, s4, 31
	v_dual_mov_b32 v10, 0 :: v_dual_and_b32 v9, 31, v0
	s_lshl_b64 s[0:1], s[4:5], 2
	v_lshrrev_b32_e32 v7, 3, v0
	v_dual_mov_b32 v4, 0 :: v_dual_lshlrev_b32 v1, 5, v0
	v_dual_mov_b32 v5, 0xc3e00000 :: v_dual_lshlrev_b32 v2, 6, v0
	v_cmp_eq_u32_e32 vcc_lo, 0, v0
	v_lshlrev_b32_e32 v3, 4, v0
	v_and_b32_e32 v7, 0x7c, v7
	s_mov_b32 s23, -1
	s_mov_b32 s33, s3
	s_mov_b32 s34, 0
	;; [unrolled: 1-line block ×3, first 2 shown]
                                        ; implicit-def: $vgpr15
                                        ; implicit-def: $vgpr17
                                        ; implicit-def: $vgpr12
                                        ; implicit-def: $vgpr18
                                        ; implicit-def: $vgpr13
                                        ; implicit-def: $vgpr20
                                        ; implicit-def: $vgpr14
                                        ; implicit-def: $vgpr22
                                        ; implicit-def: $vgpr16
                                        ; implicit-def: $vgpr23
                                        ; implicit-def: $vgpr19
                                        ; implicit-def: $vgpr24
                                        ; implicit-def: $vgpr21
                                        ; implicit-def: $vgpr25
	s_waitcnt lgkmcnt(0)
	s_add_u32 s24, s20, s0
	s_addc_u32 s1, s21, s1
	s_abs_i32 s5, s6
	s_add_i32 s2, s3, 15
	v_cvt_f32_u32_e32 v6, s5
	s_and_b32 s25, s1, 0xffff
	s_ashr_i32 s1, s2, 31
	s_add_i32 s20, s3, 3
	s_lshr_b32 s1, s1, 28
	v_rcp_iflag_f32_e32 v11, v6
	v_mov_b32_e32 v6, 0x43e00000
	v_and_b32_e32 v8, 15, v0
	s_add_i32 s2, s2, s1
	s_ashr_i32 s21, s20, 31
	s_sub_i32 s28, 0, s5
	s_ashr_i32 s1, s2, 4
	s_lshr_b32 s21, s21, 30
	v_cmp_eq_u32_e64 s0, 31, v9
	v_lshlrev_b32_e32 v9, 2, v9
	s_waitcnt_depctr 0xfff
	v_dual_mul_f32 v11, 0x4f7ffffe, v11 :: v_dual_lshlrev_b32 v8, 2, v8
	v_cmp_gt_u32_e64 s1, s1, v0
	s_lshl_b32 s22, s11, 2
	s_add_i32 s20, s20, s21
	s_delay_alu instid0(VALU_DEP_2)
	v_cvt_u32_f32_e32 v11, v11
	s_lshl_b32 s30, s3, 1
	s_ashr_i32 s40, s6, 31
	s_mov_b64 s[26:27], s[22:23]
	s_lshl_b32 s22, s3, 2
	v_readfirstlane_b32 s29, v11
	s_and_b32 s38, s20, -4
                                        ; implicit-def: $vgpr0
                                        ; implicit-def: $vgpr11
	s_delay_alu instid0(VALU_DEP_1) | instskip(NEXT) | instid1(SALU_CYCLE_1)
	s_mul_i32 s28, s28, s29
	s_mul_hi_u32 s2, s29, s28
	s_mov_b32 s28, s23
	s_add_i32 s41, s29, s2
	s_branch .LBB94_11
.LBB94_9:                               ;   in Loop: Header=BB94_11 Depth=1
	s_or_b32 exec_lo, exec_lo, s2
.LBB94_10:                              ;   in Loop: Header=BB94_11 Depth=1
	v_add_nc_u32_e32 v9, 4, v9
	s_add_i32 s34, s34, 1
	s_delay_alu instid0(SALU_CYCLE_1)
	s_cmp_eq_u32 s11, s34
	s_cbranch_scc1 .LBB94_23
.LBB94_11:                              ; =>This Inner Loop Header: Depth=1
	s_and_b32 s2, s34, 31
	s_delay_alu instid0(SALU_CYCLE_1)
	s_cmp_lg_u32 s2, 0
	s_cbranch_scc1 .LBB94_14
; %bb.12:                               ;   in Loop: Header=BB94_11 Depth=1
	buffer_load_b32 v10, v9, s[24:27], 0 offen
	s_cmp_lg_u32 s34, 0
	s_waitcnt vmcnt(3) expcnt(0) lgkmcnt(55)
	s_cbranch_scc1 .LBB94_14
; %bb.13:                               ;   in Loop: Header=BB94_11 Depth=1
	s_waitcnt vmcnt(0)
	s_waitcnt_vscnt null, 0x0
	s_barrier
	buffer_gl0_inv
.LBB94_14:                              ;   in Loop: Header=BB94_11 Depth=1
	s_waitcnt vmcnt(0)
	v_readlane_b32 s2, v10, s2
	s_delay_alu instid0(VALU_DEP_1)
	s_cmp_lt_i32 s2, 0
	s_cbranch_scc1 .LBB94_10
; %bb.15:                               ;   in Loop: Header=BB94_11 Depth=1
	s_add_i32 s20, s4, s34
	s_delay_alu instid0(SALU_CYCLE_1) | instskip(SKIP_4) | instid1(SALU_CYCLE_1)
	s_abs_i32 s21, s20
	s_ashr_i32 s31, s20, 31
	s_mul_hi_u32 s29, s21, s41
	s_xor_b32 s31, s31, s40
	s_mul_i32 s36, s29, s5
	s_sub_i32 s21, s21, s36
	s_add_i32 s36, s29, 1
	s_sub_i32 s37, s21, s5
	s_cmp_ge_u32 s21, s5
	s_cselect_b32 s29, s36, s29
	s_cselect_b32 s21, s37, s21
	s_add_i32 s36, s29, 1
	s_cmp_ge_u32 s21, s5
	s_cselect_b32 s21, s36, s29
	s_delay_alu instid0(SALU_CYCLE_1) | instskip(NEXT) | instid1(SALU_CYCLE_1)
	s_xor_b32 s21, s21, s31
	s_sub_i32 s36, s21, s31
	s_delay_alu instid0(SALU_CYCLE_1) | instskip(NEXT) | instid1(SALU_CYCLE_1)
	s_mul_i32 s21, s36, s6
	s_sub_i32 s37, s20, s21
	s_mul_i32 s21, s36, s7
	s_mul_i32 s20, s37, s8
	s_delay_alu instid0(SALU_CYCLE_1) | instskip(NEXT) | instid1(SALU_CYCLE_1)
	s_add_i32 s20, s20, s21
	s_cmp_eq_u32 s20, s28
	s_cbranch_scc1 .LBB94_17
; %bb.16:                               ;   in Loop: Header=BB94_11 Depth=1
	s_mul_hi_i32 s29, s20, s33
	s_mul_i32 s28, s20, s33
	s_mov_b32 s31, s23
	s_lshl_b64 s[28:29], s[28:29], 1
	s_delay_alu instid0(SALU_CYCLE_1) | instskip(SKIP_1) | instid1(SALU_CYCLE_1)
	s_add_u32 s28, s16, s28
	s_addc_u32 s21, s17, s29
	s_and_b32 s29, s21, 0xffff
	s_clause 0x1
	buffer_load_b128 v[11:14], v1, s[28:31], 0 offen
	buffer_load_b128 v[19:22], v1, s[28:31], 16 offen
	s_mov_b32 s28, s20
	s_waitcnt vmcnt(1)
	v_lshrrev_b32_e32 v15, 16, v11
	v_lshrrev_b32_e32 v17, 16, v12
	;; [unrolled: 1-line block ×4, first 2 shown]
	s_waitcnt vmcnt(0)
	v_lshrrev_b32_e32 v24, 16, v19
	v_lshrrev_b32_e32 v25, 16, v20
	;; [unrolled: 1-line block ×4, first 2 shown]
	v_cvt_f32_f16_e32 v0, v11
	v_cvt_f32_f16_e32 v11, v12
	;; [unrolled: 1-line block ×16, first 2 shown]
.LBB94_17:                              ;   in Loop: Header=BB94_11 Depth=1
	s_mul_i32 s20, s2, s3
	s_delay_alu instid0(SALU_CYCLE_1) | instskip(NEXT) | instid1(SALU_CYCLE_1)
	s_ashr_i32 s21, s20, 31
	s_lshl_b64 s[20:21], s[20:21], 2
	s_delay_alu instid0(SALU_CYCLE_1) | instskip(SKIP_1) | instid1(SALU_CYCLE_1)
	s_add_u32 s20, s18, s20
	s_addc_u32 s2, s19, s21
	s_and_b32 s21, s2, 0xffff
	s_clause 0x3
	buffer_load_b128 v[26:29], v2, s[20:23], 0 offen
	buffer_load_b128 v[30:33], v2, s[20:23], 16 offen
	;; [unrolled: 1-line block ×4, first 2 shown]
	s_waitcnt vmcnt(3)
	v_dual_mul_f32 v40, v0, v26 :: v_dual_mul_f32 v41, v15, v27
	v_dual_mul_f32 v38, v11, v28 :: v_dual_mul_f32 v39, v17, v29
	s_waitcnt vmcnt(2)
	v_dual_mul_f32 v36, v12, v30 :: v_dual_mul_f32 v37, v18, v31
	s_delay_alu instid0(VALU_DEP_3) | instskip(SKIP_3) | instid1(VALU_DEP_3)
	v_max3_f32 v26, |v40|, 0x2edbe6ff, |v41|
	v_dual_mul_f32 v34, v13, v32 :: v_dual_mul_f32 v35, v20, v33
	s_waitcnt vmcnt(1)
	v_dual_mul_f32 v33, v14, v42 :: v_dual_mul_f32 v30, v16, v44
	v_max3_f32 v26, v26, |v38|, |v39|
	v_dual_mul_f32 v32, v22, v43 :: v_dual_mul_f32 v31, v23, v45
	s_waitcnt vmcnt(0)
	v_dual_mul_f32 v27, v19, v46 :: v_dual_mul_f32 v28, v24, v47
	s_delay_alu instid0(VALU_DEP_3) | instskip(SKIP_1) | instid1(VALU_DEP_2)
	v_max3_f32 v26, v26, |v36|, |v37|
	v_mul_f32_e32 v29, v25, v49
	v_max3_f32 v26, v26, |v34|, |v35|
	s_delay_alu instid0(VALU_DEP_1) | instskip(NEXT) | instid1(VALU_DEP_1)
	v_max3_f32 v26, v26, |v33|, |v32|
	v_max3_f32 v42, v26, |v30|, |v31|
	v_mul_f32_e32 v26, v21, v48
	s_delay_alu instid0(VALU_DEP_2) | instskip(NEXT) | instid1(VALU_DEP_1)
	v_max3_f32 v42, v42, |v27|, |v28|
	v_max3_f32 v42, v42, |v26|, |v29|
	s_delay_alu instid0(VALU_DEP_1) | instskip(NEXT) | instid1(VALU_DEP_1)
	v_mov_b32_dpp v43, v42 quad_perm:[1,0,3,2] row_mask:0xf bank_mask:0xf
	v_cmp_gt_f32_e64 s2, v42, v43
	s_delay_alu instid0(VALU_DEP_1) | instskip(NEXT) | instid1(VALU_DEP_1)
	v_cndmask_b32_e64 v42, v43, v42, s2
	v_mov_b32_dpp v43, v42 quad_perm:[2,3,0,1] row_mask:0xf bank_mask:0xf
	s_delay_alu instid0(VALU_DEP_1) | instskip(NEXT) | instid1(VALU_DEP_1)
	v_cmp_gt_f32_e64 s2, v42, v43
	v_cndmask_b32_e64 v42, v43, v42, s2
	s_delay_alu instid0(VALU_DEP_1) | instskip(NEXT) | instid1(VALU_DEP_1)
	v_mov_b32_dpp v43, v42 row_xmask:7 row_mask:0xf bank_mask:0xf
	v_cmp_gt_f32_e64 s2, v42, v43
	s_delay_alu instid0(VALU_DEP_1) | instskip(NEXT) | instid1(VALU_DEP_1)
	v_cndmask_b32_e64 v42, v43, v42, s2
	v_mov_b32_dpp v43, v42 row_xmask:15 row_mask:0xf bank_mask:0xf
	s_delay_alu instid0(VALU_DEP_1)
	v_cmp_gt_f32_e64 s2, v42, v43
	s_and_saveexec_b32 s20, s0
	s_cbranch_execz .LBB94_19
; %bb.18:                               ;   in Loop: Header=BB94_11 Depth=1
	s_delay_alu instid0(VALU_DEP_1) | instskip(NEXT) | instid1(VALU_DEP_1)
	v_cndmask_b32_e64 v42, v43, v42, s2
	v_permlanex16_b32 v43, v42, s35, 0xfedcba98 op_sel:[1,1]
	s_delay_alu instid0(VALU_DEP_1) | instskip(NEXT) | instid1(VALU_DEP_1)
	v_cmp_gt_f32_e64 s2, v42, v43
	v_cndmask_b32_e64 v42, v43, v42, s2
	ds_store_b32 v7, v42
.LBB94_19:                              ;   in Loop: Header=BB94_11 Depth=1
	s_or_b32 exec_lo, exec_lo, s20
	s_waitcnt lgkmcnt(0)
	s_waitcnt_vscnt null, 0x0
	s_barrier
	buffer_gl0_inv
	ds_load_b32 v42, v8
	s_mul_i32 s36, s36, s9
	s_waitcnt lgkmcnt(0)
	v_mov_b32_dpp v43, v42 quad_perm:[1,0,3,2] row_mask:0xf bank_mask:0xf
	s_delay_alu instid0(VALU_DEP_1) | instskip(NEXT) | instid1(VALU_DEP_1)
	v_cmp_gt_f32_e64 s2, v42, v43
	v_cndmask_b32_e64 v42, v43, v42, s2
	s_delay_alu instid0(VALU_DEP_1) | instskip(NEXT) | instid1(VALU_DEP_1)
	v_mov_b32_dpp v43, v42 quad_perm:[2,3,0,1] row_mask:0xf bank_mask:0xf
	v_cmp_gt_f32_e64 s2, v42, v43
	s_delay_alu instid0(VALU_DEP_1) | instskip(NEXT) | instid1(VALU_DEP_1)
	v_cndmask_b32_e64 v42, v43, v42, s2
	v_mov_b32_dpp v43, v42 row_xmask:7 row_mask:0xf bank_mask:0xf
	s_delay_alu instid0(VALU_DEP_1) | instskip(NEXT) | instid1(VALU_DEP_1)
	v_cmp_gt_f32_e64 s2, v42, v43
	v_cndmask_b32_e64 v42, v43, v42, s2
	s_delay_alu instid0(VALU_DEP_1) | instskip(NEXT) | instid1(VALU_DEP_1)
	v_mov_b32_dpp v43, v42 row_xmask:15 row_mask:0xf bank_mask:0xf
	v_cmp_gt_f32_e64 s2, v42, v43
	s_delay_alu instid0(VALU_DEP_1) | instskip(SKIP_1) | instid1(SALU_CYCLE_1)
	v_cndmask_b32_e64 v42, v43, v42, s2
	s_mul_i32 s2, s37, s10
	s_add_i32 s20, s2, s36
	s_delay_alu instid0(VALU_DEP_1)
	v_mul_f32_e32 v42, 0x3b124925, v42
	s_and_saveexec_b32 s2, vcc_lo
	s_cbranch_execz .LBB94_21
; %bb.20:                               ;   in Loop: Header=BB94_11 Depth=1
	s_ashr_i32 s21, s20, 31
	s_delay_alu instid0(SALU_CYCLE_1) | instskip(NEXT) | instid1(SALU_CYCLE_1)
	s_lshl_b64 s[36:37], s[20:21], 2
	s_add_u32 s36, s14, s36
	s_addc_u32 s37, s15, s37
	global_store_b32 v4, v42, s[36:37]
.LBB94_21:                              ;   in Loop: Header=BB94_11 Depth=1
	s_or_b32 exec_lo, exec_lo, s2
	s_and_saveexec_b32 s2, s1
	s_cbranch_execz .LBB94_9
; %bb.22:                               ;   in Loop: Header=BB94_11 Depth=1
	v_rcp_f32_e32 v42, v42
	s_mul_i32 s21, s20, s33
	s_mul_hi_i32 s20, s20, s33
	s_add_u32 s36, s12, s21
	s_addc_u32 s20, s13, s20
	s_mov_b32 s39, s23
	s_and_b32 s37, s20, 0xffff
	s_waitcnt_depctr 0xfff
	v_mul_f32_e32 v40, v40, v42
	v_mul_f32_e32 v41, v41, v42
	;; [unrolled: 1-line block ×5, first 2 shown]
	;;#ASMSTART
	v_med3_f32 v40, v40, v5, v6
v_med3_f32 v41, v41, v5, v6
v_cvt_pk_fp8_f32 v33, v40, v41
	;;#ASMEND
	;;#ASMSTART
	v_med3_f32 v38, v38, v5, v6
v_med3_f32 v39, v39, v5, v6
v_cvt_pk_fp8_f32 v40, v38, v39
	;;#ASMEND
	v_perm_b32 v38, v40, v33, 0x5040100
	v_mul_f32_e32 v36, v36, v42
	v_mul_f32_e32 v37, v37, v42
	v_mul_f32_e32 v34, v34, v42
	v_mul_f32_e32 v35, v35, v42
	v_mul_f32_e32 v39, v32, v42
	;;#ASMSTART
	v_med3_f32 v36, v36, v5, v6
v_med3_f32 v37, v37, v5, v6
v_cvt_pk_fp8_f32 v32, v36, v37
	;;#ASMEND
	;;#ASMSTART
	v_med3_f32 v34, v34, v5, v6
v_med3_f32 v35, v35, v5, v6
v_cvt_pk_fp8_f32 v33, v34, v35
	;;#ASMEND
	v_mul_f32_e32 v30, v30, v42
	v_mul_f32_e32 v31, v31, v42
	;; [unrolled: 1-line block ×4, first 2 shown]
	;;#ASMSTART
	v_med3_f32 v43, v43, v5, v6
v_med3_f32 v39, v39, v5, v6
v_cvt_pk_fp8_f32 v34, v43, v39
	;;#ASMEND
	;;#ASMSTART
	v_med3_f32 v30, v30, v5, v6
v_med3_f32 v31, v31, v5, v6
v_cvt_pk_fp8_f32 v35, v30, v31
	;;#ASMEND
	v_mul_f32_e32 v26, v26, v42
	v_mul_f32_e32 v29, v29, v42
	;;#ASMSTART
	v_med3_f32 v27, v27, v5, v6
v_med3_f32 v28, v28, v5, v6
v_cvt_pk_fp8_f32 v30, v27, v28
	;;#ASMEND
	v_perm_b32 v33, v32, v33, 0x1000504
	v_perm_b32 v32, v38, v40, 0x1060504
	;; [unrolled: 1-line block ×3, first 2 shown]
	;;#ASMSTART
	v_med3_f32 v26, v26, v5, v6
v_med3_f32 v29, v29, v5, v6
v_cvt_pk_fp8_f32 v27, v26, v29
	;;#ASMEND
	v_perm_b32 v35, v30, v27, 0x1000504
	buffer_store_b128 v[32:35], v3, s[36:39], 0 offen
	;;#ASMSTART
	s_nop 0
	;;#ASMEND
	s_branch .LBB94_9
.LBB94_23:
	s_nop 0
	s_sendmsg sendmsg(MSG_DEALLOC_VGPRS)
	s_endpgm
.LBB94_24:
                                        ; implicit-def: $sgpr4
	s_branch .LBB94_2
	.section	.rodata,"a",@progbits
	.p2align	6, 0x0
	.amdhsa_kernel _ZN5aiter36smooth_per_token_scaled_quant_kernelIDF16_DB8_Li512ELi16ELb0ELb1ELb0ELi1024EEEvPT0_PfPT_S4_PiS7_iiPKiiiiiiiii
		.amdhsa_group_segment_fixed_size 64
		.amdhsa_private_segment_fixed_size 0
		.amdhsa_kernarg_size 96
		.amdhsa_user_sgpr_count 15
		.amdhsa_user_sgpr_dispatch_ptr 0
		.amdhsa_user_sgpr_queue_ptr 0
		.amdhsa_user_sgpr_kernarg_segment_ptr 1
		.amdhsa_user_sgpr_dispatch_id 0
		.amdhsa_user_sgpr_private_segment_size 0
		.amdhsa_wavefront_size32 1
		.amdhsa_uses_dynamic_stack 0
		.amdhsa_enable_private_segment 0
		.amdhsa_system_sgpr_workgroup_id_x 1
		.amdhsa_system_sgpr_workgroup_id_y 0
		.amdhsa_system_sgpr_workgroup_id_z 0
		.amdhsa_system_sgpr_workgroup_info 0
		.amdhsa_system_vgpr_workitem_id 0
		.amdhsa_next_free_vgpr 50
		.amdhsa_next_free_sgpr 42
		.amdhsa_reserve_vcc 1
		.amdhsa_float_round_mode_32 0
		.amdhsa_float_round_mode_16_64 0
		.amdhsa_float_denorm_mode_32 3
		.amdhsa_float_denorm_mode_16_64 3
		.amdhsa_dx10_clamp 1
		.amdhsa_ieee_mode 1
		.amdhsa_fp16_overflow 0
		.amdhsa_workgroup_processor_mode 1
		.amdhsa_memory_ordered 1
		.amdhsa_forward_progress 0
		.amdhsa_shared_vgpr_count 0
		.amdhsa_exception_fp_ieee_invalid_op 0
		.amdhsa_exception_fp_denorm_src 0
		.amdhsa_exception_fp_ieee_div_zero 0
		.amdhsa_exception_fp_ieee_overflow 0
		.amdhsa_exception_fp_ieee_underflow 0
		.amdhsa_exception_fp_ieee_inexact 0
		.amdhsa_exception_int_div_zero 0
	.end_amdhsa_kernel
	.section	.text._ZN5aiter36smooth_per_token_scaled_quant_kernelIDF16_DB8_Li512ELi16ELb0ELb1ELb0ELi1024EEEvPT0_PfPT_S4_PiS7_iiPKiiiiiiiii,"axG",@progbits,_ZN5aiter36smooth_per_token_scaled_quant_kernelIDF16_DB8_Li512ELi16ELb0ELb1ELb0ELi1024EEEvPT0_PfPT_S4_PiS7_iiPKiiiiiiiii,comdat
.Lfunc_end94:
	.size	_ZN5aiter36smooth_per_token_scaled_quant_kernelIDF16_DB8_Li512ELi16ELb0ELb1ELb0ELi1024EEEvPT0_PfPT_S4_PiS7_iiPKiiiiiiiii, .Lfunc_end94-_ZN5aiter36smooth_per_token_scaled_quant_kernelIDF16_DB8_Li512ELi16ELb0ELb1ELb0ELi1024EEEvPT0_PfPT_S4_PiS7_iiPKiiiiiiiii
                                        ; -- End function
	.section	.AMDGPU.csdata,"",@progbits
; Kernel info:
; codeLenInByte = 2284
; NumSgprs: 44
; NumVgprs: 50
; ScratchSize: 0
; MemoryBound: 0
; FloatMode: 240
; IeeeMode: 1
; LDSByteSize: 64 bytes/workgroup (compile time only)
; SGPRBlocks: 5
; VGPRBlocks: 6
; NumSGPRsForWavesPerEU: 44
; NumVGPRsForWavesPerEU: 50
; Occupancy: 16
; WaveLimiterHint : 0
; COMPUTE_PGM_RSRC2:SCRATCH_EN: 0
; COMPUTE_PGM_RSRC2:USER_SGPR: 15
; COMPUTE_PGM_RSRC2:TRAP_HANDLER: 0
; COMPUTE_PGM_RSRC2:TGID_X_EN: 1
; COMPUTE_PGM_RSRC2:TGID_Y_EN: 0
; COMPUTE_PGM_RSRC2:TGID_Z_EN: 0
; COMPUTE_PGM_RSRC2:TIDIG_COMP_CNT: 0
	.section	.text._ZN5aiter36smooth_per_token_scaled_quant_kernelItDB8_Li512ELi16ELb0ELb1ELb0ELi1024EEEvPT0_PfPT_S4_PiS7_iiPKiiiiiiiii,"axG",@progbits,_ZN5aiter36smooth_per_token_scaled_quant_kernelItDB8_Li512ELi16ELb0ELb1ELb0ELi1024EEEvPT0_PfPT_S4_PiS7_iiPKiiiiiiiii,comdat
	.protected	_ZN5aiter36smooth_per_token_scaled_quant_kernelItDB8_Li512ELi16ELb0ELb1ELb0ELi1024EEEvPT0_PfPT_S4_PiS7_iiPKiiiiiiiii ; -- Begin function _ZN5aiter36smooth_per_token_scaled_quant_kernelItDB8_Li512ELi16ELb0ELb1ELb0ELi1024EEEvPT0_PfPT_S4_PiS7_iiPKiiiiiiiii
	.globl	_ZN5aiter36smooth_per_token_scaled_quant_kernelItDB8_Li512ELi16ELb0ELb1ELb0ELi1024EEEvPT0_PfPT_S4_PiS7_iiPKiiiiiiiii
	.p2align	8
	.type	_ZN5aiter36smooth_per_token_scaled_quant_kernelItDB8_Li512ELi16ELb0ELb1ELb0ELi1024EEEvPT0_PfPT_S4_PiS7_iiPKiiiiiiiii,@function
_ZN5aiter36smooth_per_token_scaled_quant_kernelItDB8_Li512ELi16ELb0ELb1ELb0ELi1024EEEvPT0_PfPT_S4_PiS7_iiPKiiiiiiiii: ; @_ZN5aiter36smooth_per_token_scaled_quant_kernelItDB8_Li512ELi16ELb0ELb1ELb0ELi1024EEEvPT0_PfPT_S4_PiS7_iiPKiiiiiiiii
; %bb.0:
	s_clause 0x1
	s_load_b64 s[2:3], s[0:1], 0x38
	s_load_b256 s[4:11], s[0:1], 0x40
	s_waitcnt lgkmcnt(0)
	s_cmp_lg_u64 s[2:3], 0
	s_cbranch_scc0 .LBB95_24
; %bb.1:
	s_load_b32 s2, s[2:3], 0x0
	s_waitcnt lgkmcnt(0)
	s_mul_i32 s4, s2, s4
	s_cbranch_execnz .LBB95_3
.LBB95_2:
	s_mul_i32 s4, s6, s5
.LBB95_3:
	s_load_b64 s[2:3], s[0:1], 0x30
	s_abs_i32 s13, s4
	s_waitcnt lgkmcnt(0)
	s_abs_i32 s5, s2
	s_delay_alu instid0(SALU_CYCLE_1) | instskip(SKIP_1) | instid1(VALU_DEP_1)
	v_cvt_f32_u32_e32 v1, s5
	s_sub_i32 s12, 0, s5
	v_rcp_iflag_f32_e32 v1, v1
	s_waitcnt_depctr 0xfff
	v_mul_f32_e32 v1, 0x4f7ffffe, v1
	s_delay_alu instid0(VALU_DEP_1) | instskip(NEXT) | instid1(VALU_DEP_1)
	v_cvt_u32_f32_e32 v1, v1
	v_readfirstlane_b32 s11, v1
	s_delay_alu instid0(VALU_DEP_1) | instskip(NEXT) | instid1(SALU_CYCLE_1)
	s_mul_i32 s12, s12, s11
	s_mul_hi_u32 s12, s11, s12
	s_delay_alu instid0(SALU_CYCLE_1) | instskip(SKIP_4) | instid1(SALU_CYCLE_1)
	s_add_i32 s11, s11, s12
	s_xor_b32 s12, s4, s2
	s_mul_hi_u32 s11, s13, s11
	s_ashr_i32 s12, s12, 31
	s_mul_i32 s14, s11, s5
	s_sub_i32 s13, s13, s14
	s_add_i32 s14, s11, 1
	s_sub_i32 s16, s13, s5
	s_cmp_ge_u32 s13, s5
	s_cselect_b32 s11, s14, s11
	s_cselect_b32 s13, s16, s13
	s_add_i32 s14, s11, 1
	s_cmp_ge_u32 s13, s5
	s_cselect_b32 s5, s14, s11
	s_delay_alu instid0(SALU_CYCLE_1) | instskip(NEXT) | instid1(SALU_CYCLE_1)
	s_xor_b32 s5, s5, s12
	s_sub_i32 s11, s5, s12
	s_mov_b32 s12, 0
	s_mul_i32 s2, s11, s2
	s_delay_alu instid0(SALU_CYCLE_1) | instskip(NEXT) | instid1(SALU_CYCLE_1)
	s_sub_i32 s4, s4, s2
	s_cmp_lt_u32 s15, s4
	s_cselect_b32 s2, -1, 0
	s_add_i32 s5, s11, 1
	s_cmp_ge_u32 s15, s4
	s_cbranch_scc0 .LBB95_5
; %bb.4:
	s_sub_i32 s13, s15, s4
	s_mul_i32 s4, s4, s5
	s_mul_i32 s13, s13, s11
	s_delay_alu instid0(SALU_CYCLE_1)
	s_add_i32 s4, s13, s4
	s_and_not1_b32 vcc_lo, exec_lo, s12
	s_cbranch_vccz .LBB95_6
	s_branch .LBB95_7
.LBB95_5:
                                        ; implicit-def: $sgpr4
.LBB95_6:
	s_mul_i32 s4, s5, s15
.LBB95_7:
	v_cndmask_b32_e64 v1, 0, 1, s2
	s_delay_alu instid0(VALU_DEP_1) | instskip(NEXT) | instid1(VALU_DEP_1)
	v_readfirstlane_b32 s2, v1
	s_add_i32 s11, s11, s2
	s_delay_alu instid0(SALU_CYCLE_1)
	s_cmp_lt_i32 s11, 1
	s_cbranch_scc1 .LBB95_23
; %bb.8:
	s_clause 0x1
	s_load_b64 s[20:21], s[0:1], 0x20
	s_load_b256 s[12:19], s[0:1], 0x0
	s_ashr_i32 s5, s4, 31
	v_dual_mov_b32 v10, 0 :: v_dual_and_b32 v9, 31, v0
	s_lshl_b64 s[0:1], s[4:5], 2
	v_lshrrev_b32_e32 v7, 3, v0
	v_dual_mov_b32 v4, 0 :: v_dual_lshlrev_b32 v1, 5, v0
	v_dual_mov_b32 v5, 0xc3e00000 :: v_dual_lshlrev_b32 v2, 6, v0
	v_cmp_eq_u32_e32 vcc_lo, 0, v0
	v_lshlrev_b32_e32 v3, 4, v0
	v_and_b32_e32 v7, 0x7c, v7
	s_mov_b32 s23, -1
	s_mov_b32 s33, s3
	s_mov_b32 s34, 0
	;; [unrolled: 1-line block ×3, first 2 shown]
                                        ; implicit-def: $vgpr12
                                        ; implicit-def: $vgpr13
                                        ; implicit-def: $vgpr14
                                        ; implicit-def: $vgpr15
                                        ; implicit-def: $vgpr16
                                        ; implicit-def: $vgpr17
                                        ; implicit-def: $vgpr18
                                        ; implicit-def: $vgpr19
                                        ; implicit-def: $vgpr20
                                        ; implicit-def: $vgpr21
                                        ; implicit-def: $vgpr22
                                        ; implicit-def: $vgpr23
                                        ; implicit-def: $vgpr24
                                        ; implicit-def: $vgpr25
	s_waitcnt lgkmcnt(0)
	s_add_u32 s24, s20, s0
	s_addc_u32 s1, s21, s1
	s_abs_i32 s5, s6
	s_add_i32 s2, s3, 15
	v_cvt_f32_u32_e32 v6, s5
	s_and_b32 s25, s1, 0xffff
	s_ashr_i32 s1, s2, 31
	s_add_i32 s20, s3, 3
	s_lshr_b32 s1, s1, 28
	v_rcp_iflag_f32_e32 v11, v6
	v_mov_b32_e32 v6, 0x43e00000
	v_and_b32_e32 v8, 15, v0
	s_add_i32 s2, s2, s1
	s_ashr_i32 s21, s20, 31
	s_sub_i32 s28, 0, s5
	s_ashr_i32 s1, s2, 4
	s_lshr_b32 s21, s21, 30
	v_cmp_eq_u32_e64 s0, 31, v9
	v_lshlrev_b32_e32 v9, 2, v9
	s_waitcnt_depctr 0xfff
	v_dual_mul_f32 v11, 0x4f7ffffe, v11 :: v_dual_lshlrev_b32 v8, 2, v8
	v_cmp_gt_u32_e64 s1, s1, v0
	s_lshl_b32 s22, s11, 2
	s_add_i32 s20, s20, s21
	s_delay_alu instid0(VALU_DEP_2)
	v_cvt_u32_f32_e32 v11, v11
	s_lshl_b32 s30, s3, 1
	s_ashr_i32 s40, s6, 31
	s_mov_b64 s[26:27], s[22:23]
	s_lshl_b32 s22, s3, 2
	v_readfirstlane_b32 s29, v11
	s_and_b32 s38, s20, -4
                                        ; implicit-def: $vgpr0
                                        ; implicit-def: $vgpr11
	s_delay_alu instid0(VALU_DEP_1) | instskip(NEXT) | instid1(SALU_CYCLE_1)
	s_mul_i32 s28, s28, s29
	s_mul_hi_u32 s2, s29, s28
	s_mov_b32 s28, s23
	s_add_i32 s41, s29, s2
	s_branch .LBB95_11
.LBB95_9:                               ;   in Loop: Header=BB95_11 Depth=1
	s_or_b32 exec_lo, exec_lo, s2
.LBB95_10:                              ;   in Loop: Header=BB95_11 Depth=1
	v_add_nc_u32_e32 v9, 4, v9
	s_add_i32 s34, s34, 1
	s_delay_alu instid0(SALU_CYCLE_1)
	s_cmp_eq_u32 s11, s34
	s_cbranch_scc1 .LBB95_23
.LBB95_11:                              ; =>This Inner Loop Header: Depth=1
	s_and_b32 s2, s34, 31
	s_delay_alu instid0(SALU_CYCLE_1)
	s_cmp_lg_u32 s2, 0
	s_cbranch_scc1 .LBB95_14
; %bb.12:                               ;   in Loop: Header=BB95_11 Depth=1
	buffer_load_b32 v10, v9, s[24:27], 0 offen
	s_cmp_lg_u32 s34, 0
	s_waitcnt vmcnt(3) expcnt(0) lgkmcnt(55)
	s_cbranch_scc1 .LBB95_14
; %bb.13:                               ;   in Loop: Header=BB95_11 Depth=1
	s_waitcnt vmcnt(0)
	s_waitcnt_vscnt null, 0x0
	s_barrier
	buffer_gl0_inv
.LBB95_14:                              ;   in Loop: Header=BB95_11 Depth=1
	s_waitcnt vmcnt(0)
	v_readlane_b32 s2, v10, s2
	s_delay_alu instid0(VALU_DEP_1)
	s_cmp_lt_i32 s2, 0
	s_cbranch_scc1 .LBB95_10
; %bb.15:                               ;   in Loop: Header=BB95_11 Depth=1
	s_add_i32 s20, s4, s34
	s_delay_alu instid0(SALU_CYCLE_1) | instskip(SKIP_4) | instid1(SALU_CYCLE_1)
	s_abs_i32 s21, s20
	s_ashr_i32 s31, s20, 31
	s_mul_hi_u32 s29, s21, s41
	s_xor_b32 s31, s31, s40
	s_mul_i32 s36, s29, s5
	s_sub_i32 s21, s21, s36
	s_add_i32 s36, s29, 1
	s_sub_i32 s37, s21, s5
	s_cmp_ge_u32 s21, s5
	s_cselect_b32 s29, s36, s29
	s_cselect_b32 s21, s37, s21
	s_add_i32 s36, s29, 1
	s_cmp_ge_u32 s21, s5
	s_cselect_b32 s21, s36, s29
	s_delay_alu instid0(SALU_CYCLE_1) | instskip(NEXT) | instid1(SALU_CYCLE_1)
	s_xor_b32 s21, s21, s31
	s_sub_i32 s36, s21, s31
	s_delay_alu instid0(SALU_CYCLE_1) | instskip(NEXT) | instid1(SALU_CYCLE_1)
	s_mul_i32 s21, s36, s6
	s_sub_i32 s37, s20, s21
	s_mul_i32 s21, s36, s7
	s_mul_i32 s20, s37, s8
	s_delay_alu instid0(SALU_CYCLE_1) | instskip(NEXT) | instid1(SALU_CYCLE_1)
	s_add_i32 s20, s20, s21
	s_cmp_eq_u32 s20, s28
	s_cbranch_scc1 .LBB95_17
; %bb.16:                               ;   in Loop: Header=BB95_11 Depth=1
	s_mul_hi_i32 s29, s20, s33
	s_mul_i32 s28, s20, s33
	s_mov_b32 s31, s23
	s_lshl_b64 s[28:29], s[28:29], 1
	s_delay_alu instid0(SALU_CYCLE_1) | instskip(SKIP_1) | instid1(SALU_CYCLE_1)
	s_add_u32 s28, s16, s28
	s_addc_u32 s21, s17, s29
	s_and_b32 s29, s21, 0xffff
	s_clause 0x1
	buffer_load_b128 v[11:14], v1, s[28:31], 0 offen
	buffer_load_b128 v[15:18], v1, s[28:31], 16 offen
	s_mov_b32 s28, s20
	s_waitcnt vmcnt(1)
	v_and_b32_e32 v0, 0xffff, v11
	v_lshrrev_b32_e32 v11, 16, v11
	v_and_b32_e32 v19, 0xffff, v12
	v_lshrrev_b32_e32 v20, 16, v12
	;; [unrolled: 2-line block ×4, first 2 shown]
	s_waitcnt vmcnt(0)
	v_and_b32_e32 v25, 0xffff, v15
	v_lshrrev_b32_e32 v26, 16, v15
	v_and_b32_e32 v27, 0xffff, v16
	v_lshrrev_b32_e32 v28, 16, v16
	v_and_b32_e32 v29, 0xffff, v17
	v_lshrrev_b32_e32 v30, 16, v17
	v_and_b32_e32 v31, 0xffff, v18
	v_lshrrev_b32_e32 v32, 16, v18
	v_cvt_f32_u32_e32 v0, v0
	v_cvt_f32_u32_e32 v11, v11
	;; [unrolled: 1-line block ×16, first 2 shown]
.LBB95_17:                              ;   in Loop: Header=BB95_11 Depth=1
	s_mul_i32 s20, s2, s3
	s_delay_alu instid0(SALU_CYCLE_1) | instskip(NEXT) | instid1(SALU_CYCLE_1)
	s_ashr_i32 s21, s20, 31
	s_lshl_b64 s[20:21], s[20:21], 2
	s_delay_alu instid0(SALU_CYCLE_1) | instskip(SKIP_1) | instid1(SALU_CYCLE_1)
	s_add_u32 s20, s18, s20
	s_addc_u32 s2, s19, s21
	s_and_b32 s21, s2, 0xffff
	s_clause 0x3
	buffer_load_b128 v[26:29], v2, s[20:23], 0 offen
	buffer_load_b128 v[30:33], v2, s[20:23], 16 offen
	;; [unrolled: 1-line block ×4, first 2 shown]
	s_waitcnt vmcnt(3)
	v_dual_mul_f32 v40, v0, v26 :: v_dual_mul_f32 v41, v11, v27
	v_dual_mul_f32 v38, v12, v28 :: v_dual_mul_f32 v39, v13, v29
	s_waitcnt vmcnt(2)
	v_dual_mul_f32 v36, v14, v30 :: v_dual_mul_f32 v37, v15, v31
	s_delay_alu instid0(VALU_DEP_3) | instskip(SKIP_3) | instid1(VALU_DEP_3)
	v_max3_f32 v26, |v40|, 0x2edbe6ff, |v41|
	v_dual_mul_f32 v34, v16, v32 :: v_dual_mul_f32 v35, v17, v33
	s_waitcnt vmcnt(1)
	v_dual_mul_f32 v33, v18, v42 :: v_dual_mul_f32 v32, v19, v43
	v_max3_f32 v26, v26, |v38|, |v39|
	v_dual_mul_f32 v30, v20, v44 :: v_dual_mul_f32 v31, v21, v45
	s_waitcnt vmcnt(0)
	v_dual_mul_f32 v27, v22, v46 :: v_dual_mul_f32 v28, v23, v47
	s_delay_alu instid0(VALU_DEP_3) | instskip(SKIP_1) | instid1(VALU_DEP_2)
	v_max3_f32 v26, v26, |v36|, |v37|
	v_mul_f32_e32 v29, v25, v49
	v_max3_f32 v26, v26, |v34|, |v35|
	s_delay_alu instid0(VALU_DEP_1) | instskip(NEXT) | instid1(VALU_DEP_1)
	v_max3_f32 v26, v26, |v33|, |v32|
	v_max3_f32 v42, v26, |v30|, |v31|
	v_mul_f32_e32 v26, v24, v48
	s_delay_alu instid0(VALU_DEP_2) | instskip(NEXT) | instid1(VALU_DEP_1)
	v_max3_f32 v42, v42, |v27|, |v28|
	v_max3_f32 v42, v42, |v26|, |v29|
	s_delay_alu instid0(VALU_DEP_1) | instskip(NEXT) | instid1(VALU_DEP_1)
	v_mov_b32_dpp v43, v42 quad_perm:[1,0,3,2] row_mask:0xf bank_mask:0xf
	v_cmp_gt_f32_e64 s2, v42, v43
	s_delay_alu instid0(VALU_DEP_1) | instskip(NEXT) | instid1(VALU_DEP_1)
	v_cndmask_b32_e64 v42, v43, v42, s2
	v_mov_b32_dpp v43, v42 quad_perm:[2,3,0,1] row_mask:0xf bank_mask:0xf
	s_delay_alu instid0(VALU_DEP_1) | instskip(NEXT) | instid1(VALU_DEP_1)
	v_cmp_gt_f32_e64 s2, v42, v43
	v_cndmask_b32_e64 v42, v43, v42, s2
	s_delay_alu instid0(VALU_DEP_1) | instskip(NEXT) | instid1(VALU_DEP_1)
	v_mov_b32_dpp v43, v42 row_xmask:7 row_mask:0xf bank_mask:0xf
	v_cmp_gt_f32_e64 s2, v42, v43
	s_delay_alu instid0(VALU_DEP_1) | instskip(NEXT) | instid1(VALU_DEP_1)
	v_cndmask_b32_e64 v42, v43, v42, s2
	v_mov_b32_dpp v43, v42 row_xmask:15 row_mask:0xf bank_mask:0xf
	s_delay_alu instid0(VALU_DEP_1)
	v_cmp_gt_f32_e64 s2, v42, v43
	s_and_saveexec_b32 s20, s0
	s_cbranch_execz .LBB95_19
; %bb.18:                               ;   in Loop: Header=BB95_11 Depth=1
	s_delay_alu instid0(VALU_DEP_1) | instskip(NEXT) | instid1(VALU_DEP_1)
	v_cndmask_b32_e64 v42, v43, v42, s2
	v_permlanex16_b32 v43, v42, s35, 0xfedcba98 op_sel:[1,1]
	s_delay_alu instid0(VALU_DEP_1) | instskip(NEXT) | instid1(VALU_DEP_1)
	v_cmp_gt_f32_e64 s2, v42, v43
	v_cndmask_b32_e64 v42, v43, v42, s2
	ds_store_b32 v7, v42
.LBB95_19:                              ;   in Loop: Header=BB95_11 Depth=1
	s_or_b32 exec_lo, exec_lo, s20
	s_waitcnt lgkmcnt(0)
	s_waitcnt_vscnt null, 0x0
	s_barrier
	buffer_gl0_inv
	ds_load_b32 v42, v8
	s_mul_i32 s36, s36, s9
	s_waitcnt lgkmcnt(0)
	v_mov_b32_dpp v43, v42 quad_perm:[1,0,3,2] row_mask:0xf bank_mask:0xf
	s_delay_alu instid0(VALU_DEP_1) | instskip(NEXT) | instid1(VALU_DEP_1)
	v_cmp_gt_f32_e64 s2, v42, v43
	v_cndmask_b32_e64 v42, v43, v42, s2
	s_delay_alu instid0(VALU_DEP_1) | instskip(NEXT) | instid1(VALU_DEP_1)
	v_mov_b32_dpp v43, v42 quad_perm:[2,3,0,1] row_mask:0xf bank_mask:0xf
	v_cmp_gt_f32_e64 s2, v42, v43
	s_delay_alu instid0(VALU_DEP_1) | instskip(NEXT) | instid1(VALU_DEP_1)
	v_cndmask_b32_e64 v42, v43, v42, s2
	v_mov_b32_dpp v43, v42 row_xmask:7 row_mask:0xf bank_mask:0xf
	s_delay_alu instid0(VALU_DEP_1) | instskip(NEXT) | instid1(VALU_DEP_1)
	v_cmp_gt_f32_e64 s2, v42, v43
	v_cndmask_b32_e64 v42, v43, v42, s2
	s_delay_alu instid0(VALU_DEP_1) | instskip(NEXT) | instid1(VALU_DEP_1)
	v_mov_b32_dpp v43, v42 row_xmask:15 row_mask:0xf bank_mask:0xf
	v_cmp_gt_f32_e64 s2, v42, v43
	s_delay_alu instid0(VALU_DEP_1) | instskip(SKIP_1) | instid1(SALU_CYCLE_1)
	v_cndmask_b32_e64 v42, v43, v42, s2
	s_mul_i32 s2, s37, s10
	s_add_i32 s20, s2, s36
	s_delay_alu instid0(VALU_DEP_1)
	v_mul_f32_e32 v42, 0x3b124925, v42
	s_and_saveexec_b32 s2, vcc_lo
	s_cbranch_execz .LBB95_21
; %bb.20:                               ;   in Loop: Header=BB95_11 Depth=1
	s_ashr_i32 s21, s20, 31
	s_delay_alu instid0(SALU_CYCLE_1) | instskip(NEXT) | instid1(SALU_CYCLE_1)
	s_lshl_b64 s[36:37], s[20:21], 2
	s_add_u32 s36, s14, s36
	s_addc_u32 s37, s15, s37
	global_store_b32 v4, v42, s[36:37]
.LBB95_21:                              ;   in Loop: Header=BB95_11 Depth=1
	s_or_b32 exec_lo, exec_lo, s2
	s_and_saveexec_b32 s2, s1
	s_cbranch_execz .LBB95_9
; %bb.22:                               ;   in Loop: Header=BB95_11 Depth=1
	v_rcp_f32_e32 v42, v42
	s_mul_i32 s21, s20, s33
	s_mul_hi_i32 s20, s20, s33
	s_add_u32 s36, s12, s21
	s_addc_u32 s20, s13, s20
	s_mov_b32 s39, s23
	s_and_b32 s37, s20, 0xffff
	s_waitcnt_depctr 0xfff
	v_mul_f32_e32 v40, v40, v42
	v_mul_f32_e32 v41, v41, v42
	;; [unrolled: 1-line block ×5, first 2 shown]
	;;#ASMSTART
	v_med3_f32 v40, v40, v5, v6
v_med3_f32 v41, v41, v5, v6
v_cvt_pk_fp8_f32 v33, v40, v41
	;;#ASMEND
	;;#ASMSTART
	v_med3_f32 v38, v38, v5, v6
v_med3_f32 v39, v39, v5, v6
v_cvt_pk_fp8_f32 v40, v38, v39
	;;#ASMEND
	v_perm_b32 v38, v40, v33, 0x5040100
	v_mul_f32_e32 v36, v36, v42
	v_mul_f32_e32 v37, v37, v42
	;; [unrolled: 1-line block ×5, first 2 shown]
	;;#ASMSTART
	v_med3_f32 v36, v36, v5, v6
v_med3_f32 v37, v37, v5, v6
v_cvt_pk_fp8_f32 v32, v36, v37
	;;#ASMEND
	;;#ASMSTART
	v_med3_f32 v34, v34, v5, v6
v_med3_f32 v35, v35, v5, v6
v_cvt_pk_fp8_f32 v33, v34, v35
	;;#ASMEND
	v_mul_f32_e32 v30, v30, v42
	v_mul_f32_e32 v31, v31, v42
	;; [unrolled: 1-line block ×4, first 2 shown]
	;;#ASMSTART
	v_med3_f32 v43, v43, v5, v6
v_med3_f32 v39, v39, v5, v6
v_cvt_pk_fp8_f32 v34, v43, v39
	;;#ASMEND
	;;#ASMSTART
	v_med3_f32 v30, v30, v5, v6
v_med3_f32 v31, v31, v5, v6
v_cvt_pk_fp8_f32 v35, v30, v31
	;;#ASMEND
	v_mul_f32_e32 v26, v26, v42
	v_mul_f32_e32 v29, v29, v42
	;;#ASMSTART
	v_med3_f32 v27, v27, v5, v6
v_med3_f32 v28, v28, v5, v6
v_cvt_pk_fp8_f32 v30, v27, v28
	;;#ASMEND
	v_perm_b32 v33, v32, v33, 0x1000504
	v_perm_b32 v32, v38, v40, 0x1060504
	;; [unrolled: 1-line block ×3, first 2 shown]
	;;#ASMSTART
	v_med3_f32 v26, v26, v5, v6
v_med3_f32 v29, v29, v5, v6
v_cvt_pk_fp8_f32 v27, v26, v29
	;;#ASMEND
	v_perm_b32 v35, v30, v27, 0x1000504
	buffer_store_b128 v[32:35], v3, s[36:39], 0 offen
	;;#ASMSTART
	s_nop 0
	;;#ASMEND
	s_branch .LBB95_9
.LBB95_23:
	s_nop 0
	s_sendmsg sendmsg(MSG_DEALLOC_VGPRS)
	s_endpgm
.LBB95_24:
                                        ; implicit-def: $sgpr4
	s_branch .LBB95_2
	.section	.rodata,"a",@progbits
	.p2align	6, 0x0
	.amdhsa_kernel _ZN5aiter36smooth_per_token_scaled_quant_kernelItDB8_Li512ELi16ELb0ELb1ELb0ELi1024EEEvPT0_PfPT_S4_PiS7_iiPKiiiiiiiii
		.amdhsa_group_segment_fixed_size 64
		.amdhsa_private_segment_fixed_size 0
		.amdhsa_kernarg_size 96
		.amdhsa_user_sgpr_count 15
		.amdhsa_user_sgpr_dispatch_ptr 0
		.amdhsa_user_sgpr_queue_ptr 0
		.amdhsa_user_sgpr_kernarg_segment_ptr 1
		.amdhsa_user_sgpr_dispatch_id 0
		.amdhsa_user_sgpr_private_segment_size 0
		.amdhsa_wavefront_size32 1
		.amdhsa_uses_dynamic_stack 0
		.amdhsa_enable_private_segment 0
		.amdhsa_system_sgpr_workgroup_id_x 1
		.amdhsa_system_sgpr_workgroup_id_y 0
		.amdhsa_system_sgpr_workgroup_id_z 0
		.amdhsa_system_sgpr_workgroup_info 0
		.amdhsa_system_vgpr_workitem_id 0
		.amdhsa_next_free_vgpr 50
		.amdhsa_next_free_sgpr 42
		.amdhsa_reserve_vcc 1
		.amdhsa_float_round_mode_32 0
		.amdhsa_float_round_mode_16_64 0
		.amdhsa_float_denorm_mode_32 3
		.amdhsa_float_denorm_mode_16_64 3
		.amdhsa_dx10_clamp 1
		.amdhsa_ieee_mode 1
		.amdhsa_fp16_overflow 0
		.amdhsa_workgroup_processor_mode 1
		.amdhsa_memory_ordered 1
		.amdhsa_forward_progress 0
		.amdhsa_shared_vgpr_count 0
		.amdhsa_exception_fp_ieee_invalid_op 0
		.amdhsa_exception_fp_denorm_src 0
		.amdhsa_exception_fp_ieee_div_zero 0
		.amdhsa_exception_fp_ieee_overflow 0
		.amdhsa_exception_fp_ieee_underflow 0
		.amdhsa_exception_fp_ieee_inexact 0
		.amdhsa_exception_int_div_zero 0
	.end_amdhsa_kernel
	.section	.text._ZN5aiter36smooth_per_token_scaled_quant_kernelItDB8_Li512ELi16ELb0ELb1ELb0ELi1024EEEvPT0_PfPT_S4_PiS7_iiPKiiiiiiiii,"axG",@progbits,_ZN5aiter36smooth_per_token_scaled_quant_kernelItDB8_Li512ELi16ELb0ELb1ELb0ELi1024EEEvPT0_PfPT_S4_PiS7_iiPKiiiiiiiii,comdat
.Lfunc_end95:
	.size	_ZN5aiter36smooth_per_token_scaled_quant_kernelItDB8_Li512ELi16ELb0ELb1ELb0ELi1024EEEvPT0_PfPT_S4_PiS7_iiPKiiiiiiiii, .Lfunc_end95-_ZN5aiter36smooth_per_token_scaled_quant_kernelItDB8_Li512ELi16ELb0ELb1ELb0ELi1024EEEvPT0_PfPT_S4_PiS7_iiPKiiiiiiiii
                                        ; -- End function
	.section	.AMDGPU.csdata,"",@progbits
; Kernel info:
; codeLenInByte = 2348
; NumSgprs: 44
; NumVgprs: 50
; ScratchSize: 0
; MemoryBound: 0
; FloatMode: 240
; IeeeMode: 1
; LDSByteSize: 64 bytes/workgroup (compile time only)
; SGPRBlocks: 5
; VGPRBlocks: 6
; NumSGPRsForWavesPerEU: 44
; NumVGPRsForWavesPerEU: 50
; Occupancy: 16
; WaveLimiterHint : 0
; COMPUTE_PGM_RSRC2:SCRATCH_EN: 0
; COMPUTE_PGM_RSRC2:USER_SGPR: 15
; COMPUTE_PGM_RSRC2:TRAP_HANDLER: 0
; COMPUTE_PGM_RSRC2:TGID_X_EN: 1
; COMPUTE_PGM_RSRC2:TGID_Y_EN: 0
; COMPUTE_PGM_RSRC2:TGID_Z_EN: 0
; COMPUTE_PGM_RSRC2:TIDIG_COMP_CNT: 0
	.section	.text._ZN5aiter36smooth_per_token_scaled_quant_kernelIDF16_DB8_Li512ELi16ELb0ELb0ELb0ELi1024EEEvPT0_PfPT_S4_PiS7_iiPKiiiiiiiii,"axG",@progbits,_ZN5aiter36smooth_per_token_scaled_quant_kernelIDF16_DB8_Li512ELi16ELb0ELb0ELb0ELi1024EEEvPT0_PfPT_S4_PiS7_iiPKiiiiiiiii,comdat
	.protected	_ZN5aiter36smooth_per_token_scaled_quant_kernelIDF16_DB8_Li512ELi16ELb0ELb0ELb0ELi1024EEEvPT0_PfPT_S4_PiS7_iiPKiiiiiiiii ; -- Begin function _ZN5aiter36smooth_per_token_scaled_quant_kernelIDF16_DB8_Li512ELi16ELb0ELb0ELb0ELi1024EEEvPT0_PfPT_S4_PiS7_iiPKiiiiiiiii
	.globl	_ZN5aiter36smooth_per_token_scaled_quant_kernelIDF16_DB8_Li512ELi16ELb0ELb0ELb0ELi1024EEEvPT0_PfPT_S4_PiS7_iiPKiiiiiiiii
	.p2align	8
	.type	_ZN5aiter36smooth_per_token_scaled_quant_kernelIDF16_DB8_Li512ELi16ELb0ELb0ELb0ELi1024EEEvPT0_PfPT_S4_PiS7_iiPKiiiiiiiii,@function
_ZN5aiter36smooth_per_token_scaled_quant_kernelIDF16_DB8_Li512ELi16ELb0ELb0ELb0ELi1024EEEvPT0_PfPT_S4_PiS7_iiPKiiiiiiiii: ; @_ZN5aiter36smooth_per_token_scaled_quant_kernelIDF16_DB8_Li512ELi16ELb0ELb0ELb0ELi1024EEEvPT0_PfPT_S4_PiS7_iiPKiiiiiiiii
; %bb.0:
	s_clause 0x1
	s_load_b64 s[2:3], s[0:1], 0x38
	s_load_b256 s[4:11], s[0:1], 0x40
	s_waitcnt lgkmcnt(0)
	s_cmp_lg_u64 s[2:3], 0
	s_cbranch_scc0 .LBB96_19
; %bb.1:
	s_load_b32 s2, s[2:3], 0x0
	s_waitcnt lgkmcnt(0)
	s_mul_i32 s4, s2, s4
	s_cbranch_execnz .LBB96_3
.LBB96_2:
	s_mul_i32 s4, s6, s5
.LBB96_3:
	s_load_b64 s[2:3], s[0:1], 0x30
	s_abs_i32 s13, s4
	s_waitcnt lgkmcnt(0)
	s_abs_i32 s5, s2
	s_delay_alu instid0(SALU_CYCLE_1) | instskip(SKIP_1) | instid1(VALU_DEP_1)
	v_cvt_f32_u32_e32 v1, s5
	s_sub_i32 s12, 0, s5
	v_rcp_iflag_f32_e32 v1, v1
	s_waitcnt_depctr 0xfff
	v_mul_f32_e32 v1, 0x4f7ffffe, v1
	s_delay_alu instid0(VALU_DEP_1) | instskip(NEXT) | instid1(VALU_DEP_1)
	v_cvt_u32_f32_e32 v1, v1
	v_readfirstlane_b32 s11, v1
	s_delay_alu instid0(VALU_DEP_1) | instskip(NEXT) | instid1(SALU_CYCLE_1)
	s_mul_i32 s12, s12, s11
	s_mul_hi_u32 s12, s11, s12
	s_delay_alu instid0(SALU_CYCLE_1) | instskip(SKIP_4) | instid1(SALU_CYCLE_1)
	s_add_i32 s11, s11, s12
	s_xor_b32 s12, s4, s2
	s_mul_hi_u32 s11, s13, s11
	s_ashr_i32 s12, s12, 31
	s_mul_i32 s14, s11, s5
	s_sub_i32 s13, s13, s14
	s_add_i32 s14, s11, 1
	s_sub_i32 s16, s13, s5
	s_cmp_ge_u32 s13, s5
	s_cselect_b32 s11, s14, s11
	s_cselect_b32 s13, s16, s13
	s_add_i32 s14, s11, 1
	s_cmp_ge_u32 s13, s5
	s_cselect_b32 s5, s14, s11
	s_delay_alu instid0(SALU_CYCLE_1) | instskip(NEXT) | instid1(SALU_CYCLE_1)
	s_xor_b32 s5, s5, s12
	s_sub_i32 s5, s5, s12
	s_mov_b32 s12, 0
	s_mul_i32 s2, s5, s2
	s_delay_alu instid0(SALU_CYCLE_1) | instskip(NEXT) | instid1(SALU_CYCLE_1)
	s_sub_i32 s4, s4, s2
	s_cmp_lt_u32 s15, s4
	s_cselect_b32 s2, -1, 0
	s_add_i32 s11, s5, 1
	s_cmp_ge_u32 s15, s4
	s_cbranch_scc0 .LBB96_5
; %bb.4:
	s_sub_i32 s13, s15, s4
	s_mul_i32 s4, s4, s11
	s_mul_i32 s13, s13, s5
	s_delay_alu instid0(SALU_CYCLE_1)
	s_add_i32 s4, s13, s4
	s_and_not1_b32 vcc_lo, exec_lo, s12
	s_cbranch_vccz .LBB96_6
	s_branch .LBB96_7
.LBB96_5:
                                        ; implicit-def: $sgpr4
.LBB96_6:
	s_mul_i32 s4, s11, s15
.LBB96_7:
	v_cndmask_b32_e64 v1, 0, 1, s2
	s_delay_alu instid0(VALU_DEP_1) | instskip(NEXT) | instid1(VALU_DEP_1)
	v_readfirstlane_b32 s2, v1
	s_add_i32 s5, s5, s2
	s_delay_alu instid0(SALU_CYCLE_1)
	s_cmp_lt_i32 s5, 1
	s_cbranch_scc1 .LBB96_18
; %bb.8:
	s_abs_i32 s33, s6
	s_load_b256 s[12:19], s[0:1], 0x0
	v_cvt_f32_u32_e32 v3, s33
	s_add_i32 s1, s3, 15
	s_mov_b32 s11, s3
	s_ashr_i32 s2, s1, 31
	s_lshl_b32 s22, s3, 1
	v_rcp_iflag_f32_e32 v5, v3
	v_lshlrev_b32_e32 v2, 6, v0
	s_lshl_b32 s26, s3, 2
	s_lshr_b32 s2, s2, 28
	s_add_i32 s3, s3, 3
	s_add_i32 s1, s1, s2
	s_ashr_i32 s2, s3, 31
	v_and_b32_e32 v3, 31, v0
	v_lshrrev_b32_e32 v4, 3, v0
	s_waitcnt_depctr 0xfff
	v_dual_mul_f32 v5, 0x4f7ffffe, v5 :: v_dual_and_b32 v6, 15, v0
	s_lshr_b32 s2, s2, 30
	s_ashr_i32 s1, s1, 4
	s_add_i32 s3, s3, s2
	s_sub_i32 s2, 0, s33
	v_cvt_u32_f32_e32 v5, v5
	v_lshlrev_b32_e32 v1, 5, v0
	v_cmp_eq_u32_e32 vcc_lo, 31, v3
	v_and_b32_e32 v3, 0x7c, v4
	v_cmp_eq_u32_e64 s0, 0, v0
	v_readfirstlane_b32 s20, v5
	v_cmp_gt_u32_e64 s1, s1, v0
	v_dual_mov_b32 v5, 0 :: v_dual_lshlrev_b32 v0, 4, v0
	v_dual_mov_b32 v7, 0x43e00000 :: v_dual_lshlrev_b32 v4, 2, v6
	s_delay_alu instid0(VALU_DEP_4)
	s_mul_i32 s2, s2, s20
	v_mov_b32_e32 v6, 0xc3e00000
	s_mov_b32 s23, -1
	s_waitcnt lgkmcnt(0)
	s_and_b32 s19, s19, 0xffff
	s_mul_hi_u32 s2, s20, s2
	s_mov_b32 s27, s23
	s_and_b32 s30, s3, -4
	s_ashr_i32 s34, s6, 31
	s_add_i32 s35, s20, s2
	s_mov_b32 s24, s18
	s_mov_b32 s25, s19
	;; [unrolled: 1-line block ×4, first 2 shown]
                                        ; implicit-def: $vgpr8
                                        ; implicit-def: $vgpr13
                                        ; implicit-def: $vgpr9
                                        ; implicit-def: $vgpr15
                                        ; implicit-def: $vgpr10
                                        ; implicit-def: $vgpr16
                                        ; implicit-def: $vgpr11
                                        ; implicit-def: $vgpr18
                                        ; implicit-def: $vgpr12
                                        ; implicit-def: $vgpr20
                                        ; implicit-def: $vgpr14
                                        ; implicit-def: $vgpr21
                                        ; implicit-def: $vgpr17
                                        ; implicit-def: $vgpr22
                                        ; implicit-def: $vgpr19
                                        ; implicit-def: $vgpr23
	s_branch .LBB96_10
.LBB96_9:                               ;   in Loop: Header=BB96_10 Depth=1
	s_or_b32 exec_lo, exec_lo, s3
	s_add_i32 s5, s5, -1
	s_add_i32 s4, s4, 1
	s_cmp_eq_u32 s5, 0
	s_cbranch_scc1 .LBB96_18
.LBB96_10:                              ; =>This Inner Loop Header: Depth=1
	s_abs_i32 s2, s4
	s_ashr_i32 s20, s4, 31
	s_mul_hi_u32 s3, s2, s35
	s_xor_b32 s20, s20, s34
	s_mul_i32 s21, s3, s33
	s_delay_alu instid0(SALU_CYCLE_1)
	s_sub_i32 s2, s2, s21
	s_add_i32 s21, s3, 1
	s_sub_i32 s28, s2, s33
	s_cmp_ge_u32 s2, s33
	s_cselect_b32 s3, s21, s3
	s_cselect_b32 s2, s28, s2
	s_add_i32 s21, s3, 1
	s_cmp_ge_u32 s2, s33
	s_cselect_b32 s2, s21, s3
	s_delay_alu instid0(SALU_CYCLE_1) | instskip(NEXT) | instid1(SALU_CYCLE_1)
	s_xor_b32 s2, s2, s20
	s_sub_i32 s3, s2, s20
	s_delay_alu instid0(SALU_CYCLE_1) | instskip(SKIP_2) | instid1(SALU_CYCLE_1)
	s_mul_i32 s2, s3, s6
	s_mul_i32 s20, s3, s7
	s_sub_i32 s28, s4, s2
	s_mul_i32 s2, s28, s8
	s_delay_alu instid0(SALU_CYCLE_1) | instskip(NEXT) | instid1(SALU_CYCLE_1)
	s_add_i32 s2, s2, s20
	s_cmp_eq_u32 s2, s19
	s_cbranch_scc1 .LBB96_12
; %bb.11:                               ;   in Loop: Header=BB96_10 Depth=1
	s_mul_hi_i32 s21, s2, s11
	s_mul_i32 s20, s2, s11
	s_delay_alu instid0(SALU_CYCLE_1) | instskip(NEXT) | instid1(SALU_CYCLE_1)
	s_lshl_b64 s[20:21], s[20:21], 1
	s_add_u32 s20, s16, s20
	s_addc_u32 s19, s17, s21
	s_delay_alu instid0(SALU_CYCLE_1)
	s_and_b32 s21, s19, 0xffff
	s_clause 0x1
	buffer_load_b128 v[9:12], v1, s[20:23], 0 offen
	buffer_load_b128 v[17:20], v1, s[20:23], 16 offen
	s_mov_b32 s19, s2
	s_waitcnt vmcnt(1)
	v_lshrrev_b32_e32 v13, 16, v9
	v_lshrrev_b32_e32 v15, 16, v10
	;; [unrolled: 1-line block ×4, first 2 shown]
	s_waitcnt vmcnt(0)
	v_lshrrev_b32_e32 v22, 16, v17
	v_lshrrev_b32_e32 v23, 16, v18
	;; [unrolled: 1-line block ×4, first 2 shown]
	v_cvt_f32_f16_e32 v8, v9
	v_cvt_f32_f16_e32 v9, v10
	;; [unrolled: 1-line block ×16, first 2 shown]
.LBB96_12:                              ;   in Loop: Header=BB96_10 Depth=1
	s_clause 0x3
	buffer_load_b128 v[24:27], v2, s[24:27], 0 offen
	buffer_load_b128 v[28:31], v2, s[24:27], 16 offen
	;; [unrolled: 1-line block ×4, first 2 shown]
	s_waitcnt vmcnt(3)
	v_dual_mul_f32 v38, v8, v24 :: v_dual_mul_f32 v39, v13, v25
	v_dual_mul_f32 v36, v9, v26 :: v_dual_mul_f32 v37, v15, v27
	s_waitcnt vmcnt(2)
	v_dual_mul_f32 v34, v10, v28 :: v_dual_mul_f32 v35, v16, v29
	s_delay_alu instid0(VALU_DEP_3) | instskip(SKIP_3) | instid1(VALU_DEP_3)
	v_max3_f32 v24, |v38|, 0x2edbe6ff, |v39|
	v_dual_mul_f32 v32, v11, v30 :: v_dual_mul_f32 v33, v18, v31
	s_waitcnt vmcnt(1)
	v_dual_mul_f32 v31, v12, v40 :: v_dual_mul_f32 v28, v14, v42
	v_max3_f32 v24, v24, |v36|, |v37|
	v_dual_mul_f32 v30, v20, v41 :: v_dual_mul_f32 v29, v21, v43
	s_waitcnt vmcnt(0)
	v_dual_mul_f32 v25, v17, v44 :: v_dual_mul_f32 v26, v22, v45
	s_delay_alu instid0(VALU_DEP_3) | instskip(SKIP_1) | instid1(VALU_DEP_2)
	v_max3_f32 v24, v24, |v34|, |v35|
	v_mul_f32_e32 v27, v23, v47
	v_max3_f32 v24, v24, |v32|, |v33|
	s_delay_alu instid0(VALU_DEP_1) | instskip(NEXT) | instid1(VALU_DEP_1)
	v_max3_f32 v24, v24, |v31|, |v30|
	v_max3_f32 v40, v24, |v28|, |v29|
	v_mul_f32_e32 v24, v19, v46
	s_delay_alu instid0(VALU_DEP_2) | instskip(NEXT) | instid1(VALU_DEP_1)
	v_max3_f32 v40, v40, |v25|, |v26|
	v_max3_f32 v40, v40, |v24|, |v27|
	s_delay_alu instid0(VALU_DEP_1) | instskip(NEXT) | instid1(VALU_DEP_1)
	v_mov_b32_dpp v41, v40 quad_perm:[1,0,3,2] row_mask:0xf bank_mask:0xf
	v_cmp_gt_f32_e64 s2, v40, v41
	s_delay_alu instid0(VALU_DEP_1) | instskip(NEXT) | instid1(VALU_DEP_1)
	v_cndmask_b32_e64 v40, v41, v40, s2
	v_mov_b32_dpp v41, v40 quad_perm:[2,3,0,1] row_mask:0xf bank_mask:0xf
	s_delay_alu instid0(VALU_DEP_1) | instskip(NEXT) | instid1(VALU_DEP_1)
	v_cmp_gt_f32_e64 s2, v40, v41
	v_cndmask_b32_e64 v40, v41, v40, s2
	s_delay_alu instid0(VALU_DEP_1) | instskip(NEXT) | instid1(VALU_DEP_1)
	v_mov_b32_dpp v41, v40 row_xmask:7 row_mask:0xf bank_mask:0xf
	v_cmp_gt_f32_e64 s2, v40, v41
	s_delay_alu instid0(VALU_DEP_1) | instskip(NEXT) | instid1(VALU_DEP_1)
	v_cndmask_b32_e64 v40, v41, v40, s2
	v_mov_b32_dpp v41, v40 row_xmask:15 row_mask:0xf bank_mask:0xf
	s_delay_alu instid0(VALU_DEP_1)
	v_cmp_gt_f32_e64 s2, v40, v41
	s_and_saveexec_b32 s20, vcc_lo
	s_cbranch_execz .LBB96_14
; %bb.13:                               ;   in Loop: Header=BB96_10 Depth=1
	s_delay_alu instid0(VALU_DEP_1) | instskip(NEXT) | instid1(VALU_DEP_1)
	v_cndmask_b32_e64 v40, v41, v40, s2
	v_permlanex16_b32 v41, v40, s18, 0xfedcba98 op_sel:[1,1]
	s_delay_alu instid0(VALU_DEP_1) | instskip(NEXT) | instid1(VALU_DEP_1)
	v_cmp_gt_f32_e64 s2, v40, v41
	v_cndmask_b32_e64 v40, v41, v40, s2
	ds_store_b32 v3, v40
.LBB96_14:                              ;   in Loop: Header=BB96_10 Depth=1
	s_or_b32 exec_lo, exec_lo, s20
	s_waitcnt lgkmcnt(0)
	s_waitcnt_vscnt null, 0x0
	s_barrier
	buffer_gl0_inv
	ds_load_b32 v40, v4
	s_mul_i32 s3, s3, s9
	s_waitcnt lgkmcnt(0)
	v_mov_b32_dpp v41, v40 quad_perm:[1,0,3,2] row_mask:0xf bank_mask:0xf
	s_delay_alu instid0(VALU_DEP_1) | instskip(NEXT) | instid1(VALU_DEP_1)
	v_cmp_gt_f32_e64 s2, v40, v41
	v_cndmask_b32_e64 v40, v41, v40, s2
	s_delay_alu instid0(VALU_DEP_1) | instskip(NEXT) | instid1(VALU_DEP_1)
	v_mov_b32_dpp v41, v40 quad_perm:[2,3,0,1] row_mask:0xf bank_mask:0xf
	v_cmp_gt_f32_e64 s2, v40, v41
	s_delay_alu instid0(VALU_DEP_1) | instskip(NEXT) | instid1(VALU_DEP_1)
	v_cndmask_b32_e64 v40, v41, v40, s2
	v_mov_b32_dpp v41, v40 row_xmask:7 row_mask:0xf bank_mask:0xf
	s_delay_alu instid0(VALU_DEP_1) | instskip(NEXT) | instid1(VALU_DEP_1)
	v_cmp_gt_f32_e64 s2, v40, v41
	v_cndmask_b32_e64 v40, v41, v40, s2
	s_delay_alu instid0(VALU_DEP_1) | instskip(NEXT) | instid1(VALU_DEP_1)
	v_mov_b32_dpp v41, v40 row_xmask:15 row_mask:0xf bank_mask:0xf
	v_cmp_gt_f32_e64 s2, v40, v41
	s_delay_alu instid0(VALU_DEP_1) | instskip(SKIP_1) | instid1(SALU_CYCLE_1)
	v_cndmask_b32_e64 v40, v41, v40, s2
	s_mul_i32 s2, s28, s10
	s_add_i32 s2, s2, s3
	s_delay_alu instid0(VALU_DEP_1)
	v_mul_f32_e32 v40, 0x3b124925, v40
	s_and_saveexec_b32 s20, s0
	s_cbranch_execz .LBB96_16
; %bb.15:                               ;   in Loop: Header=BB96_10 Depth=1
	s_ashr_i32 s3, s2, 31
	s_delay_alu instid0(SALU_CYCLE_1) | instskip(NEXT) | instid1(SALU_CYCLE_1)
	s_lshl_b64 s[28:29], s[2:3], 2
	s_add_u32 s28, s14, s28
	s_addc_u32 s29, s15, s29
	global_store_b32 v5, v40, s[28:29]
.LBB96_16:                              ;   in Loop: Header=BB96_10 Depth=1
	s_or_b32 exec_lo, exec_lo, s20
	s_and_saveexec_b32 s3, s1
	s_cbranch_execz .LBB96_9
; %bb.17:                               ;   in Loop: Header=BB96_10 Depth=1
	v_rcp_f32_e32 v40, v40
	s_mul_i32 s20, s2, s11
	s_mul_hi_i32 s2, s2, s11
	s_add_u32 s28, s12, s20
	s_addc_u32 s2, s13, s2
	s_mov_b32 s31, s23
	s_and_b32 s29, s2, 0xffff
	s_waitcnt_depctr 0xfff
	v_mul_f32_e32 v38, v38, v40
	v_mul_f32_e32 v39, v39, v40
	;; [unrolled: 1-line block ×5, first 2 shown]
	;;#ASMSTART
	v_med3_f32 v38, v38, v6, v7
v_med3_f32 v39, v39, v6, v7
v_cvt_pk_fp8_f32 v31, v38, v39
	;;#ASMEND
	;;#ASMSTART
	v_med3_f32 v36, v36, v6, v7
v_med3_f32 v37, v37, v6, v7
v_cvt_pk_fp8_f32 v38, v36, v37
	;;#ASMEND
	v_perm_b32 v36, v38, v31, 0x5040100
	v_mul_f32_e32 v34, v34, v40
	v_mul_f32_e32 v35, v35, v40
	;; [unrolled: 1-line block ×5, first 2 shown]
	;;#ASMSTART
	v_med3_f32 v34, v34, v6, v7
v_med3_f32 v35, v35, v6, v7
v_cvt_pk_fp8_f32 v30, v34, v35
	;;#ASMEND
	;;#ASMSTART
	v_med3_f32 v32, v32, v6, v7
v_med3_f32 v33, v33, v6, v7
v_cvt_pk_fp8_f32 v31, v32, v33
	;;#ASMEND
	v_mul_f32_e32 v28, v28, v40
	v_mul_f32_e32 v29, v29, v40
	;; [unrolled: 1-line block ×4, first 2 shown]
	;;#ASMSTART
	v_med3_f32 v41, v41, v6, v7
v_med3_f32 v37, v37, v6, v7
v_cvt_pk_fp8_f32 v32, v41, v37
	;;#ASMEND
	;;#ASMSTART
	v_med3_f32 v28, v28, v6, v7
v_med3_f32 v29, v29, v6, v7
v_cvt_pk_fp8_f32 v33, v28, v29
	;;#ASMEND
	v_mul_f32_e32 v24, v24, v40
	v_mul_f32_e32 v27, v27, v40
	;;#ASMSTART
	v_med3_f32 v25, v25, v6, v7
v_med3_f32 v26, v26, v6, v7
v_cvt_pk_fp8_f32 v28, v25, v26
	;;#ASMEND
	v_perm_b32 v31, v30, v31, 0x1000504
	v_perm_b32 v30, v36, v38, 0x1060504
	;; [unrolled: 1-line block ×3, first 2 shown]
	;;#ASMSTART
	v_med3_f32 v24, v24, v6, v7
v_med3_f32 v27, v27, v6, v7
v_cvt_pk_fp8_f32 v25, v24, v27
	;;#ASMEND
	v_perm_b32 v33, v28, v25, 0x1000504
	buffer_store_b128 v[30:33], v0, s[28:31], 0 offen
	;;#ASMSTART
	s_nop 0
	;;#ASMEND
	s_branch .LBB96_9
.LBB96_18:
	s_nop 0
	s_sendmsg sendmsg(MSG_DEALLOC_VGPRS)
	s_endpgm
.LBB96_19:
                                        ; implicit-def: $sgpr4
	s_branch .LBB96_2
	.section	.rodata,"a",@progbits
	.p2align	6, 0x0
	.amdhsa_kernel _ZN5aiter36smooth_per_token_scaled_quant_kernelIDF16_DB8_Li512ELi16ELb0ELb0ELb0ELi1024EEEvPT0_PfPT_S4_PiS7_iiPKiiiiiiiii
		.amdhsa_group_segment_fixed_size 64
		.amdhsa_private_segment_fixed_size 0
		.amdhsa_kernarg_size 96
		.amdhsa_user_sgpr_count 15
		.amdhsa_user_sgpr_dispatch_ptr 0
		.amdhsa_user_sgpr_queue_ptr 0
		.amdhsa_user_sgpr_kernarg_segment_ptr 1
		.amdhsa_user_sgpr_dispatch_id 0
		.amdhsa_user_sgpr_private_segment_size 0
		.amdhsa_wavefront_size32 1
		.amdhsa_uses_dynamic_stack 0
		.amdhsa_enable_private_segment 0
		.amdhsa_system_sgpr_workgroup_id_x 1
		.amdhsa_system_sgpr_workgroup_id_y 0
		.amdhsa_system_sgpr_workgroup_id_z 0
		.amdhsa_system_sgpr_workgroup_info 0
		.amdhsa_system_vgpr_workitem_id 0
		.amdhsa_next_free_vgpr 48
		.amdhsa_next_free_sgpr 36
		.amdhsa_reserve_vcc 1
		.amdhsa_float_round_mode_32 0
		.amdhsa_float_round_mode_16_64 0
		.amdhsa_float_denorm_mode_32 3
		.amdhsa_float_denorm_mode_16_64 3
		.amdhsa_dx10_clamp 1
		.amdhsa_ieee_mode 1
		.amdhsa_fp16_overflow 0
		.amdhsa_workgroup_processor_mode 1
		.amdhsa_memory_ordered 1
		.amdhsa_forward_progress 0
		.amdhsa_shared_vgpr_count 0
		.amdhsa_exception_fp_ieee_invalid_op 0
		.amdhsa_exception_fp_denorm_src 0
		.amdhsa_exception_fp_ieee_div_zero 0
		.amdhsa_exception_fp_ieee_overflow 0
		.amdhsa_exception_fp_ieee_underflow 0
		.amdhsa_exception_fp_ieee_inexact 0
		.amdhsa_exception_int_div_zero 0
	.end_amdhsa_kernel
	.section	.text._ZN5aiter36smooth_per_token_scaled_quant_kernelIDF16_DB8_Li512ELi16ELb0ELb0ELb0ELi1024EEEvPT0_PfPT_S4_PiS7_iiPKiiiiiiiii,"axG",@progbits,_ZN5aiter36smooth_per_token_scaled_quant_kernelIDF16_DB8_Li512ELi16ELb0ELb0ELb0ELi1024EEEvPT0_PfPT_S4_PiS7_iiPKiiiiiiiii,comdat
.Lfunc_end96:
	.size	_ZN5aiter36smooth_per_token_scaled_quant_kernelIDF16_DB8_Li512ELi16ELb0ELb0ELb0ELi1024EEEvPT0_PfPT_S4_PiS7_iiPKiiiiiiiii, .Lfunc_end96-_ZN5aiter36smooth_per_token_scaled_quant_kernelIDF16_DB8_Li512ELi16ELb0ELb0ELb0ELi1024EEEvPT0_PfPT_S4_PiS7_iiPKiiiiiiiii
                                        ; -- End function
	.section	.AMDGPU.csdata,"",@progbits
; Kernel info:
; codeLenInByte = 2120
; NumSgprs: 38
; NumVgprs: 48
; ScratchSize: 0
; MemoryBound: 0
; FloatMode: 240
; IeeeMode: 1
; LDSByteSize: 64 bytes/workgroup (compile time only)
; SGPRBlocks: 4
; VGPRBlocks: 5
; NumSGPRsForWavesPerEU: 38
; NumVGPRsForWavesPerEU: 48
; Occupancy: 16
; WaveLimiterHint : 0
; COMPUTE_PGM_RSRC2:SCRATCH_EN: 0
; COMPUTE_PGM_RSRC2:USER_SGPR: 15
; COMPUTE_PGM_RSRC2:TRAP_HANDLER: 0
; COMPUTE_PGM_RSRC2:TGID_X_EN: 1
; COMPUTE_PGM_RSRC2:TGID_Y_EN: 0
; COMPUTE_PGM_RSRC2:TGID_Z_EN: 0
; COMPUTE_PGM_RSRC2:TIDIG_COMP_CNT: 0
	.section	.text._ZN5aiter36smooth_per_token_scaled_quant_kernelItDB8_Li512ELi16ELb0ELb0ELb0ELi1024EEEvPT0_PfPT_S4_PiS7_iiPKiiiiiiiii,"axG",@progbits,_ZN5aiter36smooth_per_token_scaled_quant_kernelItDB8_Li512ELi16ELb0ELb0ELb0ELi1024EEEvPT0_PfPT_S4_PiS7_iiPKiiiiiiiii,comdat
	.protected	_ZN5aiter36smooth_per_token_scaled_quant_kernelItDB8_Li512ELi16ELb0ELb0ELb0ELi1024EEEvPT0_PfPT_S4_PiS7_iiPKiiiiiiiii ; -- Begin function _ZN5aiter36smooth_per_token_scaled_quant_kernelItDB8_Li512ELi16ELb0ELb0ELb0ELi1024EEEvPT0_PfPT_S4_PiS7_iiPKiiiiiiiii
	.globl	_ZN5aiter36smooth_per_token_scaled_quant_kernelItDB8_Li512ELi16ELb0ELb0ELb0ELi1024EEEvPT0_PfPT_S4_PiS7_iiPKiiiiiiiii
	.p2align	8
	.type	_ZN5aiter36smooth_per_token_scaled_quant_kernelItDB8_Li512ELi16ELb0ELb0ELb0ELi1024EEEvPT0_PfPT_S4_PiS7_iiPKiiiiiiiii,@function
_ZN5aiter36smooth_per_token_scaled_quant_kernelItDB8_Li512ELi16ELb0ELb0ELb0ELi1024EEEvPT0_PfPT_S4_PiS7_iiPKiiiiiiiii: ; @_ZN5aiter36smooth_per_token_scaled_quant_kernelItDB8_Li512ELi16ELb0ELb0ELb0ELi1024EEEvPT0_PfPT_S4_PiS7_iiPKiiiiiiiii
; %bb.0:
	s_clause 0x1
	s_load_b64 s[2:3], s[0:1], 0x38
	s_load_b256 s[4:11], s[0:1], 0x40
	s_waitcnt lgkmcnt(0)
	s_cmp_lg_u64 s[2:3], 0
	s_cbranch_scc0 .LBB97_19
; %bb.1:
	s_load_b32 s2, s[2:3], 0x0
	s_waitcnt lgkmcnt(0)
	s_mul_i32 s4, s2, s4
	s_cbranch_execnz .LBB97_3
.LBB97_2:
	s_mul_i32 s4, s6, s5
.LBB97_3:
	s_load_b64 s[2:3], s[0:1], 0x30
	s_abs_i32 s13, s4
	s_waitcnt lgkmcnt(0)
	s_abs_i32 s5, s2
	s_delay_alu instid0(SALU_CYCLE_1) | instskip(SKIP_1) | instid1(VALU_DEP_1)
	v_cvt_f32_u32_e32 v1, s5
	s_sub_i32 s12, 0, s5
	v_rcp_iflag_f32_e32 v1, v1
	s_waitcnt_depctr 0xfff
	v_mul_f32_e32 v1, 0x4f7ffffe, v1
	s_delay_alu instid0(VALU_DEP_1) | instskip(NEXT) | instid1(VALU_DEP_1)
	v_cvt_u32_f32_e32 v1, v1
	v_readfirstlane_b32 s11, v1
	s_delay_alu instid0(VALU_DEP_1) | instskip(NEXT) | instid1(SALU_CYCLE_1)
	s_mul_i32 s12, s12, s11
	s_mul_hi_u32 s12, s11, s12
	s_delay_alu instid0(SALU_CYCLE_1) | instskip(SKIP_4) | instid1(SALU_CYCLE_1)
	s_add_i32 s11, s11, s12
	s_xor_b32 s12, s4, s2
	s_mul_hi_u32 s11, s13, s11
	s_ashr_i32 s12, s12, 31
	s_mul_i32 s14, s11, s5
	s_sub_i32 s13, s13, s14
	s_add_i32 s14, s11, 1
	s_sub_i32 s16, s13, s5
	s_cmp_ge_u32 s13, s5
	s_cselect_b32 s11, s14, s11
	s_cselect_b32 s13, s16, s13
	s_add_i32 s14, s11, 1
	s_cmp_ge_u32 s13, s5
	s_cselect_b32 s5, s14, s11
	s_delay_alu instid0(SALU_CYCLE_1) | instskip(NEXT) | instid1(SALU_CYCLE_1)
	s_xor_b32 s5, s5, s12
	s_sub_i32 s5, s5, s12
	s_mov_b32 s12, 0
	s_mul_i32 s2, s5, s2
	s_delay_alu instid0(SALU_CYCLE_1) | instskip(NEXT) | instid1(SALU_CYCLE_1)
	s_sub_i32 s4, s4, s2
	s_cmp_lt_u32 s15, s4
	s_cselect_b32 s2, -1, 0
	s_add_i32 s11, s5, 1
	s_cmp_ge_u32 s15, s4
	s_cbranch_scc0 .LBB97_5
; %bb.4:
	s_sub_i32 s13, s15, s4
	s_mul_i32 s4, s4, s11
	s_mul_i32 s13, s13, s5
	s_delay_alu instid0(SALU_CYCLE_1)
	s_add_i32 s4, s13, s4
	s_and_not1_b32 vcc_lo, exec_lo, s12
	s_cbranch_vccz .LBB97_6
	s_branch .LBB97_7
.LBB97_5:
                                        ; implicit-def: $sgpr4
.LBB97_6:
	s_mul_i32 s4, s11, s15
.LBB97_7:
	v_cndmask_b32_e64 v1, 0, 1, s2
	s_delay_alu instid0(VALU_DEP_1) | instskip(NEXT) | instid1(VALU_DEP_1)
	v_readfirstlane_b32 s2, v1
	s_add_i32 s5, s5, s2
	s_delay_alu instid0(SALU_CYCLE_1)
	s_cmp_lt_i32 s5, 1
	s_cbranch_scc1 .LBB97_18
; %bb.8:
	s_abs_i32 s33, s6
	s_load_b256 s[12:19], s[0:1], 0x0
	v_cvt_f32_u32_e32 v3, s33
	s_add_i32 s1, s3, 15
	s_mov_b32 s11, s3
	s_ashr_i32 s2, s1, 31
	s_lshl_b32 s22, s3, 1
	v_rcp_iflag_f32_e32 v5, v3
	v_lshlrev_b32_e32 v2, 6, v0
	s_lshl_b32 s26, s3, 2
	s_lshr_b32 s2, s2, 28
	s_add_i32 s3, s3, 3
	s_add_i32 s1, s1, s2
	s_ashr_i32 s2, s3, 31
	v_and_b32_e32 v3, 31, v0
	v_lshrrev_b32_e32 v4, 3, v0
	s_waitcnt_depctr 0xfff
	v_dual_mul_f32 v5, 0x4f7ffffe, v5 :: v_dual_and_b32 v6, 15, v0
	s_lshr_b32 s2, s2, 30
	s_ashr_i32 s1, s1, 4
	s_add_i32 s3, s3, s2
	s_sub_i32 s2, 0, s33
	v_cvt_u32_f32_e32 v5, v5
	v_lshlrev_b32_e32 v1, 5, v0
	v_cmp_eq_u32_e32 vcc_lo, 31, v3
	v_and_b32_e32 v3, 0x7c, v4
	v_cmp_eq_u32_e64 s0, 0, v0
	v_readfirstlane_b32 s20, v5
	v_cmp_gt_u32_e64 s1, s1, v0
	v_dual_mov_b32 v5, 0 :: v_dual_lshlrev_b32 v0, 4, v0
	v_dual_mov_b32 v7, 0x43e00000 :: v_dual_lshlrev_b32 v4, 2, v6
	s_delay_alu instid0(VALU_DEP_4)
	s_mul_i32 s2, s2, s20
	v_mov_b32_e32 v6, 0xc3e00000
	s_mov_b32 s23, -1
	s_waitcnt lgkmcnt(0)
	s_and_b32 s19, s19, 0xffff
	s_mul_hi_u32 s2, s20, s2
	s_mov_b32 s27, s23
	s_and_b32 s30, s3, -4
	s_ashr_i32 s34, s6, 31
	s_add_i32 s35, s20, s2
	s_mov_b32 s24, s18
	s_mov_b32 s25, s19
	;; [unrolled: 1-line block ×4, first 2 shown]
                                        ; implicit-def: $vgpr8
                                        ; implicit-def: $vgpr9
                                        ; implicit-def: $vgpr10
                                        ; implicit-def: $vgpr11
                                        ; implicit-def: $vgpr12
                                        ; implicit-def: $vgpr13
                                        ; implicit-def: $vgpr14
                                        ; implicit-def: $vgpr15
                                        ; implicit-def: $vgpr16
                                        ; implicit-def: $vgpr17
                                        ; implicit-def: $vgpr18
                                        ; implicit-def: $vgpr19
                                        ; implicit-def: $vgpr20
                                        ; implicit-def: $vgpr21
                                        ; implicit-def: $vgpr22
                                        ; implicit-def: $vgpr23
	s_branch .LBB97_10
.LBB97_9:                               ;   in Loop: Header=BB97_10 Depth=1
	s_or_b32 exec_lo, exec_lo, s3
	s_add_i32 s5, s5, -1
	s_add_i32 s4, s4, 1
	s_cmp_eq_u32 s5, 0
	s_cbranch_scc1 .LBB97_18
.LBB97_10:                              ; =>This Inner Loop Header: Depth=1
	s_abs_i32 s2, s4
	s_ashr_i32 s20, s4, 31
	s_mul_hi_u32 s3, s2, s35
	s_xor_b32 s20, s20, s34
	s_mul_i32 s21, s3, s33
	s_delay_alu instid0(SALU_CYCLE_1)
	s_sub_i32 s2, s2, s21
	s_add_i32 s21, s3, 1
	s_sub_i32 s28, s2, s33
	s_cmp_ge_u32 s2, s33
	s_cselect_b32 s3, s21, s3
	s_cselect_b32 s2, s28, s2
	s_add_i32 s21, s3, 1
	s_cmp_ge_u32 s2, s33
	s_cselect_b32 s2, s21, s3
	s_delay_alu instid0(SALU_CYCLE_1) | instskip(NEXT) | instid1(SALU_CYCLE_1)
	s_xor_b32 s2, s2, s20
	s_sub_i32 s3, s2, s20
	s_delay_alu instid0(SALU_CYCLE_1) | instskip(SKIP_2) | instid1(SALU_CYCLE_1)
	s_mul_i32 s2, s3, s6
	s_mul_i32 s20, s3, s7
	s_sub_i32 s28, s4, s2
	s_mul_i32 s2, s28, s8
	s_delay_alu instid0(SALU_CYCLE_1) | instskip(NEXT) | instid1(SALU_CYCLE_1)
	s_add_i32 s2, s2, s20
	s_cmp_eq_u32 s2, s19
	s_cbranch_scc1 .LBB97_12
; %bb.11:                               ;   in Loop: Header=BB97_10 Depth=1
	s_mul_hi_i32 s21, s2, s11
	s_mul_i32 s20, s2, s11
	s_delay_alu instid0(SALU_CYCLE_1) | instskip(NEXT) | instid1(SALU_CYCLE_1)
	s_lshl_b64 s[20:21], s[20:21], 1
	s_add_u32 s20, s16, s20
	s_addc_u32 s19, s17, s21
	s_delay_alu instid0(SALU_CYCLE_1)
	s_and_b32 s21, s19, 0xffff
	s_clause 0x1
	buffer_load_b128 v[8:11], v1, s[20:23], 0 offen
	buffer_load_b128 v[12:15], v1, s[20:23], 16 offen
	s_mov_b32 s19, s2
	s_waitcnt vmcnt(1)
	v_and_b32_e32 v16, 0xffff, v8
	v_lshrrev_b32_e32 v17, 16, v8
	v_and_b32_e32 v18, 0xffff, v9
	v_lshrrev_b32_e32 v19, 16, v9
	;; [unrolled: 2-line block ×4, first 2 shown]
	s_waitcnt vmcnt(0)
	v_and_b32_e32 v24, 0xffff, v12
	v_lshrrev_b32_e32 v25, 16, v12
	v_and_b32_e32 v26, 0xffff, v13
	v_lshrrev_b32_e32 v27, 16, v13
	;; [unrolled: 2-line block ×4, first 2 shown]
	v_cvt_f32_u32_e32 v8, v16
	v_cvt_f32_u32_e32 v9, v17
	;; [unrolled: 1-line block ×16, first 2 shown]
.LBB97_12:                              ;   in Loop: Header=BB97_10 Depth=1
	s_clause 0x3
	buffer_load_b128 v[24:27], v2, s[24:27], 0 offen
	buffer_load_b128 v[28:31], v2, s[24:27], 16 offen
	;; [unrolled: 1-line block ×4, first 2 shown]
	s_waitcnt vmcnt(3)
	v_dual_mul_f32 v38, v8, v24 :: v_dual_mul_f32 v39, v9, v25
	v_dual_mul_f32 v36, v10, v26 :: v_dual_mul_f32 v37, v11, v27
	s_waitcnt vmcnt(2)
	v_dual_mul_f32 v34, v12, v28 :: v_dual_mul_f32 v35, v13, v29
	s_delay_alu instid0(VALU_DEP_3) | instskip(SKIP_3) | instid1(VALU_DEP_3)
	v_max3_f32 v24, |v38|, 0x2edbe6ff, |v39|
	v_dual_mul_f32 v32, v14, v30 :: v_dual_mul_f32 v33, v15, v31
	s_waitcnt vmcnt(1)
	v_dual_mul_f32 v31, v16, v40 :: v_dual_mul_f32 v30, v17, v41
	v_max3_f32 v24, v24, |v36|, |v37|
	v_dual_mul_f32 v28, v18, v42 :: v_dual_mul_f32 v29, v19, v43
	s_waitcnt vmcnt(0)
	v_dual_mul_f32 v25, v20, v44 :: v_dual_mul_f32 v26, v21, v45
	s_delay_alu instid0(VALU_DEP_3) | instskip(SKIP_1) | instid1(VALU_DEP_2)
	v_max3_f32 v24, v24, |v34|, |v35|
	v_mul_f32_e32 v27, v23, v47
	v_max3_f32 v24, v24, |v32|, |v33|
	s_delay_alu instid0(VALU_DEP_1) | instskip(NEXT) | instid1(VALU_DEP_1)
	v_max3_f32 v24, v24, |v31|, |v30|
	v_max3_f32 v40, v24, |v28|, |v29|
	v_mul_f32_e32 v24, v22, v46
	s_delay_alu instid0(VALU_DEP_2) | instskip(NEXT) | instid1(VALU_DEP_1)
	v_max3_f32 v40, v40, |v25|, |v26|
	v_max3_f32 v40, v40, |v24|, |v27|
	s_delay_alu instid0(VALU_DEP_1) | instskip(NEXT) | instid1(VALU_DEP_1)
	v_mov_b32_dpp v41, v40 quad_perm:[1,0,3,2] row_mask:0xf bank_mask:0xf
	v_cmp_gt_f32_e64 s2, v40, v41
	s_delay_alu instid0(VALU_DEP_1) | instskip(NEXT) | instid1(VALU_DEP_1)
	v_cndmask_b32_e64 v40, v41, v40, s2
	v_mov_b32_dpp v41, v40 quad_perm:[2,3,0,1] row_mask:0xf bank_mask:0xf
	s_delay_alu instid0(VALU_DEP_1) | instskip(NEXT) | instid1(VALU_DEP_1)
	v_cmp_gt_f32_e64 s2, v40, v41
	v_cndmask_b32_e64 v40, v41, v40, s2
	s_delay_alu instid0(VALU_DEP_1) | instskip(NEXT) | instid1(VALU_DEP_1)
	v_mov_b32_dpp v41, v40 row_xmask:7 row_mask:0xf bank_mask:0xf
	v_cmp_gt_f32_e64 s2, v40, v41
	s_delay_alu instid0(VALU_DEP_1) | instskip(NEXT) | instid1(VALU_DEP_1)
	v_cndmask_b32_e64 v40, v41, v40, s2
	v_mov_b32_dpp v41, v40 row_xmask:15 row_mask:0xf bank_mask:0xf
	s_delay_alu instid0(VALU_DEP_1)
	v_cmp_gt_f32_e64 s2, v40, v41
	s_and_saveexec_b32 s20, vcc_lo
	s_cbranch_execz .LBB97_14
; %bb.13:                               ;   in Loop: Header=BB97_10 Depth=1
	s_delay_alu instid0(VALU_DEP_1) | instskip(NEXT) | instid1(VALU_DEP_1)
	v_cndmask_b32_e64 v40, v41, v40, s2
	v_permlanex16_b32 v41, v40, s18, 0xfedcba98 op_sel:[1,1]
	s_delay_alu instid0(VALU_DEP_1) | instskip(NEXT) | instid1(VALU_DEP_1)
	v_cmp_gt_f32_e64 s2, v40, v41
	v_cndmask_b32_e64 v40, v41, v40, s2
	ds_store_b32 v3, v40
.LBB97_14:                              ;   in Loop: Header=BB97_10 Depth=1
	s_or_b32 exec_lo, exec_lo, s20
	s_waitcnt lgkmcnt(0)
	s_waitcnt_vscnt null, 0x0
	s_barrier
	buffer_gl0_inv
	ds_load_b32 v40, v4
	s_mul_i32 s3, s3, s9
	s_waitcnt lgkmcnt(0)
	v_mov_b32_dpp v41, v40 quad_perm:[1,0,3,2] row_mask:0xf bank_mask:0xf
	s_delay_alu instid0(VALU_DEP_1) | instskip(NEXT) | instid1(VALU_DEP_1)
	v_cmp_gt_f32_e64 s2, v40, v41
	v_cndmask_b32_e64 v40, v41, v40, s2
	s_delay_alu instid0(VALU_DEP_1) | instskip(NEXT) | instid1(VALU_DEP_1)
	v_mov_b32_dpp v41, v40 quad_perm:[2,3,0,1] row_mask:0xf bank_mask:0xf
	v_cmp_gt_f32_e64 s2, v40, v41
	s_delay_alu instid0(VALU_DEP_1) | instskip(NEXT) | instid1(VALU_DEP_1)
	v_cndmask_b32_e64 v40, v41, v40, s2
	v_mov_b32_dpp v41, v40 row_xmask:7 row_mask:0xf bank_mask:0xf
	s_delay_alu instid0(VALU_DEP_1) | instskip(NEXT) | instid1(VALU_DEP_1)
	v_cmp_gt_f32_e64 s2, v40, v41
	v_cndmask_b32_e64 v40, v41, v40, s2
	s_delay_alu instid0(VALU_DEP_1) | instskip(NEXT) | instid1(VALU_DEP_1)
	v_mov_b32_dpp v41, v40 row_xmask:15 row_mask:0xf bank_mask:0xf
	v_cmp_gt_f32_e64 s2, v40, v41
	s_delay_alu instid0(VALU_DEP_1) | instskip(SKIP_1) | instid1(SALU_CYCLE_1)
	v_cndmask_b32_e64 v40, v41, v40, s2
	s_mul_i32 s2, s28, s10
	s_add_i32 s2, s2, s3
	s_delay_alu instid0(VALU_DEP_1)
	v_mul_f32_e32 v40, 0x3b124925, v40
	s_and_saveexec_b32 s20, s0
	s_cbranch_execz .LBB97_16
; %bb.15:                               ;   in Loop: Header=BB97_10 Depth=1
	s_ashr_i32 s3, s2, 31
	s_delay_alu instid0(SALU_CYCLE_1) | instskip(NEXT) | instid1(SALU_CYCLE_1)
	s_lshl_b64 s[28:29], s[2:3], 2
	s_add_u32 s28, s14, s28
	s_addc_u32 s29, s15, s29
	global_store_b32 v5, v40, s[28:29]
.LBB97_16:                              ;   in Loop: Header=BB97_10 Depth=1
	s_or_b32 exec_lo, exec_lo, s20
	s_and_saveexec_b32 s3, s1
	s_cbranch_execz .LBB97_9
; %bb.17:                               ;   in Loop: Header=BB97_10 Depth=1
	v_rcp_f32_e32 v40, v40
	s_mul_i32 s20, s2, s11
	s_mul_hi_i32 s2, s2, s11
	s_add_u32 s28, s12, s20
	s_addc_u32 s2, s13, s2
	s_mov_b32 s31, s23
	s_and_b32 s29, s2, 0xffff
	s_waitcnt_depctr 0xfff
	v_mul_f32_e32 v38, v38, v40
	v_mul_f32_e32 v39, v39, v40
	v_mul_f32_e32 v36, v36, v40
	v_mul_f32_e32 v37, v37, v40
	v_mul_f32_e32 v41, v31, v40
	;;#ASMSTART
	v_med3_f32 v38, v38, v6, v7
v_med3_f32 v39, v39, v6, v7
v_cvt_pk_fp8_f32 v31, v38, v39
	;;#ASMEND
	;;#ASMSTART
	v_med3_f32 v36, v36, v6, v7
v_med3_f32 v37, v37, v6, v7
v_cvt_pk_fp8_f32 v38, v36, v37
	;;#ASMEND
	v_perm_b32 v36, v38, v31, 0x5040100
	v_mul_f32_e32 v34, v34, v40
	v_mul_f32_e32 v35, v35, v40
	;; [unrolled: 1-line block ×5, first 2 shown]
	;;#ASMSTART
	v_med3_f32 v34, v34, v6, v7
v_med3_f32 v35, v35, v6, v7
v_cvt_pk_fp8_f32 v30, v34, v35
	;;#ASMEND
	;;#ASMSTART
	v_med3_f32 v32, v32, v6, v7
v_med3_f32 v33, v33, v6, v7
v_cvt_pk_fp8_f32 v31, v32, v33
	;;#ASMEND
	v_mul_f32_e32 v28, v28, v40
	v_mul_f32_e32 v29, v29, v40
	;; [unrolled: 1-line block ×4, first 2 shown]
	;;#ASMSTART
	v_med3_f32 v41, v41, v6, v7
v_med3_f32 v37, v37, v6, v7
v_cvt_pk_fp8_f32 v32, v41, v37
	;;#ASMEND
	;;#ASMSTART
	v_med3_f32 v28, v28, v6, v7
v_med3_f32 v29, v29, v6, v7
v_cvt_pk_fp8_f32 v33, v28, v29
	;;#ASMEND
	v_mul_f32_e32 v24, v24, v40
	v_mul_f32_e32 v27, v27, v40
	;;#ASMSTART
	v_med3_f32 v25, v25, v6, v7
v_med3_f32 v26, v26, v6, v7
v_cvt_pk_fp8_f32 v28, v25, v26
	;;#ASMEND
	v_perm_b32 v31, v30, v31, 0x1000504
	v_perm_b32 v30, v36, v38, 0x1060504
	;; [unrolled: 1-line block ×3, first 2 shown]
	;;#ASMSTART
	v_med3_f32 v24, v24, v6, v7
v_med3_f32 v27, v27, v6, v7
v_cvt_pk_fp8_f32 v25, v24, v27
	;;#ASMEND
	v_perm_b32 v33, v28, v25, 0x1000504
	buffer_store_b128 v[30:33], v0, s[28:31], 0 offen
	;;#ASMSTART
	s_nop 0
	;;#ASMEND
	s_branch .LBB97_9
.LBB97_18:
	s_nop 0
	s_sendmsg sendmsg(MSG_DEALLOC_VGPRS)
	s_endpgm
.LBB97_19:
                                        ; implicit-def: $sgpr4
	s_branch .LBB97_2
	.section	.rodata,"a",@progbits
	.p2align	6, 0x0
	.amdhsa_kernel _ZN5aiter36smooth_per_token_scaled_quant_kernelItDB8_Li512ELi16ELb0ELb0ELb0ELi1024EEEvPT0_PfPT_S4_PiS7_iiPKiiiiiiiii
		.amdhsa_group_segment_fixed_size 64
		.amdhsa_private_segment_fixed_size 0
		.amdhsa_kernarg_size 96
		.amdhsa_user_sgpr_count 15
		.amdhsa_user_sgpr_dispatch_ptr 0
		.amdhsa_user_sgpr_queue_ptr 0
		.amdhsa_user_sgpr_kernarg_segment_ptr 1
		.amdhsa_user_sgpr_dispatch_id 0
		.amdhsa_user_sgpr_private_segment_size 0
		.amdhsa_wavefront_size32 1
		.amdhsa_uses_dynamic_stack 0
		.amdhsa_enable_private_segment 0
		.amdhsa_system_sgpr_workgroup_id_x 1
		.amdhsa_system_sgpr_workgroup_id_y 0
		.amdhsa_system_sgpr_workgroup_id_z 0
		.amdhsa_system_sgpr_workgroup_info 0
		.amdhsa_system_vgpr_workitem_id 0
		.amdhsa_next_free_vgpr 48
		.amdhsa_next_free_sgpr 36
		.amdhsa_reserve_vcc 1
		.amdhsa_float_round_mode_32 0
		.amdhsa_float_round_mode_16_64 0
		.amdhsa_float_denorm_mode_32 3
		.amdhsa_float_denorm_mode_16_64 3
		.amdhsa_dx10_clamp 1
		.amdhsa_ieee_mode 1
		.amdhsa_fp16_overflow 0
		.amdhsa_workgroup_processor_mode 1
		.amdhsa_memory_ordered 1
		.amdhsa_forward_progress 0
		.amdhsa_shared_vgpr_count 0
		.amdhsa_exception_fp_ieee_invalid_op 0
		.amdhsa_exception_fp_denorm_src 0
		.amdhsa_exception_fp_ieee_div_zero 0
		.amdhsa_exception_fp_ieee_overflow 0
		.amdhsa_exception_fp_ieee_underflow 0
		.amdhsa_exception_fp_ieee_inexact 0
		.amdhsa_exception_int_div_zero 0
	.end_amdhsa_kernel
	.section	.text._ZN5aiter36smooth_per_token_scaled_quant_kernelItDB8_Li512ELi16ELb0ELb0ELb0ELi1024EEEvPT0_PfPT_S4_PiS7_iiPKiiiiiiiii,"axG",@progbits,_ZN5aiter36smooth_per_token_scaled_quant_kernelItDB8_Li512ELi16ELb0ELb0ELb0ELi1024EEEvPT0_PfPT_S4_PiS7_iiPKiiiiiiiii,comdat
.Lfunc_end97:
	.size	_ZN5aiter36smooth_per_token_scaled_quant_kernelItDB8_Li512ELi16ELb0ELb0ELb0ELi1024EEEvPT0_PfPT_S4_PiS7_iiPKiiiiiiiii, .Lfunc_end97-_ZN5aiter36smooth_per_token_scaled_quant_kernelItDB8_Li512ELi16ELb0ELb0ELb0ELi1024EEEvPT0_PfPT_S4_PiS7_iiPKiiiiiiiii
                                        ; -- End function
	.section	.AMDGPU.csdata,"",@progbits
; Kernel info:
; codeLenInByte = 2184
; NumSgprs: 38
; NumVgprs: 48
; ScratchSize: 0
; MemoryBound: 0
; FloatMode: 240
; IeeeMode: 1
; LDSByteSize: 64 bytes/workgroup (compile time only)
; SGPRBlocks: 4
; VGPRBlocks: 5
; NumSGPRsForWavesPerEU: 38
; NumVGPRsForWavesPerEU: 48
; Occupancy: 16
; WaveLimiterHint : 0
; COMPUTE_PGM_RSRC2:SCRATCH_EN: 0
; COMPUTE_PGM_RSRC2:USER_SGPR: 15
; COMPUTE_PGM_RSRC2:TRAP_HANDLER: 0
; COMPUTE_PGM_RSRC2:TGID_X_EN: 1
; COMPUTE_PGM_RSRC2:TGID_Y_EN: 0
; COMPUTE_PGM_RSRC2:TGID_Z_EN: 0
; COMPUTE_PGM_RSRC2:TIDIG_COMP_CNT: 0
	.section	.text._ZN5aiter36smooth_per_token_scaled_quant_kernelIDF16_aLi256ELi8ELb1ELb1ELb1ELi1024EEEvPT0_PfPT_S3_PiS6_iiPKiiiiiiiii,"axG",@progbits,_ZN5aiter36smooth_per_token_scaled_quant_kernelIDF16_aLi256ELi8ELb1ELb1ELb1ELi1024EEEvPT0_PfPT_S3_PiS6_iiPKiiiiiiiii,comdat
	.protected	_ZN5aiter36smooth_per_token_scaled_quant_kernelIDF16_aLi256ELi8ELb1ELb1ELb1ELi1024EEEvPT0_PfPT_S3_PiS6_iiPKiiiiiiiii ; -- Begin function _ZN5aiter36smooth_per_token_scaled_quant_kernelIDF16_aLi256ELi8ELb1ELb1ELb1ELi1024EEEvPT0_PfPT_S3_PiS6_iiPKiiiiiiiii
	.globl	_ZN5aiter36smooth_per_token_scaled_quant_kernelIDF16_aLi256ELi8ELb1ELb1ELb1ELi1024EEEvPT0_PfPT_S3_PiS6_iiPKiiiiiiiii
	.p2align	8
	.type	_ZN5aiter36smooth_per_token_scaled_quant_kernelIDF16_aLi256ELi8ELb1ELb1ELb1ELi1024EEEvPT0_PfPT_S3_PiS6_iiPKiiiiiiiii,@function
_ZN5aiter36smooth_per_token_scaled_quant_kernelIDF16_aLi256ELi8ELb1ELb1ELb1ELi1024EEEvPT0_PfPT_S3_PiS6_iiPKiiiiiiiii: ; @_ZN5aiter36smooth_per_token_scaled_quant_kernelIDF16_aLi256ELi8ELb1ELb1ELb1ELi1024EEEvPT0_PfPT_S3_PiS6_iiPKiiiiiiiii
; %bb.0:
	s_clause 0x2
	s_load_b64 s[2:3], s[0:1], 0x38
	s_load_b64 s[16:17], s[0:1], 0x28
	s_load_b256 s[4:11], s[0:1], 0x40
	s_waitcnt lgkmcnt(0)
	s_cmp_lg_u64 s[2:3], 0
	s_cbranch_scc0 .LBB98_11
; %bb.1:
	s_load_b32 s2, s[2:3], 0x0
	s_waitcnt lgkmcnt(0)
	s_mul_i32 s4, s2, s4
	s_cbranch_execnz .LBB98_3
.LBB98_2:
	s_mul_i32 s4, s6, s5
.LBB98_3:
	s_load_b64 s[2:3], s[0:1], 0x30
	s_lshl_b32 s18, s11, 2
	s_and_b32 s17, s17, 0xffff
	s_mov_b32 s19, -1
	s_abs_i32 s14, s4
                                        ; implicit-def: $sgpr34
	s_waitcnt lgkmcnt(0)
	s_abs_i32 s11, s2
	s_delay_alu instid0(SALU_CYCLE_1) | instskip(SKIP_1) | instid1(VALU_DEP_1)
	v_cvt_f32_u32_e32 v6, s11
	s_sub_i32 s13, 0, s11
	v_rcp_iflag_f32_e32 v6, v6
	s_waitcnt_depctr 0xfff
	v_dual_mul_f32 v6, 0x4f7ffffe, v6 :: v_dual_lshlrev_b32 v1, 2, v0
	s_clause 0x3
	buffer_load_b32 v2, v1, s[16:19], 0 offen
	buffer_load_b32 v3, v1, s[16:19], 0 offen offset:1024
	buffer_load_b32 v4, v1, s[16:19], 0 offen offset:2048
	;; [unrolled: 1-line block ×3, first 2 shown]
	s_waitcnt vmcnt(2)
	ds_store_2addr_stride64_b32 v1, v2, v3 offset1:4
	s_waitcnt vmcnt(0)
	ds_store_2addr_stride64_b32 v1, v4, v5 offset0:8 offset1:12
	v_cvt_u32_f32_e32 v6, v6
	s_delay_alu instid0(VALU_DEP_1) | instskip(NEXT) | instid1(VALU_DEP_1)
	v_readfirstlane_b32 s12, v6
	s_mul_i32 s13, s13, s12
	s_delay_alu instid0(SALU_CYCLE_1) | instskip(NEXT) | instid1(SALU_CYCLE_1)
	s_mul_hi_u32 s13, s12, s13
	s_add_i32 s12, s12, s13
	s_xor_b32 s13, s4, s2
	s_mul_hi_u32 s12, s14, s12
	s_ashr_i32 s13, s13, 31
	s_mul_i32 s16, s12, s11
	s_delay_alu instid0(SALU_CYCLE_1)
	s_sub_i32 s14, s14, s16
	s_add_i32 s16, s12, 1
	s_sub_i32 s17, s14, s11
	s_cmp_ge_u32 s14, s11
	s_cselect_b32 s12, s16, s12
	s_cselect_b32 s14, s17, s14
	s_add_i32 s16, s12, 1
	s_cmp_ge_u32 s14, s11
	s_cselect_b32 s11, s16, s12
	s_delay_alu instid0(SALU_CYCLE_1) | instskip(NEXT) | instid1(SALU_CYCLE_1)
	s_xor_b32 s11, s11, s13
	s_sub_i32 s11, s11, s13
	s_delay_alu instid0(SALU_CYCLE_1) | instskip(NEXT) | instid1(SALU_CYCLE_1)
	s_mul_i32 s2, s11, s2
	s_sub_i32 s12, s4, s2
	s_delay_alu instid0(SALU_CYCLE_1)
	s_cmp_lt_u32 s15, s12
	s_cselect_b32 s2, -1, 0
	s_add_i32 s4, s11, 1
	s_cmp_ge_u32 s15, s12
	s_cbranch_scc0 .LBB98_5
; %bb.4:
	s_sub_i32 s13, s15, s12
	s_mul_i32 s12, s12, s4
	s_mul_i32 s13, s13, s11
	s_mov_b32 s19, 0
	s_add_i32 s34, s13, s12
.LBB98_5:
	s_and_not1_b32 vcc_lo, exec_lo, s19
	s_cbranch_vccnz .LBB98_7
; %bb.6:
	s_mul_i32 s34, s4, s15
.LBB98_7:
	v_cndmask_b32_e64 v1, 0, 1, s2
	s_delay_alu instid0(VALU_DEP_1) | instskip(NEXT) | instid1(VALU_DEP_1)
	v_readfirstlane_b32 s2, v1
	s_add_i32 s4, s11, s2
	s_delay_alu instid0(SALU_CYCLE_1)
	s_cmp_lt_i32 s4, 1
	s_cbranch_scc1 .LBB98_35
; %bb.8:
	s_load_b64 s[12:13], s[0:1], 0x20
	s_ashr_i32 s35, s34, 31
	v_and_b32_e32 v1, 31, v0
	s_lshl_b64 s[14:15], s[34:35], 2
	s_mov_b32 s33, -1
	v_and_b32_e32 v4, 7, v0
	s_mov_b32 s23, s33
	v_cmp_eq_u32_e32 vcc_lo, 31, v1
	v_lshlrev_b32_e32 v8, 4, v0
	v_lshlrev_b32_e32 v9, 5, v0
	v_lshl_or_b32 v11, v4, 2, 0x1000
	v_lshlrev_b32_e32 v13, 3, v0
	s_mov_b32 s42, s3
	s_waitcnt lgkmcnt(0)
	s_add_u32 s20, s12, s14
	s_addc_u32 s2, s13, s15
	s_abs_i32 s11, s6
	s_lshl_b32 s22, s4, 2
	v_cvt_f32_u32_e32 v3, s11
	s_and_b32 s21, s2, 0xffff
	s_load_b256 s[12:19], s[0:1], 0x0
	s_movk_i32 s0, 0x7c
	s_add_i32 s1, s3, 7
	v_rcp_iflag_f32_e32 v3, v3
	v_lshlrev_b32_e32 v14, 2, v1
	v_lshrrev_b32_e32 v1, 3, v0
	s_ashr_i32 s2, s1, 31
	s_lshl_b32 s26, s3, 1
	s_lshr_b32 s2, s2, 29
	s_lshl_b32 s30, s3, 2
	v_and_or_b32 v10, v1, s0, 0x1000
	s_add_i32 s1, s1, s2
	v_cmp_eq_u32_e64 s0, 0, v0
	s_waitcnt_depctr 0xfff
	v_mul_f32_e32 v1, 0x4f7ffffe, v3
	buffer_load_b32 v2, v14, s[20:23], 0 offen
	s_waitcnt vmcnt(0) expcnt(0) lgkmcnt(0)
	s_barrier
	buffer_gl0_inv
	v_cvt_u32_f32_e32 v1, v1
	s_add_i32 s23, s3, 3
	s_ashr_i32 s1, s1, 3
	s_ashr_i32 s2, s23, 31
	v_cmp_gt_u32_e64 s1, s1, v0
	v_readfirstlane_b32 s41, v1
	s_lshr_b32 s2, s2, 30
	s_ashr_i32 s40, s6, 31
	s_add_i32 s23, s23, s2
	s_sub_i32 s2, 0, s11
	s_and_b32 s38, s23, -4
	s_mul_i32 s23, s2, s41
	s_delay_alu instid0(SALU_CYCLE_1) | instskip(NEXT) | instid1(SALU_CYCLE_1)
	s_mul_hi_u32 s23, s41, s23
	s_add_i32 s41, s41, s23
	v_lshlrev_b32_e32 v2, 2, v2
	ds_load_b32 v12, v2
	s_waitcnt lgkmcnt(0)
	v_readlane_b32 s2, v12, 0
	s_delay_alu instid0(VALU_DEP_1)
	s_cmp_lt_i32 s2, 0
	s_cbranch_scc1 .LBB98_12
; %bb.9:
	s_abs_i32 s23, s34
	s_xor_b32 s27, s35, s40
	s_mul_hi_u32 s24, s23, s41
	s_mov_b32 s31, -1
	s_mul_i32 s25, s24, s11
	s_add_i32 s28, s24, 1
	s_sub_i32 s25, s23, s25
	s_delay_alu instid0(SALU_CYCLE_1)
	s_sub_i32 s29, s25, s11
	s_cmp_ge_u32 s25, s11
	s_cselect_b32 s24, s28, s24
	s_cselect_b32 s25, s29, s25
	s_add_i32 s28, s24, 1
	s_cmp_ge_u32 s25, s11
	s_cselect_b32 s24, s28, s24
	s_delay_alu instid0(SALU_CYCLE_1) | instskip(NEXT) | instid1(SALU_CYCLE_1)
	s_xor_b32 s24, s24, s27
	s_sub_i32 s24, s24, s27
	s_delay_alu instid0(SALU_CYCLE_1) | instskip(SKIP_2) | instid1(SALU_CYCLE_1)
	s_mul_i32 s25, s24, s6
	s_mul_i32 s24, s24, s7
	s_sub_i32 s25, s34, s25
	s_mul_i32 s25, s25, s8
	s_delay_alu instid0(SALU_CYCLE_1) | instskip(NEXT) | instid1(SALU_CYCLE_1)
	s_add_i32 s33, s25, s24
	s_cmp_eq_u32 s33, -1
	s_cbranch_scc1 .LBB98_13
; %bb.10:
	s_mul_hi_i32 s25, s33, s42
	s_mul_i32 s24, s33, s42
	s_mov_b32 s27, s31
	s_lshl_b64 s[24:25], s[24:25], 1
	s_delay_alu instid0(SALU_CYCLE_1) | instskip(SKIP_1) | instid1(SALU_CYCLE_1)
	s_add_u32 s24, s16, s24
	s_addc_u32 s25, s17, s25
	s_and_b32 s25, s25, 0xffff
	buffer_load_b128 v[3:6], v8, s[24:27], 0 offen
	s_waitcnt vmcnt(0)
	v_cvt_f32_f16_e32 v0, v3
	v_lshrrev_b32_e32 v1, 16, v3
	v_cvt_f32_f16_e32 v2, v4
	v_lshrrev_b32_e32 v3, 16, v4
	;; [unrolled: 2-line block ×3, first 2 shown]
	v_lshrrev_b32_e32 v7, 16, v6
	v_cvt_f32_f16_e32 v6, v6
	v_cvt_f32_f16_e32 v1, v1
	v_cvt_f32_f16_e32 v3, v3
	v_cvt_f32_f16_e32 v5, v5
	v_cvt_f32_f16_e32 v7, v7
	s_branch .LBB98_14
.LBB98_11:
                                        ; implicit-def: $sgpr4
	s_branch .LBB98_2
.LBB98_12:
                                        ; implicit-def: $vgpr0_vgpr1_vgpr2_vgpr3_vgpr4_vgpr5_vgpr6_vgpr7
	s_cmp_eq_u32 s4, 1
	s_mov_b32 s35, 1
	s_cbranch_scc0 .LBB98_21
	s_branch .LBB98_35
.LBB98_13:
                                        ; implicit-def: $vgpr0_vgpr1_vgpr2_vgpr3_vgpr4_vgpr5_vgpr6_vgpr7
.LBB98_14:
	s_mul_i32 s24, s2, s3
	s_delay_alu instid0(SALU_CYCLE_1) | instskip(NEXT) | instid1(SALU_CYCLE_1)
	s_ashr_i32 s25, s24, 31
	s_lshl_b64 s[24:25], s[24:25], 2
	s_delay_alu instid0(SALU_CYCLE_1) | instskip(SKIP_1) | instid1(SALU_CYCLE_1)
	s_add_u32 s28, s18, s24
	s_addc_u32 s2, s19, s25
	s_and_b32 s29, s2, 0xffff
	s_clause 0x1
	buffer_load_b128 v[15:18], v9, s[28:31], 0 offen
	buffer_load_b128 v[23:26], v9, s[28:31], 16 offen
	s_waitcnt vmcnt(1)
	v_dual_mul_f32 v21, v0, v15 :: v_dual_mul_f32 v22, v1, v16
	v_dual_mul_f32 v15, v2, v17 :: v_dual_mul_f32 v16, v3, v18
	s_waitcnt vmcnt(0)
	v_dual_mul_f32 v17, v4, v23 :: v_dual_mul_f32 v18, v5, v24
	s_delay_alu instid0(VALU_DEP_3) | instskip(SKIP_1) | instid1(VALU_DEP_2)
	v_max3_f32 v19, |v21|, 0x2edbe6ff, |v22|
	v_mul_f32_e32 v20, v7, v26
	v_max3_f32 v23, v19, |v15|, |v16|
	v_mul_f32_e32 v19, v6, v25
	s_delay_alu instid0(VALU_DEP_2) | instskip(NEXT) | instid1(VALU_DEP_1)
	v_max3_f32 v23, v23, |v17|, |v18|
	v_max3_f32 v23, v23, |v19|, |v20|
	s_delay_alu instid0(VALU_DEP_1) | instskip(NEXT) | instid1(VALU_DEP_1)
	v_mov_b32_dpp v24, v23 quad_perm:[1,0,3,2] row_mask:0xf bank_mask:0xf
	v_cmp_gt_f32_e64 s2, v23, v24
	s_delay_alu instid0(VALU_DEP_1) | instskip(NEXT) | instid1(VALU_DEP_1)
	v_cndmask_b32_e64 v23, v24, v23, s2
	v_mov_b32_dpp v24, v23 quad_perm:[2,3,0,1] row_mask:0xf bank_mask:0xf
	s_delay_alu instid0(VALU_DEP_1) | instskip(NEXT) | instid1(VALU_DEP_1)
	v_cmp_gt_f32_e64 s2, v23, v24
	v_cndmask_b32_e64 v23, v24, v23, s2
	s_delay_alu instid0(VALU_DEP_1) | instskip(NEXT) | instid1(VALU_DEP_1)
	v_mov_b32_dpp v24, v23 row_xmask:7 row_mask:0xf bank_mask:0xf
	v_cmp_gt_f32_e64 s2, v23, v24
	s_delay_alu instid0(VALU_DEP_1) | instskip(NEXT) | instid1(VALU_DEP_1)
	v_cndmask_b32_e64 v23, v24, v23, s2
	v_mov_b32_dpp v24, v23 row_xmask:15 row_mask:0xf bank_mask:0xf
	s_delay_alu instid0(VALU_DEP_1)
	v_cmp_gt_f32_e64 s2, v23, v24
	s_and_saveexec_b32 s24, vcc_lo
	s_cbranch_execz .LBB98_16
; %bb.15:
	s_delay_alu instid0(VALU_DEP_1)
	v_cndmask_b32_e64 v23, v24, v23, s2
	s_mov_b32 s2, 0x76543210
	s_delay_alu instid0(VALU_DEP_1) | instid1(SALU_CYCLE_1)
	v_permlanex16_b32 v24, v23, s2, 0xfedcba98 op_sel:[1,1]
	s_delay_alu instid0(VALU_DEP_1) | instskip(NEXT) | instid1(VALU_DEP_1)
	v_cmp_gt_f32_e64 s2, v23, v24
	v_cndmask_b32_e64 v23, v24, v23, s2
	ds_store_b32 v10, v23
.LBB98_16:
	s_or_b32 exec_lo, exec_lo, s24
	s_waitcnt lgkmcnt(0)
	s_barrier
	buffer_gl0_inv
	ds_load_b32 v24, v11
	s_abs_i32 s24, s5
	s_delay_alu instid0(SALU_CYCLE_1) | instskip(SKIP_1) | instid1(VALU_DEP_1)
	v_cvt_f32_u32_e32 v23, s24
	s_sub_i32 s27, 0, s24
	v_rcp_iflag_f32_e32 v23, v23
	s_waitcnt_depctr 0xfff
	v_mul_f32_e32 v23, 0x4f7ffffe, v23
	s_waitcnt lgkmcnt(0)
	v_mov_b32_dpp v25, v24 quad_perm:[1,0,3,2] row_mask:0xf bank_mask:0xf
	s_delay_alu instid0(VALU_DEP_2) | instskip(NEXT) | instid1(VALU_DEP_2)
	v_cvt_u32_f32_e32 v23, v23
	v_cmp_gt_f32_e64 s2, v24, v25
	s_delay_alu instid0(VALU_DEP_2) | instskip(NEXT) | instid1(VALU_DEP_2)
	v_readfirstlane_b32 s25, v23
	v_cndmask_b32_e64 v23, v25, v24, s2
	s_delay_alu instid0(VALU_DEP_2) | instskip(NEXT) | instid1(VALU_DEP_1)
	s_mul_i32 s27, s27, s25
	v_mov_b32_dpp v24, v23 quad_perm:[2,3,0,1] row_mask:0xf bank_mask:0xf
	s_mul_hi_u32 s2, s25, s27
	s_delay_alu instid0(SALU_CYCLE_1)
	s_add_i32 s25, s25, s2
	s_ashr_i32 s2, s5, 31
	s_mul_hi_u32 s25, s23, s25
	s_xor_b32 s27, s35, s2
	v_cmp_gt_f32_e64 s2, v23, v24
	s_mul_i32 s28, s25, s24
	s_delay_alu instid0(VALU_DEP_1)
	v_cndmask_b32_e64 v23, v24, v23, s2
	s_sub_i32 s2, s23, s28
	s_add_i32 s23, s25, 1
	s_sub_i32 s28, s2, s24
	s_cmp_ge_u32 s2, s24
	v_mov_b32_dpp v24, v23 row_xmask:7 row_mask:0xf bank_mask:0xf
	s_cselect_b32 s23, s23, s25
	s_cselect_b32 s2, s28, s2
	s_add_i32 s25, s23, 1
	s_cmp_ge_u32 s2, s24
	s_cselect_b32 s2, s25, s23
	s_delay_alu instid0(SALU_CYCLE_1) | instskip(SKIP_1) | instid1(VALU_DEP_1)
	s_xor_b32 s23, s2, s27
	v_cmp_gt_f32_e64 s2, v23, v24
	v_cndmask_b32_e64 v23, v24, v23, s2
	s_sub_i32 s2, s23, s27
	s_delay_alu instid0(SALU_CYCLE_1) | instskip(SKIP_4) | instid1(SALU_CYCLE_1)
	s_mul_i32 s23, s2, s5
	s_mul_i32 s2, s2, s9
	s_sub_i32 s23, s34, s23
	v_mul_f32_e32 v23, 0x3c010204, v23
	s_mul_i32 s23, s23, s10
	s_add_i32 s24, s23, s2
	s_and_saveexec_b32 s2, s0
	s_cbranch_execz .LBB98_18
; %bb.17:
	s_ashr_i32 s25, s24, 31
	v_mov_b32_e32 v24, 0
	s_lshl_b64 s[28:29], s[24:25], 2
	s_delay_alu instid0(SALU_CYCLE_1)
	s_add_u32 s28, s14, s28
	s_addc_u32 s29, s15, s29
	global_store_b32 v24, v23, s[28:29]
.LBB98_18:
	s_or_b32 exec_lo, exec_lo, s2
	s_and_saveexec_b32 s2, s1
	s_cbranch_execz .LBB98_20
; %bb.19:
	v_rcp_f32_e32 v23, v23
	s_mul_i32 s23, s24, s42
	s_mul_hi_i32 s24, s24, s42
	s_add_u32 s36, s12, s23
	s_addc_u32 s23, s13, s24
	s_mov_b32 s39, -1
	s_and_b32 s37, s23, 0xffff
	s_waitcnt_depctr 0xfff
	v_mul_f32_e32 v17, v17, v23
	v_mul_f32_e32 v18, v18, v23
	;; [unrolled: 1-line block ×5, first 2 shown]
	v_cvt_i32_f32_e32 v17, v17
	v_cvt_i32_f32_e32 v18, v18
	v_mul_f32_e32 v22, v22, v23
	v_cvt_i32_f32_e32 v15, v15
	v_cvt_i32_f32_e32 v16, v16
	v_and_b32_e32 v17, 0xff, v17
	v_lshlrev_b16 v18, 8, v18
	v_mul_f32_e32 v20, v20, v23
	v_and_b32_e32 v15, 0xff, v15
	v_lshlrev_b16 v16, 8, v16
	v_cvt_i32_f32_e32 v22, v22
	v_or_b32_e32 v17, v17, v18
	v_mul_f32_e32 v21, v21, v23
	v_cvt_i32_f32_e32 v20, v20
	v_cvt_i32_f32_e32 v19, v19
	v_or_b32_e32 v15, v15, v16
	v_and_b32_e32 v16, 0xffff, v17
	v_cvt_i32_f32_e32 v21, v21
	v_lshlrev_b16 v20, 8, v20
	v_and_b32_e32 v19, 0xff, v19
	v_lshlrev_b16 v22, 8, v22
	v_lshlrev_b32_e32 v15, 16, v15
	v_and_b32_e32 v21, 0xff, v21
	s_delay_alu instid0(VALU_DEP_4) | instskip(NEXT) | instid1(VALU_DEP_2)
	v_or_b32_e32 v18, v19, v20
	v_or_b32_e32 v19, v21, v22
	s_delay_alu instid0(VALU_DEP_2) | instskip(NEXT) | instid1(VALU_DEP_2)
	v_lshlrev_b32_e32 v17, 16, v18
	v_and_b32_e32 v18, 0xffff, v19
	s_delay_alu instid0(VALU_DEP_2) | instskip(NEXT) | instid1(VALU_DEP_2)
	v_or_b32_e32 v16, v16, v17
	v_or_b32_e32 v15, v18, v15
	buffer_store_b64 v[15:16], v13, s[36:39], 0 offen
	;;#ASMSTART
	s_nop 0
	;;#ASMEND
.LBB98_20:
	s_or_b32 exec_lo, exec_lo, s2
	s_cmp_eq_u32 s4, 1
	s_mov_b32 s35, 1
	s_cbranch_scc1 .LBB98_35
.LBB98_21:
	s_abs_i32 s43, s5
	s_ashr_i32 s44, s5, 31
	v_cvt_f32_u32_e32 v15, s43
	s_sub_i32 s23, 0, s43
	s_mov_b32 s31, -1
	s_mov_b32 s46, 0x76543210
	v_add_nc_u32_e32 v14, 4, v14
	v_rcp_iflag_f32_e32 v15, v15
	s_waitcnt_depctr 0xfff
	v_mul_f32_e32 v15, 0x4f7ffffe, v15
	s_delay_alu instid0(VALU_DEP_1) | instskip(NEXT) | instid1(VALU_DEP_1)
	v_cvt_u32_f32_e32 v15, v15
	v_readfirstlane_b32 s2, v15
	v_mov_b32_e32 v15, 0
	s_delay_alu instid0(VALU_DEP_2) | instskip(NEXT) | instid1(SALU_CYCLE_1)
	s_mul_i32 s23, s23, s2
	s_mul_hi_u32 s23, s2, s23
	s_delay_alu instid0(SALU_CYCLE_1)
	s_add_i32 s45, s2, s23
	s_branch .LBB98_24
.LBB98_22:                              ;   in Loop: Header=BB98_24 Depth=1
	s_or_b32 exec_lo, exec_lo, s2
.LBB98_23:                              ;   in Loop: Header=BB98_24 Depth=1
	v_add_nc_u32_e32 v14, 4, v14
	s_add_i32 s35, s35, 1
	s_delay_alu instid0(SALU_CYCLE_1)
	s_cmp_eq_u32 s4, s35
	s_cbranch_scc1 .LBB98_35
.LBB98_24:                              ; =>This Inner Loop Header: Depth=1
	s_and_b32 s2, s35, 31
	s_delay_alu instid0(SALU_CYCLE_1)
	s_cmp_lg_u32 s2, 0
	s_cbranch_scc1 .LBB98_26
; %bb.25:                               ;   in Loop: Header=BB98_24 Depth=1
	s_mov_b32 s23, s31
	buffer_load_b32 v12, v14, s[20:23], 0 offen
	s_waitcnt vmcnt(0) expcnt(0) lgkmcnt(55)
	v_lshlrev_b32_e32 v12, 2, v12
	ds_load_b32 v12, v12
.LBB98_26:                              ;   in Loop: Header=BB98_24 Depth=1
	s_waitcnt lgkmcnt(0)
	v_readlane_b32 s2, v12, s2
	s_delay_alu instid0(VALU_DEP_1)
	s_cmp_lt_i32 s2, 0
	s_cbranch_scc1 .LBB98_23
; %bb.27:                               ;   in Loop: Header=BB98_24 Depth=1
	s_add_i32 s23, s34, s35
	s_delay_alu instid0(SALU_CYCLE_1)
	s_abs_i32 s36, s23
	s_ashr_i32 s37, s23, 31
	s_mul_hi_u32 s24, s36, s41
	s_xor_b32 s27, s37, s40
	s_mul_i32 s25, s24, s11
	s_add_i32 s28, s24, 1
	s_sub_i32 s25, s36, s25
	s_delay_alu instid0(SALU_CYCLE_1)
	s_sub_i32 s29, s25, s11
	s_cmp_ge_u32 s25, s11
	s_cselect_b32 s24, s28, s24
	s_cselect_b32 s25, s29, s25
	s_add_i32 s28, s24, 1
	s_cmp_ge_u32 s25, s11
	s_cselect_b32 s24, s28, s24
	s_delay_alu instid0(SALU_CYCLE_1) | instskip(NEXT) | instid1(SALU_CYCLE_1)
	s_xor_b32 s24, s24, s27
	s_sub_i32 s24, s24, s27
	s_delay_alu instid0(SALU_CYCLE_1) | instskip(SKIP_2) | instid1(SALU_CYCLE_1)
	s_mul_i32 s25, s24, s6
	s_mul_i32 s24, s24, s7
	s_sub_i32 s25, s23, s25
	s_mul_i32 s28, s25, s8
	s_delay_alu instid0(SALU_CYCLE_1) | instskip(NEXT) | instid1(SALU_CYCLE_1)
	s_add_i32 s28, s28, s24
	s_cmp_eq_u32 s28, s33
	s_cbranch_scc1 .LBB98_29
; %bb.28:                               ;   in Loop: Header=BB98_24 Depth=1
	s_mul_hi_i32 s25, s28, s42
	s_mul_i32 s24, s28, s42
	s_mov_b32 s27, s31
	s_lshl_b64 s[24:25], s[24:25], 1
	s_mov_b32 s33, s28
	s_add_u32 s24, s16, s24
	s_addc_u32 s25, s17, s25
	s_delay_alu instid0(SALU_CYCLE_1)
	s_and_b32 s25, s25, 0xffff
	buffer_load_b128 v[3:6], v8, s[24:27], 0 offen
	s_waitcnt vmcnt(0)
	v_cvt_f32_f16_e32 v0, v3
	v_lshrrev_b32_e32 v1, 16, v3
	v_cvt_f32_f16_e32 v2, v4
	v_lshrrev_b32_e32 v3, 16, v4
	;; [unrolled: 2-line block ×3, first 2 shown]
	v_lshrrev_b32_e32 v7, 16, v6
	v_cvt_f32_f16_e32 v6, v6
	v_cvt_f32_f16_e32 v1, v1
	;; [unrolled: 1-line block ×5, first 2 shown]
.LBB98_29:                              ;   in Loop: Header=BB98_24 Depth=1
	s_mul_i32 s24, s2, s3
	s_delay_alu instid0(SALU_CYCLE_1) | instskip(NEXT) | instid1(SALU_CYCLE_1)
	s_ashr_i32 s25, s24, 31
	s_lshl_b64 s[24:25], s[24:25], 2
	s_delay_alu instid0(SALU_CYCLE_1) | instskip(SKIP_1) | instid1(SALU_CYCLE_1)
	s_add_u32 s28, s18, s24
	s_addc_u32 s2, s19, s25
	s_and_b32 s29, s2, 0xffff
	s_clause 0x1
	buffer_load_b128 v[16:19], v9, s[28:31], 0 offen
	buffer_load_b128 v[24:27], v9, s[28:31], 16 offen
	s_waitcnt vmcnt(1)
	v_dual_mul_f32 v22, v0, v16 :: v_dual_mul_f32 v23, v1, v17
	v_dual_mul_f32 v16, v2, v18 :: v_dual_mul_f32 v17, v3, v19
	s_waitcnt vmcnt(0)
	v_dual_mul_f32 v18, v4, v24 :: v_dual_mul_f32 v19, v5, v25
	s_delay_alu instid0(VALU_DEP_3) | instskip(SKIP_1) | instid1(VALU_DEP_2)
	v_max3_f32 v20, |v22|, 0x2edbe6ff, |v23|
	v_mul_f32_e32 v21, v7, v27
	v_max3_f32 v24, v20, |v16|, |v17|
	v_mul_f32_e32 v20, v6, v26
	s_delay_alu instid0(VALU_DEP_2) | instskip(NEXT) | instid1(VALU_DEP_1)
	v_max3_f32 v24, v24, |v18|, |v19|
	v_max3_f32 v24, v24, |v20|, |v21|
	s_delay_alu instid0(VALU_DEP_1) | instskip(NEXT) | instid1(VALU_DEP_1)
	v_mov_b32_dpp v25, v24 quad_perm:[1,0,3,2] row_mask:0xf bank_mask:0xf
	v_cmp_gt_f32_e64 s2, v24, v25
	s_delay_alu instid0(VALU_DEP_1) | instskip(NEXT) | instid1(VALU_DEP_1)
	v_cndmask_b32_e64 v24, v25, v24, s2
	v_mov_b32_dpp v25, v24 quad_perm:[2,3,0,1] row_mask:0xf bank_mask:0xf
	s_delay_alu instid0(VALU_DEP_1) | instskip(NEXT) | instid1(VALU_DEP_1)
	v_cmp_gt_f32_e64 s2, v24, v25
	v_cndmask_b32_e64 v24, v25, v24, s2
	s_delay_alu instid0(VALU_DEP_1) | instskip(NEXT) | instid1(VALU_DEP_1)
	v_mov_b32_dpp v25, v24 row_xmask:7 row_mask:0xf bank_mask:0xf
	v_cmp_gt_f32_e64 s2, v24, v25
	s_delay_alu instid0(VALU_DEP_1) | instskip(NEXT) | instid1(VALU_DEP_1)
	v_cndmask_b32_e64 v24, v25, v24, s2
	v_mov_b32_dpp v25, v24 row_xmask:15 row_mask:0xf bank_mask:0xf
	s_delay_alu instid0(VALU_DEP_1)
	v_cmp_gt_f32_e64 s2, v24, v25
	s_and_saveexec_b32 s24, vcc_lo
	s_cbranch_execz .LBB98_31
; %bb.30:                               ;   in Loop: Header=BB98_24 Depth=1
	s_delay_alu instid0(VALU_DEP_1) | instskip(NEXT) | instid1(VALU_DEP_1)
	v_cndmask_b32_e64 v24, v25, v24, s2
	v_permlanex16_b32 v25, v24, s46, 0xfedcba98 op_sel:[1,1]
	s_delay_alu instid0(VALU_DEP_1) | instskip(NEXT) | instid1(VALU_DEP_1)
	v_cmp_gt_f32_e64 s2, v24, v25
	v_cndmask_b32_e64 v24, v25, v24, s2
	ds_store_b32 v10, v24
.LBB98_31:                              ;   in Loop: Header=BB98_24 Depth=1
	s_or_b32 exec_lo, exec_lo, s24
	s_waitcnt lgkmcnt(0)
	s_waitcnt_vscnt null, 0x0
	s_barrier
	buffer_gl0_inv
	ds_load_b32 v24, v11
	s_mul_hi_u32 s24, s36, s45
	s_xor_b32 s27, s37, s44
	s_mul_i32 s25, s24, s43
	s_waitcnt lgkmcnt(0)
	v_mov_b32_dpp v25, v24 quad_perm:[1,0,3,2] row_mask:0xf bank_mask:0xf
	s_delay_alu instid0(VALU_DEP_1) | instskip(NEXT) | instid1(VALU_DEP_1)
	v_cmp_gt_f32_e64 s2, v24, v25
	v_cndmask_b32_e64 v24, v25, v24, s2
	s_sub_i32 s2, s36, s25
	s_add_i32 s25, s24, 1
	s_sub_i32 s28, s2, s43
	s_cmp_ge_u32 s2, s43
	v_mov_b32_dpp v25, v24 quad_perm:[2,3,0,1] row_mask:0xf bank_mask:0xf
	s_cselect_b32 s24, s25, s24
	s_cselect_b32 s25, s28, s2
	s_delay_alu instid0(VALU_DEP_1) | instskip(NEXT) | instid1(VALU_DEP_1)
	v_cmp_gt_f32_e64 s2, v24, v25
	v_cndmask_b32_e64 v24, v25, v24, s2
	s_add_i32 s2, s24, 1
	s_cmp_ge_u32 s25, s43
	s_cselect_b32 s2, s2, s24
	s_delay_alu instid0(VALU_DEP_1) | instskip(SKIP_1) | instid1(SALU_CYCLE_1)
	v_mov_b32_dpp v25, v24 row_xmask:7 row_mask:0xf bank_mask:0xf
	s_xor_b32 s2, s2, s27
	s_sub_i32 s24, s2, s27
	s_delay_alu instid0(VALU_DEP_1) | instskip(NEXT) | instid1(VALU_DEP_1)
	v_cmp_gt_f32_e64 s2, v24, v25
	v_cndmask_b32_e64 v24, v25, v24, s2
	s_mul_i32 s2, s24, s5
	s_mul_i32 s24, s24, s9
	s_sub_i32 s2, s23, s2
	s_delay_alu instid0(VALU_DEP_1) | instskip(SKIP_1) | instid1(SALU_CYCLE_1)
	v_mul_f32_e32 v24, 0x3c010204, v24
	s_mul_i32 s2, s2, s10
	s_add_i32 s24, s2, s24
	s_and_saveexec_b32 s2, s0
	s_cbranch_execz .LBB98_33
; %bb.32:                               ;   in Loop: Header=BB98_24 Depth=1
	s_ashr_i32 s25, s24, 31
	s_delay_alu instid0(SALU_CYCLE_1) | instskip(NEXT) | instid1(SALU_CYCLE_1)
	s_lshl_b64 s[28:29], s[24:25], 2
	s_add_u32 s28, s14, s28
	s_addc_u32 s29, s15, s29
	global_store_b32 v15, v24, s[28:29]
.LBB98_33:                              ;   in Loop: Header=BB98_24 Depth=1
	s_or_b32 exec_lo, exec_lo, s2
	s_and_saveexec_b32 s2, s1
	s_cbranch_execz .LBB98_22
; %bb.34:                               ;   in Loop: Header=BB98_24 Depth=1
	v_rcp_f32_e32 v24, v24
	s_mul_i32 s23, s24, s42
	s_mul_hi_i32 s24, s24, s42
	s_add_u32 s36, s12, s23
	s_addc_u32 s23, s13, s24
	s_mov_b32 s39, s31
	s_and_b32 s37, s23, 0xffff
	s_waitcnt_depctr 0xfff
	v_mul_f32_e32 v18, v18, v24
	v_mul_f32_e32 v19, v19, v24
	;; [unrolled: 1-line block ×5, first 2 shown]
	v_cvt_i32_f32_e32 v18, v18
	v_cvt_i32_f32_e32 v19, v19
	v_mul_f32_e32 v23, v23, v24
	v_cvt_i32_f32_e32 v16, v16
	v_cvt_i32_f32_e32 v17, v17
	v_and_b32_e32 v18, 0xff, v18
	v_lshlrev_b16 v19, 8, v19
	v_mul_f32_e32 v21, v21, v24
	v_and_b32_e32 v16, 0xff, v16
	v_lshlrev_b16 v17, 8, v17
	v_cvt_i32_f32_e32 v23, v23
	v_or_b32_e32 v18, v18, v19
	v_mul_f32_e32 v22, v22, v24
	v_cvt_i32_f32_e32 v21, v21
	v_cvt_i32_f32_e32 v20, v20
	v_or_b32_e32 v16, v16, v17
	v_and_b32_e32 v17, 0xffff, v18
	v_cvt_i32_f32_e32 v22, v22
	v_lshlrev_b16 v21, 8, v21
	v_and_b32_e32 v20, 0xff, v20
	v_lshlrev_b16 v23, 8, v23
	v_lshlrev_b32_e32 v16, 16, v16
	v_and_b32_e32 v22, 0xff, v22
	s_delay_alu instid0(VALU_DEP_4) | instskip(NEXT) | instid1(VALU_DEP_2)
	v_or_b32_e32 v19, v20, v21
	v_or_b32_e32 v20, v22, v23
	s_delay_alu instid0(VALU_DEP_2) | instskip(NEXT) | instid1(VALU_DEP_2)
	v_lshlrev_b32_e32 v18, 16, v19
	v_and_b32_e32 v19, 0xffff, v20
	s_delay_alu instid0(VALU_DEP_2) | instskip(NEXT) | instid1(VALU_DEP_2)
	v_or_b32_e32 v17, v17, v18
	v_or_b32_e32 v16, v19, v16
	buffer_store_b64 v[16:17], v13, s[36:39], 0 offen
	;;#ASMSTART
	s_nop 0
	;;#ASMEND
	s_branch .LBB98_22
.LBB98_35:
	s_nop 0
	s_sendmsg sendmsg(MSG_DEALLOC_VGPRS)
	s_endpgm
	.section	.rodata,"a",@progbits
	.p2align	6, 0x0
	.amdhsa_kernel _ZN5aiter36smooth_per_token_scaled_quant_kernelIDF16_aLi256ELi8ELb1ELb1ELb1ELi1024EEEvPT0_PfPT_S3_PiS6_iiPKiiiiiiiii
		.amdhsa_group_segment_fixed_size 4128
		.amdhsa_private_segment_fixed_size 0
		.amdhsa_kernarg_size 96
		.amdhsa_user_sgpr_count 15
		.amdhsa_user_sgpr_dispatch_ptr 0
		.amdhsa_user_sgpr_queue_ptr 0
		.amdhsa_user_sgpr_kernarg_segment_ptr 1
		.amdhsa_user_sgpr_dispatch_id 0
		.amdhsa_user_sgpr_private_segment_size 0
		.amdhsa_wavefront_size32 1
		.amdhsa_uses_dynamic_stack 0
		.amdhsa_enable_private_segment 0
		.amdhsa_system_sgpr_workgroup_id_x 1
		.amdhsa_system_sgpr_workgroup_id_y 0
		.amdhsa_system_sgpr_workgroup_id_z 0
		.amdhsa_system_sgpr_workgroup_info 0
		.amdhsa_system_vgpr_workitem_id 0
		.amdhsa_next_free_vgpr 28
		.amdhsa_next_free_sgpr 47
		.amdhsa_reserve_vcc 1
		.amdhsa_float_round_mode_32 0
		.amdhsa_float_round_mode_16_64 0
		.amdhsa_float_denorm_mode_32 3
		.amdhsa_float_denorm_mode_16_64 3
		.amdhsa_dx10_clamp 1
		.amdhsa_ieee_mode 1
		.amdhsa_fp16_overflow 0
		.amdhsa_workgroup_processor_mode 1
		.amdhsa_memory_ordered 1
		.amdhsa_forward_progress 0
		.amdhsa_shared_vgpr_count 0
		.amdhsa_exception_fp_ieee_invalid_op 0
		.amdhsa_exception_fp_denorm_src 0
		.amdhsa_exception_fp_ieee_div_zero 0
		.amdhsa_exception_fp_ieee_overflow 0
		.amdhsa_exception_fp_ieee_underflow 0
		.amdhsa_exception_fp_ieee_inexact 0
		.amdhsa_exception_int_div_zero 0
	.end_amdhsa_kernel
	.section	.text._ZN5aiter36smooth_per_token_scaled_quant_kernelIDF16_aLi256ELi8ELb1ELb1ELb1ELi1024EEEvPT0_PfPT_S3_PiS6_iiPKiiiiiiiii,"axG",@progbits,_ZN5aiter36smooth_per_token_scaled_quant_kernelIDF16_aLi256ELi8ELb1ELb1ELb1ELi1024EEEvPT0_PfPT_S3_PiS6_iiPKiiiiiiiii,comdat
.Lfunc_end98:
	.size	_ZN5aiter36smooth_per_token_scaled_quant_kernelIDF16_aLi256ELi8ELb1ELb1ELb1ELi1024EEEvPT0_PfPT_S3_PiS6_iiPKiiiiiiiii, .Lfunc_end98-_ZN5aiter36smooth_per_token_scaled_quant_kernelIDF16_aLi256ELi8ELb1ELb1ELb1ELi1024EEEvPT0_PfPT_S3_PiS6_iiPKiiiiiiiii
                                        ; -- End function
	.section	.AMDGPU.csdata,"",@progbits
; Kernel info:
; codeLenInByte = 3068
; NumSgprs: 49
; NumVgprs: 28
; ScratchSize: 0
; MemoryBound: 0
; FloatMode: 240
; IeeeMode: 1
; LDSByteSize: 4128 bytes/workgroup (compile time only)
; SGPRBlocks: 6
; VGPRBlocks: 3
; NumSGPRsForWavesPerEU: 49
; NumVGPRsForWavesPerEU: 28
; Occupancy: 16
; WaveLimiterHint : 0
; COMPUTE_PGM_RSRC2:SCRATCH_EN: 0
; COMPUTE_PGM_RSRC2:USER_SGPR: 15
; COMPUTE_PGM_RSRC2:TRAP_HANDLER: 0
; COMPUTE_PGM_RSRC2:TGID_X_EN: 1
; COMPUTE_PGM_RSRC2:TGID_Y_EN: 0
; COMPUTE_PGM_RSRC2:TGID_Z_EN: 0
; COMPUTE_PGM_RSRC2:TIDIG_COMP_CNT: 0
	.section	.text._ZN5aiter36smooth_per_token_scaled_quant_kernelItaLi256ELi8ELb1ELb1ELb1ELi1024EEEvPT0_PfPT_S3_PiS6_iiPKiiiiiiiii,"axG",@progbits,_ZN5aiter36smooth_per_token_scaled_quant_kernelItaLi256ELi8ELb1ELb1ELb1ELi1024EEEvPT0_PfPT_S3_PiS6_iiPKiiiiiiiii,comdat
	.protected	_ZN5aiter36smooth_per_token_scaled_quant_kernelItaLi256ELi8ELb1ELb1ELb1ELi1024EEEvPT0_PfPT_S3_PiS6_iiPKiiiiiiiii ; -- Begin function _ZN5aiter36smooth_per_token_scaled_quant_kernelItaLi256ELi8ELb1ELb1ELb1ELi1024EEEvPT0_PfPT_S3_PiS6_iiPKiiiiiiiii
	.globl	_ZN5aiter36smooth_per_token_scaled_quant_kernelItaLi256ELi8ELb1ELb1ELb1ELi1024EEEvPT0_PfPT_S3_PiS6_iiPKiiiiiiiii
	.p2align	8
	.type	_ZN5aiter36smooth_per_token_scaled_quant_kernelItaLi256ELi8ELb1ELb1ELb1ELi1024EEEvPT0_PfPT_S3_PiS6_iiPKiiiiiiiii,@function
_ZN5aiter36smooth_per_token_scaled_quant_kernelItaLi256ELi8ELb1ELb1ELb1ELi1024EEEvPT0_PfPT_S3_PiS6_iiPKiiiiiiiii: ; @_ZN5aiter36smooth_per_token_scaled_quant_kernelItaLi256ELi8ELb1ELb1ELb1ELi1024EEEvPT0_PfPT_S3_PiS6_iiPKiiiiiiiii
; %bb.0:
	s_clause 0x2
	s_load_b64 s[2:3], s[0:1], 0x38
	s_load_b64 s[16:17], s[0:1], 0x28
	s_load_b256 s[4:11], s[0:1], 0x40
	s_waitcnt lgkmcnt(0)
	s_cmp_lg_u64 s[2:3], 0
	s_cbranch_scc0 .LBB99_11
; %bb.1:
	s_load_b32 s2, s[2:3], 0x0
	s_waitcnt lgkmcnt(0)
	s_mul_i32 s4, s2, s4
	s_cbranch_execnz .LBB99_3
.LBB99_2:
	s_mul_i32 s4, s6, s5
.LBB99_3:
	s_load_b64 s[2:3], s[0:1], 0x30
	s_lshl_b32 s18, s11, 2
	s_and_b32 s17, s17, 0xffff
	s_mov_b32 s19, -1
	s_abs_i32 s14, s4
                                        ; implicit-def: $sgpr34
	s_waitcnt lgkmcnt(0)
	s_abs_i32 s11, s2
	s_delay_alu instid0(SALU_CYCLE_1) | instskip(SKIP_1) | instid1(VALU_DEP_1)
	v_cvt_f32_u32_e32 v6, s11
	s_sub_i32 s13, 0, s11
	v_rcp_iflag_f32_e32 v6, v6
	s_waitcnt_depctr 0xfff
	v_dual_mul_f32 v6, 0x4f7ffffe, v6 :: v_dual_lshlrev_b32 v1, 2, v0
	s_clause 0x3
	buffer_load_b32 v2, v1, s[16:19], 0 offen
	buffer_load_b32 v3, v1, s[16:19], 0 offen offset:1024
	buffer_load_b32 v4, v1, s[16:19], 0 offen offset:2048
	;; [unrolled: 1-line block ×3, first 2 shown]
	s_waitcnt vmcnt(2)
	ds_store_2addr_stride64_b32 v1, v2, v3 offset1:4
	s_waitcnt vmcnt(0)
	ds_store_2addr_stride64_b32 v1, v4, v5 offset0:8 offset1:12
	v_cvt_u32_f32_e32 v6, v6
	s_delay_alu instid0(VALU_DEP_1) | instskip(NEXT) | instid1(VALU_DEP_1)
	v_readfirstlane_b32 s12, v6
	s_mul_i32 s13, s13, s12
	s_delay_alu instid0(SALU_CYCLE_1) | instskip(NEXT) | instid1(SALU_CYCLE_1)
	s_mul_hi_u32 s13, s12, s13
	s_add_i32 s12, s12, s13
	s_xor_b32 s13, s4, s2
	s_mul_hi_u32 s12, s14, s12
	s_ashr_i32 s13, s13, 31
	s_mul_i32 s16, s12, s11
	s_delay_alu instid0(SALU_CYCLE_1)
	s_sub_i32 s14, s14, s16
	s_add_i32 s16, s12, 1
	s_sub_i32 s17, s14, s11
	s_cmp_ge_u32 s14, s11
	s_cselect_b32 s12, s16, s12
	s_cselect_b32 s14, s17, s14
	s_add_i32 s16, s12, 1
	s_cmp_ge_u32 s14, s11
	s_cselect_b32 s11, s16, s12
	s_delay_alu instid0(SALU_CYCLE_1) | instskip(NEXT) | instid1(SALU_CYCLE_1)
	s_xor_b32 s11, s11, s13
	s_sub_i32 s11, s11, s13
	s_delay_alu instid0(SALU_CYCLE_1) | instskip(NEXT) | instid1(SALU_CYCLE_1)
	s_mul_i32 s2, s11, s2
	s_sub_i32 s12, s4, s2
	s_delay_alu instid0(SALU_CYCLE_1)
	s_cmp_lt_u32 s15, s12
	s_cselect_b32 s2, -1, 0
	s_add_i32 s4, s11, 1
	s_cmp_ge_u32 s15, s12
	s_cbranch_scc0 .LBB99_5
; %bb.4:
	s_sub_i32 s13, s15, s12
	s_mul_i32 s12, s12, s4
	s_mul_i32 s13, s13, s11
	s_mov_b32 s19, 0
	s_add_i32 s34, s13, s12
.LBB99_5:
	s_and_not1_b32 vcc_lo, exec_lo, s19
	s_cbranch_vccnz .LBB99_7
; %bb.6:
	s_mul_i32 s34, s4, s15
.LBB99_7:
	v_cndmask_b32_e64 v1, 0, 1, s2
	s_delay_alu instid0(VALU_DEP_1) | instskip(NEXT) | instid1(VALU_DEP_1)
	v_readfirstlane_b32 s2, v1
	s_add_i32 s4, s11, s2
	s_delay_alu instid0(SALU_CYCLE_1)
	s_cmp_lt_i32 s4, 1
	s_cbranch_scc1 .LBB99_35
; %bb.8:
	s_load_b64 s[12:13], s[0:1], 0x20
	s_ashr_i32 s35, s34, 31
	v_and_b32_e32 v1, 31, v0
	s_lshl_b64 s[14:15], s[34:35], 2
	s_mov_b32 s33, -1
	v_and_b32_e32 v4, 7, v0
	s_mov_b32 s23, s33
	v_cmp_eq_u32_e32 vcc_lo, 31, v1
	v_lshlrev_b32_e32 v8, 4, v0
	v_lshlrev_b32_e32 v9, 5, v0
	v_lshl_or_b32 v11, v4, 2, 0x1000
	v_lshlrev_b32_e32 v13, 3, v0
	s_mov_b32 s42, s3
	s_waitcnt lgkmcnt(0)
	s_add_u32 s20, s12, s14
	s_addc_u32 s2, s13, s15
	s_abs_i32 s11, s6
	s_lshl_b32 s22, s4, 2
	v_cvt_f32_u32_e32 v3, s11
	s_and_b32 s21, s2, 0xffff
	s_load_b256 s[12:19], s[0:1], 0x0
	s_movk_i32 s0, 0x7c
	s_add_i32 s1, s3, 7
	v_rcp_iflag_f32_e32 v3, v3
	v_lshlrev_b32_e32 v14, 2, v1
	v_lshrrev_b32_e32 v1, 3, v0
	s_ashr_i32 s2, s1, 31
	s_lshl_b32 s26, s3, 1
	s_lshr_b32 s2, s2, 29
	s_lshl_b32 s30, s3, 2
	v_and_or_b32 v10, v1, s0, 0x1000
	s_add_i32 s1, s1, s2
	v_cmp_eq_u32_e64 s0, 0, v0
	s_waitcnt_depctr 0xfff
	v_mul_f32_e32 v1, 0x4f7ffffe, v3
	buffer_load_b32 v2, v14, s[20:23], 0 offen
	s_waitcnt vmcnt(0) expcnt(0) lgkmcnt(0)
	s_barrier
	buffer_gl0_inv
	v_cvt_u32_f32_e32 v1, v1
	s_add_i32 s23, s3, 3
	s_ashr_i32 s1, s1, 3
	s_ashr_i32 s2, s23, 31
	v_cmp_gt_u32_e64 s1, s1, v0
	v_readfirstlane_b32 s41, v1
	s_lshr_b32 s2, s2, 30
	s_ashr_i32 s40, s6, 31
	s_add_i32 s23, s23, s2
	s_sub_i32 s2, 0, s11
	s_and_b32 s38, s23, -4
	s_mul_i32 s23, s2, s41
	s_delay_alu instid0(SALU_CYCLE_1) | instskip(NEXT) | instid1(SALU_CYCLE_1)
	s_mul_hi_u32 s23, s41, s23
	s_add_i32 s41, s41, s23
	v_lshlrev_b32_e32 v2, 2, v2
	ds_load_b32 v12, v2
	s_waitcnt lgkmcnt(0)
	v_readlane_b32 s2, v12, 0
	s_delay_alu instid0(VALU_DEP_1)
	s_cmp_lt_i32 s2, 0
	s_cbranch_scc1 .LBB99_12
; %bb.9:
	s_abs_i32 s23, s34
	s_xor_b32 s27, s35, s40
	s_mul_hi_u32 s24, s23, s41
	s_mov_b32 s31, -1
	s_mul_i32 s25, s24, s11
	s_add_i32 s28, s24, 1
	s_sub_i32 s25, s23, s25
	s_delay_alu instid0(SALU_CYCLE_1)
	s_sub_i32 s29, s25, s11
	s_cmp_ge_u32 s25, s11
	s_cselect_b32 s24, s28, s24
	s_cselect_b32 s25, s29, s25
	s_add_i32 s28, s24, 1
	s_cmp_ge_u32 s25, s11
	s_cselect_b32 s24, s28, s24
	s_delay_alu instid0(SALU_CYCLE_1) | instskip(NEXT) | instid1(SALU_CYCLE_1)
	s_xor_b32 s24, s24, s27
	s_sub_i32 s24, s24, s27
	s_delay_alu instid0(SALU_CYCLE_1) | instskip(SKIP_2) | instid1(SALU_CYCLE_1)
	s_mul_i32 s25, s24, s6
	s_mul_i32 s24, s24, s7
	s_sub_i32 s25, s34, s25
	s_mul_i32 s25, s25, s8
	s_delay_alu instid0(SALU_CYCLE_1) | instskip(NEXT) | instid1(SALU_CYCLE_1)
	s_add_i32 s33, s25, s24
	s_cmp_eq_u32 s33, -1
	s_cbranch_scc1 .LBB99_13
; %bb.10:
	s_mul_hi_i32 s25, s33, s42
	s_mul_i32 s24, s33, s42
	s_mov_b32 s27, s31
	s_lshl_b64 s[24:25], s[24:25], 1
	s_delay_alu instid0(SALU_CYCLE_1) | instskip(SKIP_1) | instid1(SALU_CYCLE_1)
	s_add_u32 s24, s16, s24
	s_addc_u32 s25, s17, s25
	s_and_b32 s25, s25, 0xffff
	buffer_load_b128 v[0:3], v8, s[24:27], 0 offen
	s_waitcnt vmcnt(0)
	v_lshrrev_b32_e32 v4, 16, v0
	v_and_b32_e32 v0, 0xffff, v0
	v_lshrrev_b32_e32 v5, 16, v1
	v_and_b32_e32 v6, 0xffff, v1
	;; [unrolled: 2-line block ×4, first 2 shown]
	v_cvt_f32_u32_e32 v1, v4
	v_cvt_f32_u32_e32 v0, v0
	;; [unrolled: 1-line block ×8, first 2 shown]
	s_branch .LBB99_14
.LBB99_11:
                                        ; implicit-def: $sgpr4
	s_branch .LBB99_2
.LBB99_12:
                                        ; implicit-def: $vgpr0_vgpr1_vgpr2_vgpr3_vgpr4_vgpr5_vgpr6_vgpr7
	s_cmp_eq_u32 s4, 1
	s_mov_b32 s35, 1
	s_cbranch_scc0 .LBB99_21
	s_branch .LBB99_35
.LBB99_13:
                                        ; implicit-def: $vgpr0_vgpr1_vgpr2_vgpr3_vgpr4_vgpr5_vgpr6_vgpr7
.LBB99_14:
	s_mul_i32 s24, s2, s3
	s_delay_alu instid0(SALU_CYCLE_1) | instskip(NEXT) | instid1(SALU_CYCLE_1)
	s_ashr_i32 s25, s24, 31
	s_lshl_b64 s[24:25], s[24:25], 2
	s_delay_alu instid0(SALU_CYCLE_1) | instskip(SKIP_1) | instid1(SALU_CYCLE_1)
	s_add_u32 s28, s18, s24
	s_addc_u32 s2, s19, s25
	s_and_b32 s29, s2, 0xffff
	s_clause 0x1
	buffer_load_b128 v[15:18], v9, s[28:31], 0 offen
	buffer_load_b128 v[23:26], v9, s[28:31], 16 offen
	s_waitcnt vmcnt(1)
	v_dual_mul_f32 v21, v0, v15 :: v_dual_mul_f32 v22, v1, v16
	v_dual_mul_f32 v15, v2, v17 :: v_dual_mul_f32 v16, v3, v18
	s_waitcnt vmcnt(0)
	v_dual_mul_f32 v17, v4, v23 :: v_dual_mul_f32 v18, v5, v24
	s_delay_alu instid0(VALU_DEP_3) | instskip(SKIP_1) | instid1(VALU_DEP_2)
	v_max3_f32 v19, |v21|, 0x2edbe6ff, |v22|
	v_mul_f32_e32 v20, v7, v26
	v_max3_f32 v23, v19, |v15|, |v16|
	v_mul_f32_e32 v19, v6, v25
	s_delay_alu instid0(VALU_DEP_2) | instskip(NEXT) | instid1(VALU_DEP_1)
	v_max3_f32 v23, v23, |v17|, |v18|
	v_max3_f32 v23, v23, |v19|, |v20|
	s_delay_alu instid0(VALU_DEP_1) | instskip(NEXT) | instid1(VALU_DEP_1)
	v_mov_b32_dpp v24, v23 quad_perm:[1,0,3,2] row_mask:0xf bank_mask:0xf
	v_cmp_gt_f32_e64 s2, v23, v24
	s_delay_alu instid0(VALU_DEP_1) | instskip(NEXT) | instid1(VALU_DEP_1)
	v_cndmask_b32_e64 v23, v24, v23, s2
	v_mov_b32_dpp v24, v23 quad_perm:[2,3,0,1] row_mask:0xf bank_mask:0xf
	s_delay_alu instid0(VALU_DEP_1) | instskip(NEXT) | instid1(VALU_DEP_1)
	v_cmp_gt_f32_e64 s2, v23, v24
	v_cndmask_b32_e64 v23, v24, v23, s2
	s_delay_alu instid0(VALU_DEP_1) | instskip(NEXT) | instid1(VALU_DEP_1)
	v_mov_b32_dpp v24, v23 row_xmask:7 row_mask:0xf bank_mask:0xf
	v_cmp_gt_f32_e64 s2, v23, v24
	s_delay_alu instid0(VALU_DEP_1) | instskip(NEXT) | instid1(VALU_DEP_1)
	v_cndmask_b32_e64 v23, v24, v23, s2
	v_mov_b32_dpp v24, v23 row_xmask:15 row_mask:0xf bank_mask:0xf
	s_delay_alu instid0(VALU_DEP_1)
	v_cmp_gt_f32_e64 s2, v23, v24
	s_and_saveexec_b32 s24, vcc_lo
	s_cbranch_execz .LBB99_16
; %bb.15:
	s_delay_alu instid0(VALU_DEP_1)
	v_cndmask_b32_e64 v23, v24, v23, s2
	s_mov_b32 s2, 0x76543210
	s_delay_alu instid0(VALU_DEP_1) | instid1(SALU_CYCLE_1)
	v_permlanex16_b32 v24, v23, s2, 0xfedcba98 op_sel:[1,1]
	s_delay_alu instid0(VALU_DEP_1) | instskip(NEXT) | instid1(VALU_DEP_1)
	v_cmp_gt_f32_e64 s2, v23, v24
	v_cndmask_b32_e64 v23, v24, v23, s2
	ds_store_b32 v10, v23
.LBB99_16:
	s_or_b32 exec_lo, exec_lo, s24
	s_waitcnt lgkmcnt(0)
	s_barrier
	buffer_gl0_inv
	ds_load_b32 v24, v11
	s_abs_i32 s24, s5
	s_delay_alu instid0(SALU_CYCLE_1) | instskip(SKIP_1) | instid1(VALU_DEP_1)
	v_cvt_f32_u32_e32 v23, s24
	s_sub_i32 s27, 0, s24
	v_rcp_iflag_f32_e32 v23, v23
	s_waitcnt_depctr 0xfff
	v_mul_f32_e32 v23, 0x4f7ffffe, v23
	s_waitcnt lgkmcnt(0)
	v_mov_b32_dpp v25, v24 quad_perm:[1,0,3,2] row_mask:0xf bank_mask:0xf
	s_delay_alu instid0(VALU_DEP_2) | instskip(NEXT) | instid1(VALU_DEP_2)
	v_cvt_u32_f32_e32 v23, v23
	v_cmp_gt_f32_e64 s2, v24, v25
	s_delay_alu instid0(VALU_DEP_2) | instskip(NEXT) | instid1(VALU_DEP_2)
	v_readfirstlane_b32 s25, v23
	v_cndmask_b32_e64 v23, v25, v24, s2
	s_delay_alu instid0(VALU_DEP_2) | instskip(NEXT) | instid1(VALU_DEP_1)
	s_mul_i32 s27, s27, s25
	v_mov_b32_dpp v24, v23 quad_perm:[2,3,0,1] row_mask:0xf bank_mask:0xf
	s_mul_hi_u32 s2, s25, s27
	s_delay_alu instid0(SALU_CYCLE_1)
	s_add_i32 s25, s25, s2
	s_ashr_i32 s2, s5, 31
	s_mul_hi_u32 s25, s23, s25
	s_xor_b32 s27, s35, s2
	v_cmp_gt_f32_e64 s2, v23, v24
	s_mul_i32 s28, s25, s24
	s_delay_alu instid0(VALU_DEP_1)
	v_cndmask_b32_e64 v23, v24, v23, s2
	s_sub_i32 s2, s23, s28
	s_add_i32 s23, s25, 1
	s_sub_i32 s28, s2, s24
	s_cmp_ge_u32 s2, s24
	v_mov_b32_dpp v24, v23 row_xmask:7 row_mask:0xf bank_mask:0xf
	s_cselect_b32 s23, s23, s25
	s_cselect_b32 s2, s28, s2
	s_add_i32 s25, s23, 1
	s_cmp_ge_u32 s2, s24
	s_cselect_b32 s2, s25, s23
	s_delay_alu instid0(SALU_CYCLE_1) | instskip(SKIP_1) | instid1(VALU_DEP_1)
	s_xor_b32 s23, s2, s27
	v_cmp_gt_f32_e64 s2, v23, v24
	v_cndmask_b32_e64 v23, v24, v23, s2
	s_sub_i32 s2, s23, s27
	s_delay_alu instid0(SALU_CYCLE_1) | instskip(SKIP_4) | instid1(SALU_CYCLE_1)
	s_mul_i32 s23, s2, s5
	s_mul_i32 s2, s2, s9
	s_sub_i32 s23, s34, s23
	v_mul_f32_e32 v23, 0x3c010204, v23
	s_mul_i32 s23, s23, s10
	s_add_i32 s24, s23, s2
	s_and_saveexec_b32 s2, s0
	s_cbranch_execz .LBB99_18
; %bb.17:
	s_ashr_i32 s25, s24, 31
	v_mov_b32_e32 v24, 0
	s_lshl_b64 s[28:29], s[24:25], 2
	s_delay_alu instid0(SALU_CYCLE_1)
	s_add_u32 s28, s14, s28
	s_addc_u32 s29, s15, s29
	global_store_b32 v24, v23, s[28:29]
.LBB99_18:
	s_or_b32 exec_lo, exec_lo, s2
	s_and_saveexec_b32 s2, s1
	s_cbranch_execz .LBB99_20
; %bb.19:
	v_rcp_f32_e32 v23, v23
	s_mul_i32 s23, s24, s42
	s_mul_hi_i32 s24, s24, s42
	s_add_u32 s36, s12, s23
	s_addc_u32 s23, s13, s24
	s_mov_b32 s39, -1
	s_and_b32 s37, s23, 0xffff
	s_waitcnt_depctr 0xfff
	v_mul_f32_e32 v17, v17, v23
	v_mul_f32_e32 v18, v18, v23
	;; [unrolled: 1-line block ×5, first 2 shown]
	v_cvt_i32_f32_e32 v17, v17
	v_cvt_i32_f32_e32 v18, v18
	v_mul_f32_e32 v22, v22, v23
	v_cvt_i32_f32_e32 v15, v15
	v_cvt_i32_f32_e32 v16, v16
	v_and_b32_e32 v17, 0xff, v17
	v_lshlrev_b16 v18, 8, v18
	v_mul_f32_e32 v20, v20, v23
	v_and_b32_e32 v15, 0xff, v15
	v_lshlrev_b16 v16, 8, v16
	v_cvt_i32_f32_e32 v22, v22
	v_or_b32_e32 v17, v17, v18
	v_mul_f32_e32 v21, v21, v23
	v_cvt_i32_f32_e32 v20, v20
	v_cvt_i32_f32_e32 v19, v19
	v_or_b32_e32 v15, v15, v16
	v_and_b32_e32 v16, 0xffff, v17
	v_cvt_i32_f32_e32 v21, v21
	v_lshlrev_b16 v20, 8, v20
	v_and_b32_e32 v19, 0xff, v19
	v_lshlrev_b16 v22, 8, v22
	v_lshlrev_b32_e32 v15, 16, v15
	v_and_b32_e32 v21, 0xff, v21
	s_delay_alu instid0(VALU_DEP_4) | instskip(NEXT) | instid1(VALU_DEP_2)
	v_or_b32_e32 v18, v19, v20
	v_or_b32_e32 v19, v21, v22
	s_delay_alu instid0(VALU_DEP_2) | instskip(NEXT) | instid1(VALU_DEP_2)
	v_lshlrev_b32_e32 v17, 16, v18
	v_and_b32_e32 v18, 0xffff, v19
	s_delay_alu instid0(VALU_DEP_2) | instskip(NEXT) | instid1(VALU_DEP_2)
	v_or_b32_e32 v16, v16, v17
	v_or_b32_e32 v15, v18, v15
	buffer_store_b64 v[15:16], v13, s[36:39], 0 offen
	;;#ASMSTART
	s_nop 0
	;;#ASMEND
.LBB99_20:
	s_or_b32 exec_lo, exec_lo, s2
	s_cmp_eq_u32 s4, 1
	s_mov_b32 s35, 1
	s_cbranch_scc1 .LBB99_35
.LBB99_21:
	s_abs_i32 s43, s5
	s_ashr_i32 s44, s5, 31
	v_cvt_f32_u32_e32 v15, s43
	s_sub_i32 s23, 0, s43
	s_mov_b32 s31, -1
	s_mov_b32 s46, 0x76543210
	v_add_nc_u32_e32 v14, 4, v14
	v_rcp_iflag_f32_e32 v15, v15
	s_waitcnt_depctr 0xfff
	v_mul_f32_e32 v15, 0x4f7ffffe, v15
	s_delay_alu instid0(VALU_DEP_1) | instskip(NEXT) | instid1(VALU_DEP_1)
	v_cvt_u32_f32_e32 v15, v15
	v_readfirstlane_b32 s2, v15
	v_mov_b32_e32 v15, 0
	s_delay_alu instid0(VALU_DEP_2) | instskip(NEXT) | instid1(SALU_CYCLE_1)
	s_mul_i32 s23, s23, s2
	s_mul_hi_u32 s23, s2, s23
	s_delay_alu instid0(SALU_CYCLE_1)
	s_add_i32 s45, s2, s23
	s_branch .LBB99_24
.LBB99_22:                              ;   in Loop: Header=BB99_24 Depth=1
	s_or_b32 exec_lo, exec_lo, s2
.LBB99_23:                              ;   in Loop: Header=BB99_24 Depth=1
	v_add_nc_u32_e32 v14, 4, v14
	s_add_i32 s35, s35, 1
	s_delay_alu instid0(SALU_CYCLE_1)
	s_cmp_eq_u32 s4, s35
	s_cbranch_scc1 .LBB99_35
.LBB99_24:                              ; =>This Inner Loop Header: Depth=1
	s_and_b32 s2, s35, 31
	s_delay_alu instid0(SALU_CYCLE_1)
	s_cmp_lg_u32 s2, 0
	s_cbranch_scc1 .LBB99_26
; %bb.25:                               ;   in Loop: Header=BB99_24 Depth=1
	s_mov_b32 s23, s31
	buffer_load_b32 v12, v14, s[20:23], 0 offen
	s_waitcnt vmcnt(0) expcnt(0) lgkmcnt(55)
	v_lshlrev_b32_e32 v12, 2, v12
	ds_load_b32 v12, v12
.LBB99_26:                              ;   in Loop: Header=BB99_24 Depth=1
	s_waitcnt lgkmcnt(0)
	v_readlane_b32 s2, v12, s2
	s_delay_alu instid0(VALU_DEP_1)
	s_cmp_lt_i32 s2, 0
	s_cbranch_scc1 .LBB99_23
; %bb.27:                               ;   in Loop: Header=BB99_24 Depth=1
	s_add_i32 s23, s34, s35
	s_delay_alu instid0(SALU_CYCLE_1)
	s_abs_i32 s36, s23
	s_ashr_i32 s37, s23, 31
	s_mul_hi_u32 s24, s36, s41
	s_xor_b32 s27, s37, s40
	s_mul_i32 s25, s24, s11
	s_add_i32 s28, s24, 1
	s_sub_i32 s25, s36, s25
	s_delay_alu instid0(SALU_CYCLE_1)
	s_sub_i32 s29, s25, s11
	s_cmp_ge_u32 s25, s11
	s_cselect_b32 s24, s28, s24
	s_cselect_b32 s25, s29, s25
	s_add_i32 s28, s24, 1
	s_cmp_ge_u32 s25, s11
	s_cselect_b32 s24, s28, s24
	s_delay_alu instid0(SALU_CYCLE_1) | instskip(NEXT) | instid1(SALU_CYCLE_1)
	s_xor_b32 s24, s24, s27
	s_sub_i32 s24, s24, s27
	s_delay_alu instid0(SALU_CYCLE_1) | instskip(SKIP_2) | instid1(SALU_CYCLE_1)
	s_mul_i32 s25, s24, s6
	s_mul_i32 s24, s24, s7
	s_sub_i32 s25, s23, s25
	s_mul_i32 s28, s25, s8
	s_delay_alu instid0(SALU_CYCLE_1) | instskip(NEXT) | instid1(SALU_CYCLE_1)
	s_add_i32 s28, s28, s24
	s_cmp_eq_u32 s28, s33
	s_cbranch_scc1 .LBB99_29
; %bb.28:                               ;   in Loop: Header=BB99_24 Depth=1
	s_mul_hi_i32 s25, s28, s42
	s_mul_i32 s24, s28, s42
	s_mov_b32 s27, s31
	s_lshl_b64 s[24:25], s[24:25], 1
	s_mov_b32 s33, s28
	s_add_u32 s24, s16, s24
	s_addc_u32 s25, s17, s25
	s_delay_alu instid0(SALU_CYCLE_1)
	s_and_b32 s25, s25, 0xffff
	buffer_load_b128 v[0:3], v8, s[24:27], 0 offen
	s_waitcnt vmcnt(0)
	v_lshrrev_b32_e32 v4, 16, v0
	v_and_b32_e32 v0, 0xffff, v0
	v_lshrrev_b32_e32 v5, 16, v1
	v_and_b32_e32 v6, 0xffff, v1
	;; [unrolled: 2-line block ×4, first 2 shown]
	v_cvt_f32_u32_e32 v1, v4
	v_cvt_f32_u32_e32 v0, v0
	;; [unrolled: 1-line block ×8, first 2 shown]
.LBB99_29:                              ;   in Loop: Header=BB99_24 Depth=1
	s_mul_i32 s24, s2, s3
	s_delay_alu instid0(SALU_CYCLE_1) | instskip(NEXT) | instid1(SALU_CYCLE_1)
	s_ashr_i32 s25, s24, 31
	s_lshl_b64 s[24:25], s[24:25], 2
	s_delay_alu instid0(SALU_CYCLE_1) | instskip(SKIP_1) | instid1(SALU_CYCLE_1)
	s_add_u32 s28, s18, s24
	s_addc_u32 s2, s19, s25
	s_and_b32 s29, s2, 0xffff
	s_clause 0x1
	buffer_load_b128 v[16:19], v9, s[28:31], 0 offen
	buffer_load_b128 v[24:27], v9, s[28:31], 16 offen
	s_waitcnt vmcnt(1)
	v_dual_mul_f32 v22, v0, v16 :: v_dual_mul_f32 v23, v1, v17
	v_dual_mul_f32 v16, v2, v18 :: v_dual_mul_f32 v17, v3, v19
	s_waitcnt vmcnt(0)
	v_dual_mul_f32 v18, v4, v24 :: v_dual_mul_f32 v19, v5, v25
	s_delay_alu instid0(VALU_DEP_3) | instskip(SKIP_1) | instid1(VALU_DEP_2)
	v_max3_f32 v20, |v22|, 0x2edbe6ff, |v23|
	v_mul_f32_e32 v21, v7, v27
	v_max3_f32 v24, v20, |v16|, |v17|
	v_mul_f32_e32 v20, v6, v26
	s_delay_alu instid0(VALU_DEP_2) | instskip(NEXT) | instid1(VALU_DEP_1)
	v_max3_f32 v24, v24, |v18|, |v19|
	v_max3_f32 v24, v24, |v20|, |v21|
	s_delay_alu instid0(VALU_DEP_1) | instskip(NEXT) | instid1(VALU_DEP_1)
	v_mov_b32_dpp v25, v24 quad_perm:[1,0,3,2] row_mask:0xf bank_mask:0xf
	v_cmp_gt_f32_e64 s2, v24, v25
	s_delay_alu instid0(VALU_DEP_1) | instskip(NEXT) | instid1(VALU_DEP_1)
	v_cndmask_b32_e64 v24, v25, v24, s2
	v_mov_b32_dpp v25, v24 quad_perm:[2,3,0,1] row_mask:0xf bank_mask:0xf
	s_delay_alu instid0(VALU_DEP_1) | instskip(NEXT) | instid1(VALU_DEP_1)
	v_cmp_gt_f32_e64 s2, v24, v25
	v_cndmask_b32_e64 v24, v25, v24, s2
	s_delay_alu instid0(VALU_DEP_1) | instskip(NEXT) | instid1(VALU_DEP_1)
	v_mov_b32_dpp v25, v24 row_xmask:7 row_mask:0xf bank_mask:0xf
	v_cmp_gt_f32_e64 s2, v24, v25
	s_delay_alu instid0(VALU_DEP_1) | instskip(NEXT) | instid1(VALU_DEP_1)
	v_cndmask_b32_e64 v24, v25, v24, s2
	v_mov_b32_dpp v25, v24 row_xmask:15 row_mask:0xf bank_mask:0xf
	s_delay_alu instid0(VALU_DEP_1)
	v_cmp_gt_f32_e64 s2, v24, v25
	s_and_saveexec_b32 s24, vcc_lo
	s_cbranch_execz .LBB99_31
; %bb.30:                               ;   in Loop: Header=BB99_24 Depth=1
	s_delay_alu instid0(VALU_DEP_1) | instskip(NEXT) | instid1(VALU_DEP_1)
	v_cndmask_b32_e64 v24, v25, v24, s2
	v_permlanex16_b32 v25, v24, s46, 0xfedcba98 op_sel:[1,1]
	s_delay_alu instid0(VALU_DEP_1) | instskip(NEXT) | instid1(VALU_DEP_1)
	v_cmp_gt_f32_e64 s2, v24, v25
	v_cndmask_b32_e64 v24, v25, v24, s2
	ds_store_b32 v10, v24
.LBB99_31:                              ;   in Loop: Header=BB99_24 Depth=1
	s_or_b32 exec_lo, exec_lo, s24
	s_waitcnt lgkmcnt(0)
	s_waitcnt_vscnt null, 0x0
	s_barrier
	buffer_gl0_inv
	ds_load_b32 v24, v11
	s_mul_hi_u32 s24, s36, s45
	s_xor_b32 s27, s37, s44
	s_mul_i32 s25, s24, s43
	s_waitcnt lgkmcnt(0)
	v_mov_b32_dpp v25, v24 quad_perm:[1,0,3,2] row_mask:0xf bank_mask:0xf
	s_delay_alu instid0(VALU_DEP_1) | instskip(NEXT) | instid1(VALU_DEP_1)
	v_cmp_gt_f32_e64 s2, v24, v25
	v_cndmask_b32_e64 v24, v25, v24, s2
	s_sub_i32 s2, s36, s25
	s_add_i32 s25, s24, 1
	s_sub_i32 s28, s2, s43
	s_cmp_ge_u32 s2, s43
	v_mov_b32_dpp v25, v24 quad_perm:[2,3,0,1] row_mask:0xf bank_mask:0xf
	s_cselect_b32 s24, s25, s24
	s_cselect_b32 s25, s28, s2
	s_delay_alu instid0(VALU_DEP_1) | instskip(NEXT) | instid1(VALU_DEP_1)
	v_cmp_gt_f32_e64 s2, v24, v25
	v_cndmask_b32_e64 v24, v25, v24, s2
	s_add_i32 s2, s24, 1
	s_cmp_ge_u32 s25, s43
	s_cselect_b32 s2, s2, s24
	s_delay_alu instid0(VALU_DEP_1) | instskip(SKIP_1) | instid1(SALU_CYCLE_1)
	v_mov_b32_dpp v25, v24 row_xmask:7 row_mask:0xf bank_mask:0xf
	s_xor_b32 s2, s2, s27
	s_sub_i32 s24, s2, s27
	s_delay_alu instid0(VALU_DEP_1) | instskip(NEXT) | instid1(VALU_DEP_1)
	v_cmp_gt_f32_e64 s2, v24, v25
	v_cndmask_b32_e64 v24, v25, v24, s2
	s_mul_i32 s2, s24, s5
	s_mul_i32 s24, s24, s9
	s_sub_i32 s2, s23, s2
	s_delay_alu instid0(VALU_DEP_1) | instskip(SKIP_1) | instid1(SALU_CYCLE_1)
	v_mul_f32_e32 v24, 0x3c010204, v24
	s_mul_i32 s2, s2, s10
	s_add_i32 s24, s2, s24
	s_and_saveexec_b32 s2, s0
	s_cbranch_execz .LBB99_33
; %bb.32:                               ;   in Loop: Header=BB99_24 Depth=1
	s_ashr_i32 s25, s24, 31
	s_delay_alu instid0(SALU_CYCLE_1) | instskip(NEXT) | instid1(SALU_CYCLE_1)
	s_lshl_b64 s[28:29], s[24:25], 2
	s_add_u32 s28, s14, s28
	s_addc_u32 s29, s15, s29
	global_store_b32 v15, v24, s[28:29]
.LBB99_33:                              ;   in Loop: Header=BB99_24 Depth=1
	s_or_b32 exec_lo, exec_lo, s2
	s_and_saveexec_b32 s2, s1
	s_cbranch_execz .LBB99_22
; %bb.34:                               ;   in Loop: Header=BB99_24 Depth=1
	v_rcp_f32_e32 v24, v24
	s_mul_i32 s23, s24, s42
	s_mul_hi_i32 s24, s24, s42
	s_add_u32 s36, s12, s23
	s_addc_u32 s23, s13, s24
	s_mov_b32 s39, s31
	s_and_b32 s37, s23, 0xffff
	s_waitcnt_depctr 0xfff
	v_mul_f32_e32 v18, v18, v24
	v_mul_f32_e32 v19, v19, v24
	;; [unrolled: 1-line block ×5, first 2 shown]
	v_cvt_i32_f32_e32 v18, v18
	v_cvt_i32_f32_e32 v19, v19
	v_mul_f32_e32 v23, v23, v24
	v_cvt_i32_f32_e32 v16, v16
	v_cvt_i32_f32_e32 v17, v17
	v_and_b32_e32 v18, 0xff, v18
	v_lshlrev_b16 v19, 8, v19
	v_mul_f32_e32 v21, v21, v24
	v_and_b32_e32 v16, 0xff, v16
	v_lshlrev_b16 v17, 8, v17
	v_cvt_i32_f32_e32 v23, v23
	v_or_b32_e32 v18, v18, v19
	v_mul_f32_e32 v22, v22, v24
	v_cvt_i32_f32_e32 v21, v21
	v_cvt_i32_f32_e32 v20, v20
	v_or_b32_e32 v16, v16, v17
	v_and_b32_e32 v17, 0xffff, v18
	v_cvt_i32_f32_e32 v22, v22
	v_lshlrev_b16 v21, 8, v21
	v_and_b32_e32 v20, 0xff, v20
	v_lshlrev_b16 v23, 8, v23
	v_lshlrev_b32_e32 v16, 16, v16
	v_and_b32_e32 v22, 0xff, v22
	s_delay_alu instid0(VALU_DEP_4) | instskip(NEXT) | instid1(VALU_DEP_2)
	v_or_b32_e32 v19, v20, v21
	v_or_b32_e32 v20, v22, v23
	s_delay_alu instid0(VALU_DEP_2) | instskip(NEXT) | instid1(VALU_DEP_2)
	v_lshlrev_b32_e32 v18, 16, v19
	v_and_b32_e32 v19, 0xffff, v20
	s_delay_alu instid0(VALU_DEP_2) | instskip(NEXT) | instid1(VALU_DEP_2)
	v_or_b32_e32 v17, v17, v18
	v_or_b32_e32 v16, v19, v16
	buffer_store_b64 v[16:17], v13, s[36:39], 0 offen
	;;#ASMSTART
	s_nop 0
	;;#ASMEND
	s_branch .LBB99_22
.LBB99_35:
	s_nop 0
	s_sendmsg sendmsg(MSG_DEALLOC_VGPRS)
	s_endpgm
	.section	.rodata,"a",@progbits
	.p2align	6, 0x0
	.amdhsa_kernel _ZN5aiter36smooth_per_token_scaled_quant_kernelItaLi256ELi8ELb1ELb1ELb1ELi1024EEEvPT0_PfPT_S3_PiS6_iiPKiiiiiiiii
		.amdhsa_group_segment_fixed_size 4128
		.amdhsa_private_segment_fixed_size 0
		.amdhsa_kernarg_size 96
		.amdhsa_user_sgpr_count 15
		.amdhsa_user_sgpr_dispatch_ptr 0
		.amdhsa_user_sgpr_queue_ptr 0
		.amdhsa_user_sgpr_kernarg_segment_ptr 1
		.amdhsa_user_sgpr_dispatch_id 0
		.amdhsa_user_sgpr_private_segment_size 0
		.amdhsa_wavefront_size32 1
		.amdhsa_uses_dynamic_stack 0
		.amdhsa_enable_private_segment 0
		.amdhsa_system_sgpr_workgroup_id_x 1
		.amdhsa_system_sgpr_workgroup_id_y 0
		.amdhsa_system_sgpr_workgroup_id_z 0
		.amdhsa_system_sgpr_workgroup_info 0
		.amdhsa_system_vgpr_workitem_id 0
		.amdhsa_next_free_vgpr 28
		.amdhsa_next_free_sgpr 47
		.amdhsa_reserve_vcc 1
		.amdhsa_float_round_mode_32 0
		.amdhsa_float_round_mode_16_64 0
		.amdhsa_float_denorm_mode_32 3
		.amdhsa_float_denorm_mode_16_64 3
		.amdhsa_dx10_clamp 1
		.amdhsa_ieee_mode 1
		.amdhsa_fp16_overflow 0
		.amdhsa_workgroup_processor_mode 1
		.amdhsa_memory_ordered 1
		.amdhsa_forward_progress 0
		.amdhsa_shared_vgpr_count 0
		.amdhsa_exception_fp_ieee_invalid_op 0
		.amdhsa_exception_fp_denorm_src 0
		.amdhsa_exception_fp_ieee_div_zero 0
		.amdhsa_exception_fp_ieee_overflow 0
		.amdhsa_exception_fp_ieee_underflow 0
		.amdhsa_exception_fp_ieee_inexact 0
		.amdhsa_exception_int_div_zero 0
	.end_amdhsa_kernel
	.section	.text._ZN5aiter36smooth_per_token_scaled_quant_kernelItaLi256ELi8ELb1ELb1ELb1ELi1024EEEvPT0_PfPT_S3_PiS6_iiPKiiiiiiiii,"axG",@progbits,_ZN5aiter36smooth_per_token_scaled_quant_kernelItaLi256ELi8ELb1ELb1ELb1ELi1024EEEvPT0_PfPT_S3_PiS6_iiPKiiiiiiiii,comdat
.Lfunc_end99:
	.size	_ZN5aiter36smooth_per_token_scaled_quant_kernelItaLi256ELi8ELb1ELb1ELb1ELi1024EEEvPT0_PfPT_S3_PiS6_iiPKiiiiiiiii, .Lfunc_end99-_ZN5aiter36smooth_per_token_scaled_quant_kernelItaLi256ELi8ELb1ELb1ELb1ELi1024EEEvPT0_PfPT_S3_PiS6_iiPKiiiiiiiii
                                        ; -- End function
	.section	.AMDGPU.csdata,"",@progbits
; Kernel info:
; codeLenInByte = 3132
; NumSgprs: 49
; NumVgprs: 28
; ScratchSize: 0
; MemoryBound: 0
; FloatMode: 240
; IeeeMode: 1
; LDSByteSize: 4128 bytes/workgroup (compile time only)
; SGPRBlocks: 6
; VGPRBlocks: 3
; NumSGPRsForWavesPerEU: 49
; NumVGPRsForWavesPerEU: 28
; Occupancy: 16
; WaveLimiterHint : 0
; COMPUTE_PGM_RSRC2:SCRATCH_EN: 0
; COMPUTE_PGM_RSRC2:USER_SGPR: 15
; COMPUTE_PGM_RSRC2:TRAP_HANDLER: 0
; COMPUTE_PGM_RSRC2:TGID_X_EN: 1
; COMPUTE_PGM_RSRC2:TGID_Y_EN: 0
; COMPUTE_PGM_RSRC2:TGID_Z_EN: 0
; COMPUTE_PGM_RSRC2:TIDIG_COMP_CNT: 0
	.section	.text._ZN5aiter36smooth_per_token_scaled_quant_kernelIDF16_aLi256ELi8ELb1ELb1ELb0ELi1024EEEvPT0_PfPT_S3_PiS6_iiPKiiiiiiiii,"axG",@progbits,_ZN5aiter36smooth_per_token_scaled_quant_kernelIDF16_aLi256ELi8ELb1ELb1ELb0ELi1024EEEvPT0_PfPT_S3_PiS6_iiPKiiiiiiiii,comdat
	.protected	_ZN5aiter36smooth_per_token_scaled_quant_kernelIDF16_aLi256ELi8ELb1ELb1ELb0ELi1024EEEvPT0_PfPT_S3_PiS6_iiPKiiiiiiiii ; -- Begin function _ZN5aiter36smooth_per_token_scaled_quant_kernelIDF16_aLi256ELi8ELb1ELb1ELb0ELi1024EEEvPT0_PfPT_S3_PiS6_iiPKiiiiiiiii
	.globl	_ZN5aiter36smooth_per_token_scaled_quant_kernelIDF16_aLi256ELi8ELb1ELb1ELb0ELi1024EEEvPT0_PfPT_S3_PiS6_iiPKiiiiiiiii
	.p2align	8
	.type	_ZN5aiter36smooth_per_token_scaled_quant_kernelIDF16_aLi256ELi8ELb1ELb1ELb0ELi1024EEEvPT0_PfPT_S3_PiS6_iiPKiiiiiiiii,@function
_ZN5aiter36smooth_per_token_scaled_quant_kernelIDF16_aLi256ELi8ELb1ELb1ELb0ELi1024EEEvPT0_PfPT_S3_PiS6_iiPKiiiiiiiii: ; @_ZN5aiter36smooth_per_token_scaled_quant_kernelIDF16_aLi256ELi8ELb1ELb1ELb0ELi1024EEEvPT0_PfPT_S3_PiS6_iiPKiiiiiiiii
; %bb.0:
	s_clause 0x1
	s_load_b64 s[2:3], s[0:1], 0x38
	s_load_b256 s[4:11], s[0:1], 0x40
	s_waitcnt lgkmcnt(0)
	s_cmp_lg_u64 s[2:3], 0
	s_cbranch_scc0 .LBB100_11
; %bb.1:
	s_load_b32 s2, s[2:3], 0x0
	s_waitcnt lgkmcnt(0)
	s_mul_i32 s4, s2, s4
	s_cbranch_execnz .LBB100_3
.LBB100_2:
	s_mul_i32 s4, s6, s5
.LBB100_3:
	s_load_b64 s[2:3], s[0:1], 0x30
	s_abs_i32 s14, s4
	s_waitcnt lgkmcnt(0)
	s_abs_i32 s11, s2
	s_delay_alu instid0(SALU_CYCLE_1) | instskip(SKIP_1) | instid1(VALU_DEP_1)
	v_cvt_f32_u32_e32 v1, s11
	s_sub_i32 s13, 0, s11
	v_rcp_iflag_f32_e32 v1, v1
	s_waitcnt_depctr 0xfff
	v_mul_f32_e32 v1, 0x4f7ffffe, v1
	s_delay_alu instid0(VALU_DEP_1) | instskip(NEXT) | instid1(VALU_DEP_1)
	v_cvt_u32_f32_e32 v1, v1
	v_readfirstlane_b32 s12, v1
	s_delay_alu instid0(VALU_DEP_1) | instskip(NEXT) | instid1(SALU_CYCLE_1)
	s_mul_i32 s13, s13, s12
	s_mul_hi_u32 s13, s12, s13
	s_delay_alu instid0(SALU_CYCLE_1) | instskip(SKIP_4) | instid1(SALU_CYCLE_1)
	s_add_i32 s12, s12, s13
	s_xor_b32 s13, s4, s2
	s_mul_hi_u32 s12, s14, s12
	s_ashr_i32 s13, s13, 31
	s_mul_i32 s16, s12, s11
	s_sub_i32 s14, s14, s16
	s_add_i32 s16, s12, 1
	s_sub_i32 s17, s14, s11
	s_cmp_ge_u32 s14, s11
	s_cselect_b32 s12, s16, s12
	s_cselect_b32 s14, s17, s14
	s_add_i32 s16, s12, 1
	s_cmp_ge_u32 s14, s11
	s_cselect_b32 s11, s16, s12
	s_mov_b32 s12, 0
	s_xor_b32 s11, s11, s13
	s_delay_alu instid0(SALU_CYCLE_1) | instskip(NEXT) | instid1(SALU_CYCLE_1)
	s_sub_i32 s11, s11, s13
	s_mul_i32 s2, s11, s2
	s_delay_alu instid0(SALU_CYCLE_1) | instskip(NEXT) | instid1(SALU_CYCLE_1)
	s_sub_i32 s13, s4, s2
	s_cmp_lt_u32 s15, s13
	s_cselect_b32 s2, -1, 0
	s_add_i32 s4, s11, 1
	s_cmp_ge_u32 s15, s13
	s_cbranch_scc0 .LBB100_5
; %bb.4:
	s_sub_i32 s14, s15, s13
	s_mul_i32 s13, s13, s4
	s_mul_i32 s14, s14, s11
	s_delay_alu instid0(SALU_CYCLE_1)
	s_add_i32 s34, s14, s13
	s_and_not1_b32 vcc_lo, exec_lo, s12
	s_cbranch_vccz .LBB100_6
	s_branch .LBB100_7
.LBB100_5:
                                        ; implicit-def: $sgpr34
.LBB100_6:
	s_mul_i32 s34, s4, s15
.LBB100_7:
	v_cndmask_b32_e64 v1, 0, 1, s2
	s_delay_alu instid0(VALU_DEP_1) | instskip(NEXT) | instid1(VALU_DEP_1)
	v_readfirstlane_b32 s2, v1
	s_add_i32 s4, s11, s2
	s_delay_alu instid0(SALU_CYCLE_1)
	s_cmp_lt_i32 s4, 1
	s_cbranch_scc1 .LBB100_35
; %bb.8:
	s_load_b64 s[12:13], s[0:1], 0x20
	s_ashr_i32 s35, s34, 31
	v_and_b32_e32 v1, 31, v0
	s_lshl_b64 s[14:15], s[34:35], 2
	s_mov_b32 s40, -1
	v_lshrrev_b32_e32 v3, 3, v0
	s_mov_b32 s23, s40
	v_cmp_eq_u32_e32 vcc_lo, 31, v1
	v_and_b32_e32 v4, 7, v0
	v_lshlrev_b32_e32 v9, 4, v0
	v_lshlrev_b32_e32 v10, 5, v0
	v_and_b32_e32 v11, 0x7c, v3
	v_lshlrev_b32_e32 v13, 3, v0
	v_lshlrev_b32_e32 v12, 2, v4
	s_mov_b32 s33, s3
	s_waitcnt lgkmcnt(0)
	s_add_u32 s20, s12, s14
	s_addc_u32 s2, s13, s15
	s_abs_i32 s11, s6
	s_lshl_b32 s22, s4, 2
	v_cvt_f32_u32_e32 v2, s11
	s_and_b32 s21, s2, 0xffff
	s_load_b256 s[12:19], s[0:1], 0x0
	s_add_i32 s1, s3, 7
	v_cmp_eq_u32_e64 s0, 0, v0
	v_rcp_iflag_f32_e32 v2, v2
	v_lshlrev_b32_e32 v14, 2, v1
	s_ashr_i32 s2, s1, 31
	s_lshl_b32 s26, s3, 1
	s_lshr_b32 s2, s2, 29
	s_lshl_b32 s30, s3, 2
	s_add_i32 s1, s1, s2
	s_ashr_i32 s41, s6, 31
	s_ashr_i32 s1, s1, 3
	s_waitcnt_depctr 0xfff
	v_mul_f32_e32 v1, 0x4f7ffffe, v2
	buffer_load_b32 v8, v14, s[20:23], 0 offen
	s_add_i32 s23, s3, 3
	v_cmp_gt_u32_e64 s1, s1, v0
	s_ashr_i32 s2, s23, 31
	v_cvt_u32_f32_e32 v1, v1
	s_lshr_b32 s2, s2, 30
	s_waitcnt vmcnt(3) expcnt(0) lgkmcnt(55)
	s_add_i32 s23, s23, s2
	s_sub_i32 s2, 0, s11
	v_readfirstlane_b32 s42, v1
	s_and_b32 s38, s23, -4
	s_waitcnt vmcnt(0) lgkmcnt(0)
	s_barrier
	buffer_gl0_inv
	s_mul_i32 s23, s2, s42
	s_delay_alu instid0(SALU_CYCLE_1) | instskip(NEXT) | instid1(SALU_CYCLE_1)
	s_mul_hi_u32 s23, s42, s23
	s_add_i32 s42, s42, s23
	v_readlane_b32 s2, v8, 0
	s_delay_alu instid0(VALU_DEP_1)
	s_cmp_lt_i32 s2, 0
	s_cbranch_scc1 .LBB100_12
; %bb.9:
	s_abs_i32 s23, s34
	s_xor_b32 s27, s35, s41
	s_mul_hi_u32 s24, s23, s42
	s_mov_b32 s31, -1
	s_mul_i32 s25, s24, s11
	s_add_i32 s28, s24, 1
	s_sub_i32 s25, s23, s25
	s_delay_alu instid0(SALU_CYCLE_1)
	s_sub_i32 s29, s25, s11
	s_cmp_ge_u32 s25, s11
	s_cselect_b32 s24, s28, s24
	s_cselect_b32 s25, s29, s25
	s_add_i32 s28, s24, 1
	s_cmp_ge_u32 s25, s11
	s_cselect_b32 s24, s28, s24
	s_delay_alu instid0(SALU_CYCLE_1) | instskip(NEXT) | instid1(SALU_CYCLE_1)
	s_xor_b32 s24, s24, s27
	s_sub_i32 s24, s24, s27
	s_delay_alu instid0(SALU_CYCLE_1) | instskip(SKIP_2) | instid1(SALU_CYCLE_1)
	s_mul_i32 s25, s24, s6
	s_mul_i32 s24, s24, s7
	s_sub_i32 s25, s34, s25
	s_mul_i32 s25, s25, s8
	s_delay_alu instid0(SALU_CYCLE_1) | instskip(NEXT) | instid1(SALU_CYCLE_1)
	s_add_i32 s40, s25, s24
	s_cmp_eq_u32 s40, -1
	s_cbranch_scc1 .LBB100_13
; %bb.10:
	s_mul_hi_i32 s25, s40, s33
	s_mul_i32 s24, s40, s33
	s_mov_b32 s27, s31
	s_lshl_b64 s[24:25], s[24:25], 1
	s_delay_alu instid0(SALU_CYCLE_1) | instskip(SKIP_1) | instid1(SALU_CYCLE_1)
	s_add_u32 s24, s16, s24
	s_addc_u32 s25, s17, s25
	s_and_b32 s25, s25, 0xffff
	buffer_load_b128 v[3:6], v9, s[24:27], 0 offen
	s_waitcnt vmcnt(0)
	v_cvt_f32_f16_e32 v0, v3
	v_lshrrev_b32_e32 v1, 16, v3
	v_cvt_f32_f16_e32 v2, v4
	v_lshrrev_b32_e32 v3, 16, v4
	;; [unrolled: 2-line block ×3, first 2 shown]
	v_lshrrev_b32_e32 v7, 16, v6
	v_cvt_f32_f16_e32 v6, v6
	v_cvt_f32_f16_e32 v1, v1
	;; [unrolled: 1-line block ×5, first 2 shown]
	s_branch .LBB100_14
.LBB100_11:
                                        ; implicit-def: $sgpr4
	s_branch .LBB100_2
.LBB100_12:
                                        ; implicit-def: $vgpr0_vgpr1_vgpr2_vgpr3_vgpr4_vgpr5_vgpr6_vgpr7
	s_cmp_eq_u32 s4, 1
	s_mov_b32 s35, 1
	s_cbranch_scc0 .LBB100_21
	s_branch .LBB100_35
.LBB100_13:
                                        ; implicit-def: $vgpr0_vgpr1_vgpr2_vgpr3_vgpr4_vgpr5_vgpr6_vgpr7
.LBB100_14:
	s_mul_i32 s24, s2, s3
	s_delay_alu instid0(SALU_CYCLE_1) | instskip(NEXT) | instid1(SALU_CYCLE_1)
	s_ashr_i32 s25, s24, 31
	s_lshl_b64 s[24:25], s[24:25], 2
	s_delay_alu instid0(SALU_CYCLE_1) | instskip(SKIP_1) | instid1(SALU_CYCLE_1)
	s_add_u32 s28, s18, s24
	s_addc_u32 s2, s19, s25
	s_and_b32 s29, s2, 0xffff
	s_clause 0x1
	buffer_load_b128 v[15:18], v10, s[28:31], 0 offen
	buffer_load_b128 v[23:26], v10, s[28:31], 16 offen
	s_waitcnt vmcnt(1)
	v_dual_mul_f32 v21, v0, v15 :: v_dual_mul_f32 v22, v1, v16
	v_dual_mul_f32 v15, v2, v17 :: v_dual_mul_f32 v16, v3, v18
	s_waitcnt vmcnt(0)
	v_dual_mul_f32 v17, v4, v23 :: v_dual_mul_f32 v18, v5, v24
	s_delay_alu instid0(VALU_DEP_3) | instskip(SKIP_1) | instid1(VALU_DEP_2)
	v_max3_f32 v19, |v21|, 0x2edbe6ff, |v22|
	v_mul_f32_e32 v20, v7, v26
	v_max3_f32 v23, v19, |v15|, |v16|
	v_mul_f32_e32 v19, v6, v25
	s_delay_alu instid0(VALU_DEP_2) | instskip(NEXT) | instid1(VALU_DEP_1)
	v_max3_f32 v23, v23, |v17|, |v18|
	v_max3_f32 v23, v23, |v19|, |v20|
	s_delay_alu instid0(VALU_DEP_1) | instskip(NEXT) | instid1(VALU_DEP_1)
	v_mov_b32_dpp v24, v23 quad_perm:[1,0,3,2] row_mask:0xf bank_mask:0xf
	v_cmp_gt_f32_e64 s2, v23, v24
	s_delay_alu instid0(VALU_DEP_1) | instskip(NEXT) | instid1(VALU_DEP_1)
	v_cndmask_b32_e64 v23, v24, v23, s2
	v_mov_b32_dpp v24, v23 quad_perm:[2,3,0,1] row_mask:0xf bank_mask:0xf
	s_delay_alu instid0(VALU_DEP_1) | instskip(NEXT) | instid1(VALU_DEP_1)
	v_cmp_gt_f32_e64 s2, v23, v24
	v_cndmask_b32_e64 v23, v24, v23, s2
	s_delay_alu instid0(VALU_DEP_1) | instskip(NEXT) | instid1(VALU_DEP_1)
	v_mov_b32_dpp v24, v23 row_xmask:7 row_mask:0xf bank_mask:0xf
	v_cmp_gt_f32_e64 s2, v23, v24
	s_delay_alu instid0(VALU_DEP_1) | instskip(NEXT) | instid1(VALU_DEP_1)
	v_cndmask_b32_e64 v23, v24, v23, s2
	v_mov_b32_dpp v24, v23 row_xmask:15 row_mask:0xf bank_mask:0xf
	s_delay_alu instid0(VALU_DEP_1)
	v_cmp_gt_f32_e64 s2, v23, v24
	s_and_saveexec_b32 s24, vcc_lo
	s_cbranch_execz .LBB100_16
; %bb.15:
	s_delay_alu instid0(VALU_DEP_1)
	v_cndmask_b32_e64 v23, v24, v23, s2
	s_mov_b32 s2, 0x76543210
	s_delay_alu instid0(VALU_DEP_1) | instid1(SALU_CYCLE_1)
	v_permlanex16_b32 v24, v23, s2, 0xfedcba98 op_sel:[1,1]
	s_delay_alu instid0(VALU_DEP_1) | instskip(NEXT) | instid1(VALU_DEP_1)
	v_cmp_gt_f32_e64 s2, v23, v24
	v_cndmask_b32_e64 v23, v24, v23, s2
	ds_store_b32 v11, v23
.LBB100_16:
	s_or_b32 exec_lo, exec_lo, s24
	s_waitcnt lgkmcnt(0)
	s_barrier
	buffer_gl0_inv
	ds_load_b32 v24, v12
	s_abs_i32 s24, s5
	s_delay_alu instid0(SALU_CYCLE_1) | instskip(SKIP_1) | instid1(VALU_DEP_1)
	v_cvt_f32_u32_e32 v23, s24
	s_sub_i32 s27, 0, s24
	v_rcp_iflag_f32_e32 v23, v23
	s_waitcnt_depctr 0xfff
	v_mul_f32_e32 v23, 0x4f7ffffe, v23
	s_waitcnt lgkmcnt(0)
	v_mov_b32_dpp v25, v24 quad_perm:[1,0,3,2] row_mask:0xf bank_mask:0xf
	s_delay_alu instid0(VALU_DEP_2) | instskip(NEXT) | instid1(VALU_DEP_2)
	v_cvt_u32_f32_e32 v23, v23
	v_cmp_gt_f32_e64 s2, v24, v25
	s_delay_alu instid0(VALU_DEP_2) | instskip(NEXT) | instid1(VALU_DEP_2)
	v_readfirstlane_b32 s25, v23
	v_cndmask_b32_e64 v23, v25, v24, s2
	s_delay_alu instid0(VALU_DEP_2) | instskip(NEXT) | instid1(VALU_DEP_1)
	s_mul_i32 s27, s27, s25
	v_mov_b32_dpp v24, v23 quad_perm:[2,3,0,1] row_mask:0xf bank_mask:0xf
	s_mul_hi_u32 s2, s25, s27
	s_delay_alu instid0(SALU_CYCLE_1)
	s_add_i32 s25, s25, s2
	s_ashr_i32 s2, s5, 31
	s_mul_hi_u32 s25, s23, s25
	s_xor_b32 s27, s35, s2
	v_cmp_gt_f32_e64 s2, v23, v24
	s_mul_i32 s28, s25, s24
	s_delay_alu instid0(VALU_DEP_1)
	v_cndmask_b32_e64 v23, v24, v23, s2
	s_sub_i32 s2, s23, s28
	s_add_i32 s23, s25, 1
	s_sub_i32 s28, s2, s24
	s_cmp_ge_u32 s2, s24
	v_mov_b32_dpp v24, v23 row_xmask:7 row_mask:0xf bank_mask:0xf
	s_cselect_b32 s23, s23, s25
	s_cselect_b32 s2, s28, s2
	s_add_i32 s25, s23, 1
	s_cmp_ge_u32 s2, s24
	s_cselect_b32 s2, s25, s23
	s_delay_alu instid0(SALU_CYCLE_1) | instskip(SKIP_1) | instid1(VALU_DEP_1)
	s_xor_b32 s23, s2, s27
	v_cmp_gt_f32_e64 s2, v23, v24
	v_cndmask_b32_e64 v23, v24, v23, s2
	s_sub_i32 s2, s23, s27
	s_delay_alu instid0(SALU_CYCLE_1) | instskip(SKIP_4) | instid1(SALU_CYCLE_1)
	s_mul_i32 s23, s2, s5
	s_mul_i32 s2, s2, s9
	s_sub_i32 s23, s34, s23
	v_mul_f32_e32 v23, 0x3c010204, v23
	s_mul_i32 s23, s23, s10
	s_add_i32 s24, s23, s2
	s_and_saveexec_b32 s2, s0
	s_cbranch_execz .LBB100_18
; %bb.17:
	s_ashr_i32 s25, s24, 31
	v_mov_b32_e32 v24, 0
	s_lshl_b64 s[28:29], s[24:25], 2
	s_delay_alu instid0(SALU_CYCLE_1)
	s_add_u32 s28, s14, s28
	s_addc_u32 s29, s15, s29
	global_store_b32 v24, v23, s[28:29]
.LBB100_18:
	s_or_b32 exec_lo, exec_lo, s2
	s_and_saveexec_b32 s2, s1
	s_cbranch_execz .LBB100_20
; %bb.19:
	v_rcp_f32_e32 v23, v23
	s_mul_i32 s23, s24, s33
	s_mul_hi_i32 s24, s24, s33
	s_add_u32 s36, s12, s23
	s_addc_u32 s23, s13, s24
	s_mov_b32 s39, -1
	s_and_b32 s37, s23, 0xffff
	s_waitcnt_depctr 0xfff
	v_mul_f32_e32 v17, v17, v23
	v_mul_f32_e32 v18, v18, v23
	;; [unrolled: 1-line block ×5, first 2 shown]
	v_cvt_i32_f32_e32 v17, v17
	v_cvt_i32_f32_e32 v18, v18
	v_mul_f32_e32 v22, v22, v23
	v_cvt_i32_f32_e32 v15, v15
	v_cvt_i32_f32_e32 v16, v16
	v_and_b32_e32 v17, 0xff, v17
	v_lshlrev_b16 v18, 8, v18
	v_mul_f32_e32 v20, v20, v23
	v_and_b32_e32 v15, 0xff, v15
	v_lshlrev_b16 v16, 8, v16
	v_cvt_i32_f32_e32 v22, v22
	v_or_b32_e32 v17, v17, v18
	v_mul_f32_e32 v21, v21, v23
	v_cvt_i32_f32_e32 v20, v20
	v_cvt_i32_f32_e32 v19, v19
	v_or_b32_e32 v15, v15, v16
	v_and_b32_e32 v16, 0xffff, v17
	v_cvt_i32_f32_e32 v21, v21
	v_lshlrev_b16 v20, 8, v20
	v_and_b32_e32 v19, 0xff, v19
	v_lshlrev_b16 v22, 8, v22
	v_lshlrev_b32_e32 v15, 16, v15
	v_and_b32_e32 v21, 0xff, v21
	s_delay_alu instid0(VALU_DEP_4) | instskip(NEXT) | instid1(VALU_DEP_2)
	v_or_b32_e32 v18, v19, v20
	v_or_b32_e32 v19, v21, v22
	s_delay_alu instid0(VALU_DEP_2) | instskip(NEXT) | instid1(VALU_DEP_2)
	v_lshlrev_b32_e32 v17, 16, v18
	v_and_b32_e32 v18, 0xffff, v19
	s_delay_alu instid0(VALU_DEP_2) | instskip(NEXT) | instid1(VALU_DEP_2)
	v_or_b32_e32 v16, v16, v17
	v_or_b32_e32 v15, v18, v15
	buffer_store_b64 v[15:16], v13, s[36:39], 0 offen
	;;#ASMSTART
	s_nop 0
	;;#ASMEND
.LBB100_20:
	s_or_b32 exec_lo, exec_lo, s2
	s_cmp_eq_u32 s4, 1
	s_mov_b32 s35, 1
	s_cbranch_scc1 .LBB100_35
.LBB100_21:
	s_abs_i32 s43, s5
	s_ashr_i32 s44, s5, 31
	v_cvt_f32_u32_e32 v15, s43
	s_sub_i32 s23, 0, s43
	s_mov_b32 s31, -1
	s_mov_b32 s46, 0x76543210
	v_add_nc_u32_e32 v14, 4, v14
	v_rcp_iflag_f32_e32 v15, v15
	s_waitcnt_depctr 0xfff
	v_mul_f32_e32 v15, 0x4f7ffffe, v15
	s_delay_alu instid0(VALU_DEP_1) | instskip(NEXT) | instid1(VALU_DEP_1)
	v_cvt_u32_f32_e32 v15, v15
	v_readfirstlane_b32 s2, v15
	v_mov_b32_e32 v15, 0
	s_delay_alu instid0(VALU_DEP_2) | instskip(NEXT) | instid1(SALU_CYCLE_1)
	s_mul_i32 s23, s23, s2
	s_mul_hi_u32 s23, s2, s23
	s_delay_alu instid0(SALU_CYCLE_1)
	s_add_i32 s45, s2, s23
	s_branch .LBB100_24
.LBB100_22:                             ;   in Loop: Header=BB100_24 Depth=1
	s_or_b32 exec_lo, exec_lo, s2
.LBB100_23:                             ;   in Loop: Header=BB100_24 Depth=1
	v_add_nc_u32_e32 v14, 4, v14
	s_add_i32 s35, s35, 1
	s_delay_alu instid0(SALU_CYCLE_1)
	s_cmp_eq_u32 s4, s35
	s_cbranch_scc1 .LBB100_35
.LBB100_24:                             ; =>This Inner Loop Header: Depth=1
	s_and_b32 s2, s35, 31
	s_delay_alu instid0(SALU_CYCLE_1)
	s_cmp_lg_u32 s2, 0
	s_cbranch_scc1 .LBB100_26
; %bb.25:                               ;   in Loop: Header=BB100_24 Depth=1
	s_mov_b32 s23, s31
	buffer_load_b32 v8, v14, s[20:23], 0 offen
	s_waitcnt vmcnt(3) expcnt(0) lgkmcnt(55)
.LBB100_26:                             ;   in Loop: Header=BB100_24 Depth=1
	s_waitcnt vmcnt(0)
	v_readlane_b32 s2, v8, s2
	s_delay_alu instid0(VALU_DEP_1)
	s_cmp_lt_i32 s2, 0
	s_cbranch_scc1 .LBB100_23
; %bb.27:                               ;   in Loop: Header=BB100_24 Depth=1
	s_add_i32 s23, s34, s35
	s_delay_alu instid0(SALU_CYCLE_1)
	s_abs_i32 s36, s23
	s_ashr_i32 s37, s23, 31
	s_mul_hi_u32 s24, s36, s42
	s_xor_b32 s27, s37, s41
	s_mul_i32 s25, s24, s11
	s_add_i32 s28, s24, 1
	s_sub_i32 s25, s36, s25
	s_delay_alu instid0(SALU_CYCLE_1)
	s_sub_i32 s29, s25, s11
	s_cmp_ge_u32 s25, s11
	s_cselect_b32 s24, s28, s24
	s_cselect_b32 s25, s29, s25
	s_add_i32 s28, s24, 1
	s_cmp_ge_u32 s25, s11
	s_cselect_b32 s24, s28, s24
	s_delay_alu instid0(SALU_CYCLE_1) | instskip(NEXT) | instid1(SALU_CYCLE_1)
	s_xor_b32 s24, s24, s27
	s_sub_i32 s24, s24, s27
	s_delay_alu instid0(SALU_CYCLE_1) | instskip(SKIP_2) | instid1(SALU_CYCLE_1)
	s_mul_i32 s25, s24, s6
	s_mul_i32 s24, s24, s7
	s_sub_i32 s25, s23, s25
	s_mul_i32 s28, s25, s8
	s_delay_alu instid0(SALU_CYCLE_1) | instskip(NEXT) | instid1(SALU_CYCLE_1)
	s_add_i32 s28, s28, s24
	s_cmp_eq_u32 s28, s40
	s_cbranch_scc1 .LBB100_29
; %bb.28:                               ;   in Loop: Header=BB100_24 Depth=1
	s_mul_hi_i32 s25, s28, s33
	s_mul_i32 s24, s28, s33
	s_mov_b32 s27, s31
	s_lshl_b64 s[24:25], s[24:25], 1
	s_mov_b32 s40, s28
	s_add_u32 s24, s16, s24
	s_addc_u32 s25, s17, s25
	s_delay_alu instid0(SALU_CYCLE_1)
	s_and_b32 s25, s25, 0xffff
	buffer_load_b128 v[3:6], v9, s[24:27], 0 offen
	s_waitcnt vmcnt(0)
	v_cvt_f32_f16_e32 v0, v3
	v_lshrrev_b32_e32 v1, 16, v3
	v_cvt_f32_f16_e32 v2, v4
	v_lshrrev_b32_e32 v3, 16, v4
	;; [unrolled: 2-line block ×3, first 2 shown]
	v_lshrrev_b32_e32 v7, 16, v6
	v_cvt_f32_f16_e32 v6, v6
	v_cvt_f32_f16_e32 v1, v1
	;; [unrolled: 1-line block ×5, first 2 shown]
.LBB100_29:                             ;   in Loop: Header=BB100_24 Depth=1
	s_mul_i32 s24, s2, s3
	s_delay_alu instid0(SALU_CYCLE_1) | instskip(NEXT) | instid1(SALU_CYCLE_1)
	s_ashr_i32 s25, s24, 31
	s_lshl_b64 s[24:25], s[24:25], 2
	s_delay_alu instid0(SALU_CYCLE_1) | instskip(SKIP_1) | instid1(SALU_CYCLE_1)
	s_add_u32 s28, s18, s24
	s_addc_u32 s2, s19, s25
	s_and_b32 s29, s2, 0xffff
	s_clause 0x1
	buffer_load_b128 v[16:19], v10, s[28:31], 0 offen
	buffer_load_b128 v[24:27], v10, s[28:31], 16 offen
	s_waitcnt vmcnt(1)
	v_dual_mul_f32 v22, v0, v16 :: v_dual_mul_f32 v23, v1, v17
	v_dual_mul_f32 v16, v2, v18 :: v_dual_mul_f32 v17, v3, v19
	s_waitcnt vmcnt(0)
	v_dual_mul_f32 v18, v4, v24 :: v_dual_mul_f32 v19, v5, v25
	s_delay_alu instid0(VALU_DEP_3) | instskip(SKIP_1) | instid1(VALU_DEP_2)
	v_max3_f32 v20, |v22|, 0x2edbe6ff, |v23|
	v_mul_f32_e32 v21, v7, v27
	v_max3_f32 v24, v20, |v16|, |v17|
	v_mul_f32_e32 v20, v6, v26
	s_delay_alu instid0(VALU_DEP_2) | instskip(NEXT) | instid1(VALU_DEP_1)
	v_max3_f32 v24, v24, |v18|, |v19|
	v_max3_f32 v24, v24, |v20|, |v21|
	s_delay_alu instid0(VALU_DEP_1) | instskip(NEXT) | instid1(VALU_DEP_1)
	v_mov_b32_dpp v25, v24 quad_perm:[1,0,3,2] row_mask:0xf bank_mask:0xf
	v_cmp_gt_f32_e64 s2, v24, v25
	s_delay_alu instid0(VALU_DEP_1) | instskip(NEXT) | instid1(VALU_DEP_1)
	v_cndmask_b32_e64 v24, v25, v24, s2
	v_mov_b32_dpp v25, v24 quad_perm:[2,3,0,1] row_mask:0xf bank_mask:0xf
	s_delay_alu instid0(VALU_DEP_1) | instskip(NEXT) | instid1(VALU_DEP_1)
	v_cmp_gt_f32_e64 s2, v24, v25
	v_cndmask_b32_e64 v24, v25, v24, s2
	s_delay_alu instid0(VALU_DEP_1) | instskip(NEXT) | instid1(VALU_DEP_1)
	v_mov_b32_dpp v25, v24 row_xmask:7 row_mask:0xf bank_mask:0xf
	v_cmp_gt_f32_e64 s2, v24, v25
	s_delay_alu instid0(VALU_DEP_1) | instskip(NEXT) | instid1(VALU_DEP_1)
	v_cndmask_b32_e64 v24, v25, v24, s2
	v_mov_b32_dpp v25, v24 row_xmask:15 row_mask:0xf bank_mask:0xf
	s_delay_alu instid0(VALU_DEP_1)
	v_cmp_gt_f32_e64 s2, v24, v25
	s_and_saveexec_b32 s24, vcc_lo
	s_cbranch_execz .LBB100_31
; %bb.30:                               ;   in Loop: Header=BB100_24 Depth=1
	s_delay_alu instid0(VALU_DEP_1) | instskip(NEXT) | instid1(VALU_DEP_1)
	v_cndmask_b32_e64 v24, v25, v24, s2
	v_permlanex16_b32 v25, v24, s46, 0xfedcba98 op_sel:[1,1]
	s_delay_alu instid0(VALU_DEP_1) | instskip(NEXT) | instid1(VALU_DEP_1)
	v_cmp_gt_f32_e64 s2, v24, v25
	v_cndmask_b32_e64 v24, v25, v24, s2
	ds_store_b32 v11, v24
.LBB100_31:                             ;   in Loop: Header=BB100_24 Depth=1
	s_or_b32 exec_lo, exec_lo, s24
	s_waitcnt lgkmcnt(0)
	s_waitcnt_vscnt null, 0x0
	s_barrier
	buffer_gl0_inv
	ds_load_b32 v24, v12
	s_mul_hi_u32 s24, s36, s45
	s_xor_b32 s27, s37, s44
	s_mul_i32 s25, s24, s43
	s_waitcnt lgkmcnt(0)
	v_mov_b32_dpp v25, v24 quad_perm:[1,0,3,2] row_mask:0xf bank_mask:0xf
	s_delay_alu instid0(VALU_DEP_1) | instskip(NEXT) | instid1(VALU_DEP_1)
	v_cmp_gt_f32_e64 s2, v24, v25
	v_cndmask_b32_e64 v24, v25, v24, s2
	s_sub_i32 s2, s36, s25
	s_add_i32 s25, s24, 1
	s_sub_i32 s28, s2, s43
	s_cmp_ge_u32 s2, s43
	v_mov_b32_dpp v25, v24 quad_perm:[2,3,0,1] row_mask:0xf bank_mask:0xf
	s_cselect_b32 s24, s25, s24
	s_cselect_b32 s25, s28, s2
	s_delay_alu instid0(VALU_DEP_1) | instskip(NEXT) | instid1(VALU_DEP_1)
	v_cmp_gt_f32_e64 s2, v24, v25
	v_cndmask_b32_e64 v24, v25, v24, s2
	s_add_i32 s2, s24, 1
	s_cmp_ge_u32 s25, s43
	s_cselect_b32 s2, s2, s24
	s_delay_alu instid0(VALU_DEP_1) | instskip(SKIP_1) | instid1(SALU_CYCLE_1)
	v_mov_b32_dpp v25, v24 row_xmask:7 row_mask:0xf bank_mask:0xf
	s_xor_b32 s2, s2, s27
	s_sub_i32 s24, s2, s27
	s_delay_alu instid0(VALU_DEP_1) | instskip(NEXT) | instid1(VALU_DEP_1)
	v_cmp_gt_f32_e64 s2, v24, v25
	v_cndmask_b32_e64 v24, v25, v24, s2
	s_mul_i32 s2, s24, s5
	s_mul_i32 s24, s24, s9
	s_sub_i32 s2, s23, s2
	s_delay_alu instid0(VALU_DEP_1) | instskip(SKIP_1) | instid1(SALU_CYCLE_1)
	v_mul_f32_e32 v24, 0x3c010204, v24
	s_mul_i32 s2, s2, s10
	s_add_i32 s24, s2, s24
	s_and_saveexec_b32 s2, s0
	s_cbranch_execz .LBB100_33
; %bb.32:                               ;   in Loop: Header=BB100_24 Depth=1
	s_ashr_i32 s25, s24, 31
	s_delay_alu instid0(SALU_CYCLE_1) | instskip(NEXT) | instid1(SALU_CYCLE_1)
	s_lshl_b64 s[28:29], s[24:25], 2
	s_add_u32 s28, s14, s28
	s_addc_u32 s29, s15, s29
	global_store_b32 v15, v24, s[28:29]
.LBB100_33:                             ;   in Loop: Header=BB100_24 Depth=1
	s_or_b32 exec_lo, exec_lo, s2
	s_and_saveexec_b32 s2, s1
	s_cbranch_execz .LBB100_22
; %bb.34:                               ;   in Loop: Header=BB100_24 Depth=1
	v_rcp_f32_e32 v24, v24
	s_mul_i32 s23, s24, s33
	s_mul_hi_i32 s24, s24, s33
	s_add_u32 s36, s12, s23
	s_addc_u32 s23, s13, s24
	s_mov_b32 s39, s31
	s_and_b32 s37, s23, 0xffff
	s_waitcnt_depctr 0xfff
	v_mul_f32_e32 v18, v18, v24
	v_mul_f32_e32 v19, v19, v24
	;; [unrolled: 1-line block ×5, first 2 shown]
	v_cvt_i32_f32_e32 v18, v18
	v_cvt_i32_f32_e32 v19, v19
	v_mul_f32_e32 v23, v23, v24
	v_cvt_i32_f32_e32 v16, v16
	v_cvt_i32_f32_e32 v17, v17
	v_and_b32_e32 v18, 0xff, v18
	v_lshlrev_b16 v19, 8, v19
	v_mul_f32_e32 v21, v21, v24
	v_and_b32_e32 v16, 0xff, v16
	v_lshlrev_b16 v17, 8, v17
	v_cvt_i32_f32_e32 v23, v23
	v_or_b32_e32 v18, v18, v19
	v_mul_f32_e32 v22, v22, v24
	v_cvt_i32_f32_e32 v21, v21
	v_cvt_i32_f32_e32 v20, v20
	v_or_b32_e32 v16, v16, v17
	v_and_b32_e32 v17, 0xffff, v18
	v_cvt_i32_f32_e32 v22, v22
	v_lshlrev_b16 v21, 8, v21
	v_and_b32_e32 v20, 0xff, v20
	v_lshlrev_b16 v23, 8, v23
	v_lshlrev_b32_e32 v16, 16, v16
	v_and_b32_e32 v22, 0xff, v22
	s_delay_alu instid0(VALU_DEP_4) | instskip(NEXT) | instid1(VALU_DEP_2)
	v_or_b32_e32 v19, v20, v21
	v_or_b32_e32 v20, v22, v23
	s_delay_alu instid0(VALU_DEP_2) | instskip(NEXT) | instid1(VALU_DEP_2)
	v_lshlrev_b32_e32 v18, 16, v19
	v_and_b32_e32 v19, 0xffff, v20
	s_delay_alu instid0(VALU_DEP_2) | instskip(NEXT) | instid1(VALU_DEP_2)
	v_or_b32_e32 v17, v17, v18
	v_or_b32_e32 v16, v19, v16
	buffer_store_b64 v[16:17], v13, s[36:39], 0 offen
	;;#ASMSTART
	s_nop 0
	;;#ASMEND
	s_branch .LBB100_22
.LBB100_35:
	s_nop 0
	s_sendmsg sendmsg(MSG_DEALLOC_VGPRS)
	s_endpgm
	.section	.rodata,"a",@progbits
	.p2align	6, 0x0
	.amdhsa_kernel _ZN5aiter36smooth_per_token_scaled_quant_kernelIDF16_aLi256ELi8ELb1ELb1ELb0ELi1024EEEvPT0_PfPT_S3_PiS6_iiPKiiiiiiiii
		.amdhsa_group_segment_fixed_size 32
		.amdhsa_private_segment_fixed_size 0
		.amdhsa_kernarg_size 96
		.amdhsa_user_sgpr_count 15
		.amdhsa_user_sgpr_dispatch_ptr 0
		.amdhsa_user_sgpr_queue_ptr 0
		.amdhsa_user_sgpr_kernarg_segment_ptr 1
		.amdhsa_user_sgpr_dispatch_id 0
		.amdhsa_user_sgpr_private_segment_size 0
		.amdhsa_wavefront_size32 1
		.amdhsa_uses_dynamic_stack 0
		.amdhsa_enable_private_segment 0
		.amdhsa_system_sgpr_workgroup_id_x 1
		.amdhsa_system_sgpr_workgroup_id_y 0
		.amdhsa_system_sgpr_workgroup_id_z 0
		.amdhsa_system_sgpr_workgroup_info 0
		.amdhsa_system_vgpr_workitem_id 0
		.amdhsa_next_free_vgpr 28
		.amdhsa_next_free_sgpr 47
		.amdhsa_reserve_vcc 1
		.amdhsa_float_round_mode_32 0
		.amdhsa_float_round_mode_16_64 0
		.amdhsa_float_denorm_mode_32 3
		.amdhsa_float_denorm_mode_16_64 3
		.amdhsa_dx10_clamp 1
		.amdhsa_ieee_mode 1
		.amdhsa_fp16_overflow 0
		.amdhsa_workgroup_processor_mode 1
		.amdhsa_memory_ordered 1
		.amdhsa_forward_progress 0
		.amdhsa_shared_vgpr_count 0
		.amdhsa_exception_fp_ieee_invalid_op 0
		.amdhsa_exception_fp_denorm_src 0
		.amdhsa_exception_fp_ieee_div_zero 0
		.amdhsa_exception_fp_ieee_overflow 0
		.amdhsa_exception_fp_ieee_underflow 0
		.amdhsa_exception_fp_ieee_inexact 0
		.amdhsa_exception_int_div_zero 0
	.end_amdhsa_kernel
	.section	.text._ZN5aiter36smooth_per_token_scaled_quant_kernelIDF16_aLi256ELi8ELb1ELb1ELb0ELi1024EEEvPT0_PfPT_S3_PiS6_iiPKiiiiiiiii,"axG",@progbits,_ZN5aiter36smooth_per_token_scaled_quant_kernelIDF16_aLi256ELi8ELb1ELb1ELb0ELi1024EEEvPT0_PfPT_S3_PiS6_iiPKiiiiiiiii,comdat
.Lfunc_end100:
	.size	_ZN5aiter36smooth_per_token_scaled_quant_kernelIDF16_aLi256ELi8ELb1ELb1ELb0ELi1024EEEvPT0_PfPT_S3_PiS6_iiPKiiiiiiiii, .Lfunc_end100-_ZN5aiter36smooth_per_token_scaled_quant_kernelIDF16_aLi256ELi8ELb1ELb1ELb0ELi1024EEEvPT0_PfPT_S3_PiS6_iiPKiiiiiiiii
                                        ; -- End function
	.section	.AMDGPU.csdata,"",@progbits
; Kernel info:
; codeLenInByte = 2944
; NumSgprs: 49
; NumVgprs: 28
; ScratchSize: 0
; MemoryBound: 0
; FloatMode: 240
; IeeeMode: 1
; LDSByteSize: 32 bytes/workgroup (compile time only)
; SGPRBlocks: 6
; VGPRBlocks: 3
; NumSGPRsForWavesPerEU: 49
; NumVGPRsForWavesPerEU: 28
; Occupancy: 16
; WaveLimiterHint : 0
; COMPUTE_PGM_RSRC2:SCRATCH_EN: 0
; COMPUTE_PGM_RSRC2:USER_SGPR: 15
; COMPUTE_PGM_RSRC2:TRAP_HANDLER: 0
; COMPUTE_PGM_RSRC2:TGID_X_EN: 1
; COMPUTE_PGM_RSRC2:TGID_Y_EN: 0
; COMPUTE_PGM_RSRC2:TGID_Z_EN: 0
; COMPUTE_PGM_RSRC2:TIDIG_COMP_CNT: 0
	.section	.text._ZN5aiter36smooth_per_token_scaled_quant_kernelItaLi256ELi8ELb1ELb1ELb0ELi1024EEEvPT0_PfPT_S3_PiS6_iiPKiiiiiiiii,"axG",@progbits,_ZN5aiter36smooth_per_token_scaled_quant_kernelItaLi256ELi8ELb1ELb1ELb0ELi1024EEEvPT0_PfPT_S3_PiS6_iiPKiiiiiiiii,comdat
	.protected	_ZN5aiter36smooth_per_token_scaled_quant_kernelItaLi256ELi8ELb1ELb1ELb0ELi1024EEEvPT0_PfPT_S3_PiS6_iiPKiiiiiiiii ; -- Begin function _ZN5aiter36smooth_per_token_scaled_quant_kernelItaLi256ELi8ELb1ELb1ELb0ELi1024EEEvPT0_PfPT_S3_PiS6_iiPKiiiiiiiii
	.globl	_ZN5aiter36smooth_per_token_scaled_quant_kernelItaLi256ELi8ELb1ELb1ELb0ELi1024EEEvPT0_PfPT_S3_PiS6_iiPKiiiiiiiii
	.p2align	8
	.type	_ZN5aiter36smooth_per_token_scaled_quant_kernelItaLi256ELi8ELb1ELb1ELb0ELi1024EEEvPT0_PfPT_S3_PiS6_iiPKiiiiiiiii,@function
_ZN5aiter36smooth_per_token_scaled_quant_kernelItaLi256ELi8ELb1ELb1ELb0ELi1024EEEvPT0_PfPT_S3_PiS6_iiPKiiiiiiiii: ; @_ZN5aiter36smooth_per_token_scaled_quant_kernelItaLi256ELi8ELb1ELb1ELb0ELi1024EEEvPT0_PfPT_S3_PiS6_iiPKiiiiiiiii
; %bb.0:
	s_clause 0x1
	s_load_b64 s[2:3], s[0:1], 0x38
	s_load_b256 s[4:11], s[0:1], 0x40
	s_waitcnt lgkmcnt(0)
	s_cmp_lg_u64 s[2:3], 0
	s_cbranch_scc0 .LBB101_11
; %bb.1:
	s_load_b32 s2, s[2:3], 0x0
	s_waitcnt lgkmcnt(0)
	s_mul_i32 s4, s2, s4
	s_cbranch_execnz .LBB101_3
.LBB101_2:
	s_mul_i32 s4, s6, s5
.LBB101_3:
	s_load_b64 s[2:3], s[0:1], 0x30
	s_abs_i32 s14, s4
	s_waitcnt lgkmcnt(0)
	s_abs_i32 s11, s2
	s_delay_alu instid0(SALU_CYCLE_1) | instskip(SKIP_1) | instid1(VALU_DEP_1)
	v_cvt_f32_u32_e32 v1, s11
	s_sub_i32 s13, 0, s11
	v_rcp_iflag_f32_e32 v1, v1
	s_waitcnt_depctr 0xfff
	v_mul_f32_e32 v1, 0x4f7ffffe, v1
	s_delay_alu instid0(VALU_DEP_1) | instskip(NEXT) | instid1(VALU_DEP_1)
	v_cvt_u32_f32_e32 v1, v1
	v_readfirstlane_b32 s12, v1
	s_delay_alu instid0(VALU_DEP_1) | instskip(NEXT) | instid1(SALU_CYCLE_1)
	s_mul_i32 s13, s13, s12
	s_mul_hi_u32 s13, s12, s13
	s_delay_alu instid0(SALU_CYCLE_1) | instskip(SKIP_4) | instid1(SALU_CYCLE_1)
	s_add_i32 s12, s12, s13
	s_xor_b32 s13, s4, s2
	s_mul_hi_u32 s12, s14, s12
	s_ashr_i32 s13, s13, 31
	s_mul_i32 s16, s12, s11
	s_sub_i32 s14, s14, s16
	s_add_i32 s16, s12, 1
	s_sub_i32 s17, s14, s11
	s_cmp_ge_u32 s14, s11
	s_cselect_b32 s12, s16, s12
	s_cselect_b32 s14, s17, s14
	s_add_i32 s16, s12, 1
	s_cmp_ge_u32 s14, s11
	s_cselect_b32 s11, s16, s12
	s_mov_b32 s12, 0
	s_xor_b32 s11, s11, s13
	s_delay_alu instid0(SALU_CYCLE_1) | instskip(NEXT) | instid1(SALU_CYCLE_1)
	s_sub_i32 s11, s11, s13
	s_mul_i32 s2, s11, s2
	s_delay_alu instid0(SALU_CYCLE_1) | instskip(NEXT) | instid1(SALU_CYCLE_1)
	s_sub_i32 s13, s4, s2
	s_cmp_lt_u32 s15, s13
	s_cselect_b32 s2, -1, 0
	s_add_i32 s4, s11, 1
	s_cmp_ge_u32 s15, s13
	s_cbranch_scc0 .LBB101_5
; %bb.4:
	s_sub_i32 s14, s15, s13
	s_mul_i32 s13, s13, s4
	s_mul_i32 s14, s14, s11
	s_delay_alu instid0(SALU_CYCLE_1)
	s_add_i32 s34, s14, s13
	s_and_not1_b32 vcc_lo, exec_lo, s12
	s_cbranch_vccz .LBB101_6
	s_branch .LBB101_7
.LBB101_5:
                                        ; implicit-def: $sgpr34
.LBB101_6:
	s_mul_i32 s34, s4, s15
.LBB101_7:
	v_cndmask_b32_e64 v1, 0, 1, s2
	s_delay_alu instid0(VALU_DEP_1) | instskip(NEXT) | instid1(VALU_DEP_1)
	v_readfirstlane_b32 s2, v1
	s_add_i32 s4, s11, s2
	s_delay_alu instid0(SALU_CYCLE_1)
	s_cmp_lt_i32 s4, 1
	s_cbranch_scc1 .LBB101_35
; %bb.8:
	s_load_b64 s[12:13], s[0:1], 0x20
	s_ashr_i32 s35, s34, 31
	v_and_b32_e32 v1, 31, v0
	s_lshl_b64 s[14:15], s[34:35], 2
	s_mov_b32 s40, -1
	v_lshrrev_b32_e32 v3, 3, v0
	s_mov_b32 s23, s40
	v_cmp_eq_u32_e32 vcc_lo, 31, v1
	v_and_b32_e32 v4, 7, v0
	v_lshlrev_b32_e32 v9, 4, v0
	v_lshlrev_b32_e32 v10, 5, v0
	v_and_b32_e32 v11, 0x7c, v3
	v_lshlrev_b32_e32 v13, 3, v0
	v_lshlrev_b32_e32 v12, 2, v4
	s_mov_b32 s33, s3
	s_waitcnt lgkmcnt(0)
	s_add_u32 s20, s12, s14
	s_addc_u32 s2, s13, s15
	s_abs_i32 s11, s6
	s_lshl_b32 s22, s4, 2
	v_cvt_f32_u32_e32 v2, s11
	s_and_b32 s21, s2, 0xffff
	s_load_b256 s[12:19], s[0:1], 0x0
	s_add_i32 s1, s3, 7
	v_cmp_eq_u32_e64 s0, 0, v0
	v_rcp_iflag_f32_e32 v2, v2
	v_lshlrev_b32_e32 v14, 2, v1
	s_ashr_i32 s2, s1, 31
	s_lshl_b32 s26, s3, 1
	s_lshr_b32 s2, s2, 29
	s_lshl_b32 s30, s3, 2
	s_add_i32 s1, s1, s2
	s_ashr_i32 s41, s6, 31
	s_ashr_i32 s1, s1, 3
	s_waitcnt_depctr 0xfff
	v_mul_f32_e32 v1, 0x4f7ffffe, v2
	buffer_load_b32 v8, v14, s[20:23], 0 offen
	s_add_i32 s23, s3, 3
	v_cmp_gt_u32_e64 s1, s1, v0
	s_ashr_i32 s2, s23, 31
	v_cvt_u32_f32_e32 v1, v1
	s_lshr_b32 s2, s2, 30
	s_waitcnt vmcnt(3) expcnt(0) lgkmcnt(55)
	s_add_i32 s23, s23, s2
	s_sub_i32 s2, 0, s11
	v_readfirstlane_b32 s42, v1
	s_and_b32 s38, s23, -4
	s_waitcnt vmcnt(0) lgkmcnt(0)
	s_barrier
	buffer_gl0_inv
	s_mul_i32 s23, s2, s42
	s_delay_alu instid0(SALU_CYCLE_1) | instskip(NEXT) | instid1(SALU_CYCLE_1)
	s_mul_hi_u32 s23, s42, s23
	s_add_i32 s42, s42, s23
	v_readlane_b32 s2, v8, 0
	s_delay_alu instid0(VALU_DEP_1)
	s_cmp_lt_i32 s2, 0
	s_cbranch_scc1 .LBB101_12
; %bb.9:
	s_abs_i32 s23, s34
	s_xor_b32 s27, s35, s41
	s_mul_hi_u32 s24, s23, s42
	s_mov_b32 s31, -1
	s_mul_i32 s25, s24, s11
	s_add_i32 s28, s24, 1
	s_sub_i32 s25, s23, s25
	s_delay_alu instid0(SALU_CYCLE_1)
	s_sub_i32 s29, s25, s11
	s_cmp_ge_u32 s25, s11
	s_cselect_b32 s24, s28, s24
	s_cselect_b32 s25, s29, s25
	s_add_i32 s28, s24, 1
	s_cmp_ge_u32 s25, s11
	s_cselect_b32 s24, s28, s24
	s_delay_alu instid0(SALU_CYCLE_1) | instskip(NEXT) | instid1(SALU_CYCLE_1)
	s_xor_b32 s24, s24, s27
	s_sub_i32 s24, s24, s27
	s_delay_alu instid0(SALU_CYCLE_1) | instskip(SKIP_2) | instid1(SALU_CYCLE_1)
	s_mul_i32 s25, s24, s6
	s_mul_i32 s24, s24, s7
	s_sub_i32 s25, s34, s25
	s_mul_i32 s25, s25, s8
	s_delay_alu instid0(SALU_CYCLE_1) | instskip(NEXT) | instid1(SALU_CYCLE_1)
	s_add_i32 s40, s25, s24
	s_cmp_eq_u32 s40, -1
	s_cbranch_scc1 .LBB101_13
; %bb.10:
	s_mul_hi_i32 s25, s40, s33
	s_mul_i32 s24, s40, s33
	s_mov_b32 s27, s31
	s_lshl_b64 s[24:25], s[24:25], 1
	s_delay_alu instid0(SALU_CYCLE_1) | instskip(SKIP_1) | instid1(SALU_CYCLE_1)
	s_add_u32 s24, s16, s24
	s_addc_u32 s25, s17, s25
	s_and_b32 s25, s25, 0xffff
	buffer_load_b128 v[0:3], v9, s[24:27], 0 offen
	s_waitcnt vmcnt(0)
	v_lshrrev_b32_e32 v4, 16, v0
	v_and_b32_e32 v0, 0xffff, v0
	v_lshrrev_b32_e32 v5, 16, v1
	v_and_b32_e32 v6, 0xffff, v1
	v_lshrrev_b32_e32 v7, 16, v2
	v_and_b32_e32 v15, 0xffff, v2
	v_lshrrev_b32_e32 v16, 16, v3
	v_and_b32_e32 v17, 0xffff, v3
	v_cvt_f32_u32_e32 v1, v4
	v_cvt_f32_u32_e32 v0, v0
	v_cvt_f32_u32_e32 v3, v5
	v_cvt_f32_u32_e32 v2, v6
	v_cvt_f32_u32_e32 v5, v7
	v_cvt_f32_u32_e32 v4, v15
	v_cvt_f32_u32_e32 v7, v16
	v_cvt_f32_u32_e32 v6, v17
	s_branch .LBB101_14
.LBB101_11:
                                        ; implicit-def: $sgpr4
	s_branch .LBB101_2
.LBB101_12:
                                        ; implicit-def: $vgpr0_vgpr1_vgpr2_vgpr3_vgpr4_vgpr5_vgpr6_vgpr7
	s_cmp_eq_u32 s4, 1
	s_mov_b32 s35, 1
	s_cbranch_scc0 .LBB101_21
	s_branch .LBB101_35
.LBB101_13:
                                        ; implicit-def: $vgpr0_vgpr1_vgpr2_vgpr3_vgpr4_vgpr5_vgpr6_vgpr7
.LBB101_14:
	s_mul_i32 s24, s2, s3
	s_delay_alu instid0(SALU_CYCLE_1) | instskip(NEXT) | instid1(SALU_CYCLE_1)
	s_ashr_i32 s25, s24, 31
	s_lshl_b64 s[24:25], s[24:25], 2
	s_delay_alu instid0(SALU_CYCLE_1) | instskip(SKIP_1) | instid1(SALU_CYCLE_1)
	s_add_u32 s28, s18, s24
	s_addc_u32 s2, s19, s25
	s_and_b32 s29, s2, 0xffff
	s_clause 0x1
	buffer_load_b128 v[15:18], v10, s[28:31], 0 offen
	buffer_load_b128 v[23:26], v10, s[28:31], 16 offen
	s_waitcnt vmcnt(1)
	v_dual_mul_f32 v21, v0, v15 :: v_dual_mul_f32 v22, v1, v16
	v_dual_mul_f32 v15, v2, v17 :: v_dual_mul_f32 v16, v3, v18
	s_waitcnt vmcnt(0)
	v_dual_mul_f32 v17, v4, v23 :: v_dual_mul_f32 v18, v5, v24
	s_delay_alu instid0(VALU_DEP_3) | instskip(SKIP_1) | instid1(VALU_DEP_2)
	v_max3_f32 v19, |v21|, 0x2edbe6ff, |v22|
	v_mul_f32_e32 v20, v7, v26
	v_max3_f32 v23, v19, |v15|, |v16|
	v_mul_f32_e32 v19, v6, v25
	s_delay_alu instid0(VALU_DEP_2) | instskip(NEXT) | instid1(VALU_DEP_1)
	v_max3_f32 v23, v23, |v17|, |v18|
	v_max3_f32 v23, v23, |v19|, |v20|
	s_delay_alu instid0(VALU_DEP_1) | instskip(NEXT) | instid1(VALU_DEP_1)
	v_mov_b32_dpp v24, v23 quad_perm:[1,0,3,2] row_mask:0xf bank_mask:0xf
	v_cmp_gt_f32_e64 s2, v23, v24
	s_delay_alu instid0(VALU_DEP_1) | instskip(NEXT) | instid1(VALU_DEP_1)
	v_cndmask_b32_e64 v23, v24, v23, s2
	v_mov_b32_dpp v24, v23 quad_perm:[2,3,0,1] row_mask:0xf bank_mask:0xf
	s_delay_alu instid0(VALU_DEP_1) | instskip(NEXT) | instid1(VALU_DEP_1)
	v_cmp_gt_f32_e64 s2, v23, v24
	v_cndmask_b32_e64 v23, v24, v23, s2
	s_delay_alu instid0(VALU_DEP_1) | instskip(NEXT) | instid1(VALU_DEP_1)
	v_mov_b32_dpp v24, v23 row_xmask:7 row_mask:0xf bank_mask:0xf
	v_cmp_gt_f32_e64 s2, v23, v24
	s_delay_alu instid0(VALU_DEP_1) | instskip(NEXT) | instid1(VALU_DEP_1)
	v_cndmask_b32_e64 v23, v24, v23, s2
	v_mov_b32_dpp v24, v23 row_xmask:15 row_mask:0xf bank_mask:0xf
	s_delay_alu instid0(VALU_DEP_1)
	v_cmp_gt_f32_e64 s2, v23, v24
	s_and_saveexec_b32 s24, vcc_lo
	s_cbranch_execz .LBB101_16
; %bb.15:
	s_delay_alu instid0(VALU_DEP_1)
	v_cndmask_b32_e64 v23, v24, v23, s2
	s_mov_b32 s2, 0x76543210
	s_delay_alu instid0(VALU_DEP_1) | instid1(SALU_CYCLE_1)
	v_permlanex16_b32 v24, v23, s2, 0xfedcba98 op_sel:[1,1]
	s_delay_alu instid0(VALU_DEP_1) | instskip(NEXT) | instid1(VALU_DEP_1)
	v_cmp_gt_f32_e64 s2, v23, v24
	v_cndmask_b32_e64 v23, v24, v23, s2
	ds_store_b32 v11, v23
.LBB101_16:
	s_or_b32 exec_lo, exec_lo, s24
	s_waitcnt lgkmcnt(0)
	s_barrier
	buffer_gl0_inv
	ds_load_b32 v24, v12
	s_abs_i32 s24, s5
	s_delay_alu instid0(SALU_CYCLE_1) | instskip(SKIP_1) | instid1(VALU_DEP_1)
	v_cvt_f32_u32_e32 v23, s24
	s_sub_i32 s27, 0, s24
	v_rcp_iflag_f32_e32 v23, v23
	s_waitcnt_depctr 0xfff
	v_mul_f32_e32 v23, 0x4f7ffffe, v23
	s_waitcnt lgkmcnt(0)
	v_mov_b32_dpp v25, v24 quad_perm:[1,0,3,2] row_mask:0xf bank_mask:0xf
	s_delay_alu instid0(VALU_DEP_2) | instskip(NEXT) | instid1(VALU_DEP_2)
	v_cvt_u32_f32_e32 v23, v23
	v_cmp_gt_f32_e64 s2, v24, v25
	s_delay_alu instid0(VALU_DEP_2) | instskip(NEXT) | instid1(VALU_DEP_2)
	v_readfirstlane_b32 s25, v23
	v_cndmask_b32_e64 v23, v25, v24, s2
	s_delay_alu instid0(VALU_DEP_2) | instskip(NEXT) | instid1(VALU_DEP_1)
	s_mul_i32 s27, s27, s25
	v_mov_b32_dpp v24, v23 quad_perm:[2,3,0,1] row_mask:0xf bank_mask:0xf
	s_mul_hi_u32 s2, s25, s27
	s_delay_alu instid0(SALU_CYCLE_1)
	s_add_i32 s25, s25, s2
	s_ashr_i32 s2, s5, 31
	s_mul_hi_u32 s25, s23, s25
	s_xor_b32 s27, s35, s2
	v_cmp_gt_f32_e64 s2, v23, v24
	s_mul_i32 s28, s25, s24
	s_delay_alu instid0(VALU_DEP_1)
	v_cndmask_b32_e64 v23, v24, v23, s2
	s_sub_i32 s2, s23, s28
	s_add_i32 s23, s25, 1
	s_sub_i32 s28, s2, s24
	s_cmp_ge_u32 s2, s24
	v_mov_b32_dpp v24, v23 row_xmask:7 row_mask:0xf bank_mask:0xf
	s_cselect_b32 s23, s23, s25
	s_cselect_b32 s2, s28, s2
	s_add_i32 s25, s23, 1
	s_cmp_ge_u32 s2, s24
	s_cselect_b32 s2, s25, s23
	s_delay_alu instid0(SALU_CYCLE_1) | instskip(SKIP_1) | instid1(VALU_DEP_1)
	s_xor_b32 s23, s2, s27
	v_cmp_gt_f32_e64 s2, v23, v24
	v_cndmask_b32_e64 v23, v24, v23, s2
	s_sub_i32 s2, s23, s27
	s_delay_alu instid0(SALU_CYCLE_1) | instskip(SKIP_4) | instid1(SALU_CYCLE_1)
	s_mul_i32 s23, s2, s5
	s_mul_i32 s2, s2, s9
	s_sub_i32 s23, s34, s23
	v_mul_f32_e32 v23, 0x3c010204, v23
	s_mul_i32 s23, s23, s10
	s_add_i32 s24, s23, s2
	s_and_saveexec_b32 s2, s0
	s_cbranch_execz .LBB101_18
; %bb.17:
	s_ashr_i32 s25, s24, 31
	v_mov_b32_e32 v24, 0
	s_lshl_b64 s[28:29], s[24:25], 2
	s_delay_alu instid0(SALU_CYCLE_1)
	s_add_u32 s28, s14, s28
	s_addc_u32 s29, s15, s29
	global_store_b32 v24, v23, s[28:29]
.LBB101_18:
	s_or_b32 exec_lo, exec_lo, s2
	s_and_saveexec_b32 s2, s1
	s_cbranch_execz .LBB101_20
; %bb.19:
	v_rcp_f32_e32 v23, v23
	s_mul_i32 s23, s24, s33
	s_mul_hi_i32 s24, s24, s33
	s_add_u32 s36, s12, s23
	s_addc_u32 s23, s13, s24
	s_mov_b32 s39, -1
	s_and_b32 s37, s23, 0xffff
	s_waitcnt_depctr 0xfff
	v_mul_f32_e32 v17, v17, v23
	v_mul_f32_e32 v18, v18, v23
	;; [unrolled: 1-line block ×5, first 2 shown]
	v_cvt_i32_f32_e32 v17, v17
	v_cvt_i32_f32_e32 v18, v18
	v_mul_f32_e32 v22, v22, v23
	v_cvt_i32_f32_e32 v15, v15
	v_cvt_i32_f32_e32 v16, v16
	v_and_b32_e32 v17, 0xff, v17
	v_lshlrev_b16 v18, 8, v18
	v_mul_f32_e32 v20, v20, v23
	v_and_b32_e32 v15, 0xff, v15
	v_lshlrev_b16 v16, 8, v16
	v_cvt_i32_f32_e32 v22, v22
	v_or_b32_e32 v17, v17, v18
	v_mul_f32_e32 v21, v21, v23
	v_cvt_i32_f32_e32 v20, v20
	v_cvt_i32_f32_e32 v19, v19
	v_or_b32_e32 v15, v15, v16
	v_and_b32_e32 v16, 0xffff, v17
	v_cvt_i32_f32_e32 v21, v21
	v_lshlrev_b16 v20, 8, v20
	v_and_b32_e32 v19, 0xff, v19
	v_lshlrev_b16 v22, 8, v22
	v_lshlrev_b32_e32 v15, 16, v15
	v_and_b32_e32 v21, 0xff, v21
	s_delay_alu instid0(VALU_DEP_4) | instskip(NEXT) | instid1(VALU_DEP_2)
	v_or_b32_e32 v18, v19, v20
	v_or_b32_e32 v19, v21, v22
	s_delay_alu instid0(VALU_DEP_2) | instskip(NEXT) | instid1(VALU_DEP_2)
	v_lshlrev_b32_e32 v17, 16, v18
	v_and_b32_e32 v18, 0xffff, v19
	s_delay_alu instid0(VALU_DEP_2) | instskip(NEXT) | instid1(VALU_DEP_2)
	v_or_b32_e32 v16, v16, v17
	v_or_b32_e32 v15, v18, v15
	buffer_store_b64 v[15:16], v13, s[36:39], 0 offen
	;;#ASMSTART
	s_nop 0
	;;#ASMEND
.LBB101_20:
	s_or_b32 exec_lo, exec_lo, s2
	s_cmp_eq_u32 s4, 1
	s_mov_b32 s35, 1
	s_cbranch_scc1 .LBB101_35
.LBB101_21:
	s_abs_i32 s43, s5
	s_ashr_i32 s44, s5, 31
	v_cvt_f32_u32_e32 v15, s43
	s_sub_i32 s23, 0, s43
	s_mov_b32 s31, -1
	s_mov_b32 s46, 0x76543210
	v_add_nc_u32_e32 v14, 4, v14
	v_rcp_iflag_f32_e32 v15, v15
	s_waitcnt_depctr 0xfff
	v_mul_f32_e32 v15, 0x4f7ffffe, v15
	s_delay_alu instid0(VALU_DEP_1) | instskip(NEXT) | instid1(VALU_DEP_1)
	v_cvt_u32_f32_e32 v15, v15
	v_readfirstlane_b32 s2, v15
	v_mov_b32_e32 v15, 0
	s_delay_alu instid0(VALU_DEP_2) | instskip(NEXT) | instid1(SALU_CYCLE_1)
	s_mul_i32 s23, s23, s2
	s_mul_hi_u32 s23, s2, s23
	s_delay_alu instid0(SALU_CYCLE_1)
	s_add_i32 s45, s2, s23
	s_branch .LBB101_24
.LBB101_22:                             ;   in Loop: Header=BB101_24 Depth=1
	s_or_b32 exec_lo, exec_lo, s2
.LBB101_23:                             ;   in Loop: Header=BB101_24 Depth=1
	v_add_nc_u32_e32 v14, 4, v14
	s_add_i32 s35, s35, 1
	s_delay_alu instid0(SALU_CYCLE_1)
	s_cmp_eq_u32 s4, s35
	s_cbranch_scc1 .LBB101_35
.LBB101_24:                             ; =>This Inner Loop Header: Depth=1
	s_and_b32 s2, s35, 31
	s_delay_alu instid0(SALU_CYCLE_1)
	s_cmp_lg_u32 s2, 0
	s_cbranch_scc1 .LBB101_26
; %bb.25:                               ;   in Loop: Header=BB101_24 Depth=1
	s_mov_b32 s23, s31
	buffer_load_b32 v8, v14, s[20:23], 0 offen
	s_waitcnt vmcnt(3) expcnt(0) lgkmcnt(55)
.LBB101_26:                             ;   in Loop: Header=BB101_24 Depth=1
	s_waitcnt vmcnt(0)
	v_readlane_b32 s2, v8, s2
	s_delay_alu instid0(VALU_DEP_1)
	s_cmp_lt_i32 s2, 0
	s_cbranch_scc1 .LBB101_23
; %bb.27:                               ;   in Loop: Header=BB101_24 Depth=1
	s_add_i32 s23, s34, s35
	s_delay_alu instid0(SALU_CYCLE_1)
	s_abs_i32 s36, s23
	s_ashr_i32 s37, s23, 31
	s_mul_hi_u32 s24, s36, s42
	s_xor_b32 s27, s37, s41
	s_mul_i32 s25, s24, s11
	s_add_i32 s28, s24, 1
	s_sub_i32 s25, s36, s25
	s_delay_alu instid0(SALU_CYCLE_1)
	s_sub_i32 s29, s25, s11
	s_cmp_ge_u32 s25, s11
	s_cselect_b32 s24, s28, s24
	s_cselect_b32 s25, s29, s25
	s_add_i32 s28, s24, 1
	s_cmp_ge_u32 s25, s11
	s_cselect_b32 s24, s28, s24
	s_delay_alu instid0(SALU_CYCLE_1) | instskip(NEXT) | instid1(SALU_CYCLE_1)
	s_xor_b32 s24, s24, s27
	s_sub_i32 s24, s24, s27
	s_delay_alu instid0(SALU_CYCLE_1) | instskip(SKIP_2) | instid1(SALU_CYCLE_1)
	s_mul_i32 s25, s24, s6
	s_mul_i32 s24, s24, s7
	s_sub_i32 s25, s23, s25
	s_mul_i32 s28, s25, s8
	s_delay_alu instid0(SALU_CYCLE_1) | instskip(NEXT) | instid1(SALU_CYCLE_1)
	s_add_i32 s28, s28, s24
	s_cmp_eq_u32 s28, s40
	s_cbranch_scc1 .LBB101_29
; %bb.28:                               ;   in Loop: Header=BB101_24 Depth=1
	s_mul_hi_i32 s25, s28, s33
	s_mul_i32 s24, s28, s33
	s_mov_b32 s27, s31
	s_lshl_b64 s[24:25], s[24:25], 1
	s_mov_b32 s40, s28
	s_add_u32 s24, s16, s24
	s_addc_u32 s25, s17, s25
	s_delay_alu instid0(SALU_CYCLE_1)
	s_and_b32 s25, s25, 0xffff
	buffer_load_b128 v[0:3], v9, s[24:27], 0 offen
	s_waitcnt vmcnt(0)
	v_lshrrev_b32_e32 v4, 16, v0
	v_and_b32_e32 v0, 0xffff, v0
	v_lshrrev_b32_e32 v5, 16, v1
	v_and_b32_e32 v6, 0xffff, v1
	;; [unrolled: 2-line block ×4, first 2 shown]
	v_cvt_f32_u32_e32 v1, v4
	v_cvt_f32_u32_e32 v0, v0
	;; [unrolled: 1-line block ×8, first 2 shown]
.LBB101_29:                             ;   in Loop: Header=BB101_24 Depth=1
	s_mul_i32 s24, s2, s3
	s_delay_alu instid0(SALU_CYCLE_1) | instskip(NEXT) | instid1(SALU_CYCLE_1)
	s_ashr_i32 s25, s24, 31
	s_lshl_b64 s[24:25], s[24:25], 2
	s_delay_alu instid0(SALU_CYCLE_1) | instskip(SKIP_1) | instid1(SALU_CYCLE_1)
	s_add_u32 s28, s18, s24
	s_addc_u32 s2, s19, s25
	s_and_b32 s29, s2, 0xffff
	s_clause 0x1
	buffer_load_b128 v[16:19], v10, s[28:31], 0 offen
	buffer_load_b128 v[24:27], v10, s[28:31], 16 offen
	s_waitcnt vmcnt(1)
	v_dual_mul_f32 v22, v0, v16 :: v_dual_mul_f32 v23, v1, v17
	v_dual_mul_f32 v16, v2, v18 :: v_dual_mul_f32 v17, v3, v19
	s_waitcnt vmcnt(0)
	v_dual_mul_f32 v18, v4, v24 :: v_dual_mul_f32 v19, v5, v25
	s_delay_alu instid0(VALU_DEP_3) | instskip(SKIP_1) | instid1(VALU_DEP_2)
	v_max3_f32 v20, |v22|, 0x2edbe6ff, |v23|
	v_mul_f32_e32 v21, v7, v27
	v_max3_f32 v24, v20, |v16|, |v17|
	v_mul_f32_e32 v20, v6, v26
	s_delay_alu instid0(VALU_DEP_2) | instskip(NEXT) | instid1(VALU_DEP_1)
	v_max3_f32 v24, v24, |v18|, |v19|
	v_max3_f32 v24, v24, |v20|, |v21|
	s_delay_alu instid0(VALU_DEP_1) | instskip(NEXT) | instid1(VALU_DEP_1)
	v_mov_b32_dpp v25, v24 quad_perm:[1,0,3,2] row_mask:0xf bank_mask:0xf
	v_cmp_gt_f32_e64 s2, v24, v25
	s_delay_alu instid0(VALU_DEP_1) | instskip(NEXT) | instid1(VALU_DEP_1)
	v_cndmask_b32_e64 v24, v25, v24, s2
	v_mov_b32_dpp v25, v24 quad_perm:[2,3,0,1] row_mask:0xf bank_mask:0xf
	s_delay_alu instid0(VALU_DEP_1) | instskip(NEXT) | instid1(VALU_DEP_1)
	v_cmp_gt_f32_e64 s2, v24, v25
	v_cndmask_b32_e64 v24, v25, v24, s2
	s_delay_alu instid0(VALU_DEP_1) | instskip(NEXT) | instid1(VALU_DEP_1)
	v_mov_b32_dpp v25, v24 row_xmask:7 row_mask:0xf bank_mask:0xf
	v_cmp_gt_f32_e64 s2, v24, v25
	s_delay_alu instid0(VALU_DEP_1) | instskip(NEXT) | instid1(VALU_DEP_1)
	v_cndmask_b32_e64 v24, v25, v24, s2
	v_mov_b32_dpp v25, v24 row_xmask:15 row_mask:0xf bank_mask:0xf
	s_delay_alu instid0(VALU_DEP_1)
	v_cmp_gt_f32_e64 s2, v24, v25
	s_and_saveexec_b32 s24, vcc_lo
	s_cbranch_execz .LBB101_31
; %bb.30:                               ;   in Loop: Header=BB101_24 Depth=1
	s_delay_alu instid0(VALU_DEP_1) | instskip(NEXT) | instid1(VALU_DEP_1)
	v_cndmask_b32_e64 v24, v25, v24, s2
	v_permlanex16_b32 v25, v24, s46, 0xfedcba98 op_sel:[1,1]
	s_delay_alu instid0(VALU_DEP_1) | instskip(NEXT) | instid1(VALU_DEP_1)
	v_cmp_gt_f32_e64 s2, v24, v25
	v_cndmask_b32_e64 v24, v25, v24, s2
	ds_store_b32 v11, v24
.LBB101_31:                             ;   in Loop: Header=BB101_24 Depth=1
	s_or_b32 exec_lo, exec_lo, s24
	s_waitcnt lgkmcnt(0)
	s_waitcnt_vscnt null, 0x0
	s_barrier
	buffer_gl0_inv
	ds_load_b32 v24, v12
	s_mul_hi_u32 s24, s36, s45
	s_xor_b32 s27, s37, s44
	s_mul_i32 s25, s24, s43
	s_waitcnt lgkmcnt(0)
	v_mov_b32_dpp v25, v24 quad_perm:[1,0,3,2] row_mask:0xf bank_mask:0xf
	s_delay_alu instid0(VALU_DEP_1) | instskip(NEXT) | instid1(VALU_DEP_1)
	v_cmp_gt_f32_e64 s2, v24, v25
	v_cndmask_b32_e64 v24, v25, v24, s2
	s_sub_i32 s2, s36, s25
	s_add_i32 s25, s24, 1
	s_sub_i32 s28, s2, s43
	s_cmp_ge_u32 s2, s43
	v_mov_b32_dpp v25, v24 quad_perm:[2,3,0,1] row_mask:0xf bank_mask:0xf
	s_cselect_b32 s24, s25, s24
	s_cselect_b32 s25, s28, s2
	s_delay_alu instid0(VALU_DEP_1) | instskip(NEXT) | instid1(VALU_DEP_1)
	v_cmp_gt_f32_e64 s2, v24, v25
	v_cndmask_b32_e64 v24, v25, v24, s2
	s_add_i32 s2, s24, 1
	s_cmp_ge_u32 s25, s43
	s_cselect_b32 s2, s2, s24
	s_delay_alu instid0(VALU_DEP_1) | instskip(SKIP_1) | instid1(SALU_CYCLE_1)
	v_mov_b32_dpp v25, v24 row_xmask:7 row_mask:0xf bank_mask:0xf
	s_xor_b32 s2, s2, s27
	s_sub_i32 s24, s2, s27
	s_delay_alu instid0(VALU_DEP_1) | instskip(NEXT) | instid1(VALU_DEP_1)
	v_cmp_gt_f32_e64 s2, v24, v25
	v_cndmask_b32_e64 v24, v25, v24, s2
	s_mul_i32 s2, s24, s5
	s_mul_i32 s24, s24, s9
	s_sub_i32 s2, s23, s2
	s_delay_alu instid0(VALU_DEP_1) | instskip(SKIP_1) | instid1(SALU_CYCLE_1)
	v_mul_f32_e32 v24, 0x3c010204, v24
	s_mul_i32 s2, s2, s10
	s_add_i32 s24, s2, s24
	s_and_saveexec_b32 s2, s0
	s_cbranch_execz .LBB101_33
; %bb.32:                               ;   in Loop: Header=BB101_24 Depth=1
	s_ashr_i32 s25, s24, 31
	s_delay_alu instid0(SALU_CYCLE_1) | instskip(NEXT) | instid1(SALU_CYCLE_1)
	s_lshl_b64 s[28:29], s[24:25], 2
	s_add_u32 s28, s14, s28
	s_addc_u32 s29, s15, s29
	global_store_b32 v15, v24, s[28:29]
.LBB101_33:                             ;   in Loop: Header=BB101_24 Depth=1
	s_or_b32 exec_lo, exec_lo, s2
	s_and_saveexec_b32 s2, s1
	s_cbranch_execz .LBB101_22
; %bb.34:                               ;   in Loop: Header=BB101_24 Depth=1
	v_rcp_f32_e32 v24, v24
	s_mul_i32 s23, s24, s33
	s_mul_hi_i32 s24, s24, s33
	s_add_u32 s36, s12, s23
	s_addc_u32 s23, s13, s24
	s_mov_b32 s39, s31
	s_and_b32 s37, s23, 0xffff
	s_waitcnt_depctr 0xfff
	v_mul_f32_e32 v18, v18, v24
	v_mul_f32_e32 v19, v19, v24
	;; [unrolled: 1-line block ×5, first 2 shown]
	v_cvt_i32_f32_e32 v18, v18
	v_cvt_i32_f32_e32 v19, v19
	v_mul_f32_e32 v23, v23, v24
	v_cvt_i32_f32_e32 v16, v16
	v_cvt_i32_f32_e32 v17, v17
	v_and_b32_e32 v18, 0xff, v18
	v_lshlrev_b16 v19, 8, v19
	v_mul_f32_e32 v21, v21, v24
	v_and_b32_e32 v16, 0xff, v16
	v_lshlrev_b16 v17, 8, v17
	v_cvt_i32_f32_e32 v23, v23
	v_or_b32_e32 v18, v18, v19
	v_mul_f32_e32 v22, v22, v24
	v_cvt_i32_f32_e32 v21, v21
	v_cvt_i32_f32_e32 v20, v20
	v_or_b32_e32 v16, v16, v17
	v_and_b32_e32 v17, 0xffff, v18
	v_cvt_i32_f32_e32 v22, v22
	v_lshlrev_b16 v21, 8, v21
	v_and_b32_e32 v20, 0xff, v20
	v_lshlrev_b16 v23, 8, v23
	v_lshlrev_b32_e32 v16, 16, v16
	v_and_b32_e32 v22, 0xff, v22
	s_delay_alu instid0(VALU_DEP_4) | instskip(NEXT) | instid1(VALU_DEP_2)
	v_or_b32_e32 v19, v20, v21
	v_or_b32_e32 v20, v22, v23
	s_delay_alu instid0(VALU_DEP_2) | instskip(NEXT) | instid1(VALU_DEP_2)
	v_lshlrev_b32_e32 v18, 16, v19
	v_and_b32_e32 v19, 0xffff, v20
	s_delay_alu instid0(VALU_DEP_2) | instskip(NEXT) | instid1(VALU_DEP_2)
	v_or_b32_e32 v17, v17, v18
	v_or_b32_e32 v16, v19, v16
	buffer_store_b64 v[16:17], v13, s[36:39], 0 offen
	;;#ASMSTART
	s_nop 0
	;;#ASMEND
	s_branch .LBB101_22
.LBB101_35:
	s_nop 0
	s_sendmsg sendmsg(MSG_DEALLOC_VGPRS)
	s_endpgm
	.section	.rodata,"a",@progbits
	.p2align	6, 0x0
	.amdhsa_kernel _ZN5aiter36smooth_per_token_scaled_quant_kernelItaLi256ELi8ELb1ELb1ELb0ELi1024EEEvPT0_PfPT_S3_PiS6_iiPKiiiiiiiii
		.amdhsa_group_segment_fixed_size 32
		.amdhsa_private_segment_fixed_size 0
		.amdhsa_kernarg_size 96
		.amdhsa_user_sgpr_count 15
		.amdhsa_user_sgpr_dispatch_ptr 0
		.amdhsa_user_sgpr_queue_ptr 0
		.amdhsa_user_sgpr_kernarg_segment_ptr 1
		.amdhsa_user_sgpr_dispatch_id 0
		.amdhsa_user_sgpr_private_segment_size 0
		.amdhsa_wavefront_size32 1
		.amdhsa_uses_dynamic_stack 0
		.amdhsa_enable_private_segment 0
		.amdhsa_system_sgpr_workgroup_id_x 1
		.amdhsa_system_sgpr_workgroup_id_y 0
		.amdhsa_system_sgpr_workgroup_id_z 0
		.amdhsa_system_sgpr_workgroup_info 0
		.amdhsa_system_vgpr_workitem_id 0
		.amdhsa_next_free_vgpr 28
		.amdhsa_next_free_sgpr 47
		.amdhsa_reserve_vcc 1
		.amdhsa_float_round_mode_32 0
		.amdhsa_float_round_mode_16_64 0
		.amdhsa_float_denorm_mode_32 3
		.amdhsa_float_denorm_mode_16_64 3
		.amdhsa_dx10_clamp 1
		.amdhsa_ieee_mode 1
		.amdhsa_fp16_overflow 0
		.amdhsa_workgroup_processor_mode 1
		.amdhsa_memory_ordered 1
		.amdhsa_forward_progress 0
		.amdhsa_shared_vgpr_count 0
		.amdhsa_exception_fp_ieee_invalid_op 0
		.amdhsa_exception_fp_denorm_src 0
		.amdhsa_exception_fp_ieee_div_zero 0
		.amdhsa_exception_fp_ieee_overflow 0
		.amdhsa_exception_fp_ieee_underflow 0
		.amdhsa_exception_fp_ieee_inexact 0
		.amdhsa_exception_int_div_zero 0
	.end_amdhsa_kernel
	.section	.text._ZN5aiter36smooth_per_token_scaled_quant_kernelItaLi256ELi8ELb1ELb1ELb0ELi1024EEEvPT0_PfPT_S3_PiS6_iiPKiiiiiiiii,"axG",@progbits,_ZN5aiter36smooth_per_token_scaled_quant_kernelItaLi256ELi8ELb1ELb1ELb0ELi1024EEEvPT0_PfPT_S3_PiS6_iiPKiiiiiiiii,comdat
.Lfunc_end101:
	.size	_ZN5aiter36smooth_per_token_scaled_quant_kernelItaLi256ELi8ELb1ELb1ELb0ELi1024EEEvPT0_PfPT_S3_PiS6_iiPKiiiiiiiii, .Lfunc_end101-_ZN5aiter36smooth_per_token_scaled_quant_kernelItaLi256ELi8ELb1ELb1ELb0ELi1024EEEvPT0_PfPT_S3_PiS6_iiPKiiiiiiiii
                                        ; -- End function
	.section	.AMDGPU.csdata,"",@progbits
; Kernel info:
; codeLenInByte = 3008
; NumSgprs: 49
; NumVgprs: 28
; ScratchSize: 0
; MemoryBound: 0
; FloatMode: 240
; IeeeMode: 1
; LDSByteSize: 32 bytes/workgroup (compile time only)
; SGPRBlocks: 6
; VGPRBlocks: 3
; NumSGPRsForWavesPerEU: 49
; NumVGPRsForWavesPerEU: 28
; Occupancy: 16
; WaveLimiterHint : 0
; COMPUTE_PGM_RSRC2:SCRATCH_EN: 0
; COMPUTE_PGM_RSRC2:USER_SGPR: 15
; COMPUTE_PGM_RSRC2:TRAP_HANDLER: 0
; COMPUTE_PGM_RSRC2:TGID_X_EN: 1
; COMPUTE_PGM_RSRC2:TGID_Y_EN: 0
; COMPUTE_PGM_RSRC2:TGID_Z_EN: 0
; COMPUTE_PGM_RSRC2:TIDIG_COMP_CNT: 0
	.section	.text._ZN5aiter36smooth_per_token_scaled_quant_kernelIDF16_aLi256ELi8ELb1ELb0ELb0ELi1024EEEvPT0_PfPT_S3_PiS6_iiPKiiiiiiiii,"axG",@progbits,_ZN5aiter36smooth_per_token_scaled_quant_kernelIDF16_aLi256ELi8ELb1ELb0ELb0ELi1024EEEvPT0_PfPT_S3_PiS6_iiPKiiiiiiiii,comdat
	.protected	_ZN5aiter36smooth_per_token_scaled_quant_kernelIDF16_aLi256ELi8ELb1ELb0ELb0ELi1024EEEvPT0_PfPT_S3_PiS6_iiPKiiiiiiiii ; -- Begin function _ZN5aiter36smooth_per_token_scaled_quant_kernelIDF16_aLi256ELi8ELb1ELb0ELb0ELi1024EEEvPT0_PfPT_S3_PiS6_iiPKiiiiiiiii
	.globl	_ZN5aiter36smooth_per_token_scaled_quant_kernelIDF16_aLi256ELi8ELb1ELb0ELb0ELi1024EEEvPT0_PfPT_S3_PiS6_iiPKiiiiiiiii
	.p2align	8
	.type	_ZN5aiter36smooth_per_token_scaled_quant_kernelIDF16_aLi256ELi8ELb1ELb0ELb0ELi1024EEEvPT0_PfPT_S3_PiS6_iiPKiiiiiiiii,@function
_ZN5aiter36smooth_per_token_scaled_quant_kernelIDF16_aLi256ELi8ELb1ELb0ELb0ELi1024EEEvPT0_PfPT_S3_PiS6_iiPKiiiiiiiii: ; @_ZN5aiter36smooth_per_token_scaled_quant_kernelIDF16_aLi256ELi8ELb1ELb0ELb0ELi1024EEEvPT0_PfPT_S3_PiS6_iiPKiiiiiiiii
; %bb.0:
	s_clause 0x1
	s_load_b64 s[2:3], s[0:1], 0x38
	s_load_b256 s[4:11], s[0:1], 0x40
	s_waitcnt lgkmcnt(0)
	s_cmp_lg_u64 s[2:3], 0
	s_cbranch_scc0 .LBB102_19
; %bb.1:
	s_load_b32 s2, s[2:3], 0x0
	s_waitcnt lgkmcnt(0)
	s_mul_i32 s4, s2, s4
	s_cbranch_execnz .LBB102_3
.LBB102_2:
	s_mul_i32 s4, s6, s5
.LBB102_3:
	s_load_b64 s[2:3], s[0:1], 0x30
	s_abs_i32 s14, s4
	s_waitcnt lgkmcnt(0)
	s_abs_i32 s11, s2
	s_delay_alu instid0(SALU_CYCLE_1) | instskip(SKIP_1) | instid1(VALU_DEP_1)
	v_cvt_f32_u32_e32 v1, s11
	s_sub_i32 s13, 0, s11
	v_rcp_iflag_f32_e32 v1, v1
	s_waitcnt_depctr 0xfff
	v_mul_f32_e32 v1, 0x4f7ffffe, v1
	s_delay_alu instid0(VALU_DEP_1) | instskip(NEXT) | instid1(VALU_DEP_1)
	v_cvt_u32_f32_e32 v1, v1
	v_readfirstlane_b32 s12, v1
	s_delay_alu instid0(VALU_DEP_1) | instskip(NEXT) | instid1(SALU_CYCLE_1)
	s_mul_i32 s13, s13, s12
	s_mul_hi_u32 s13, s12, s13
	s_delay_alu instid0(SALU_CYCLE_1) | instskip(SKIP_4) | instid1(SALU_CYCLE_1)
	s_add_i32 s12, s12, s13
	s_xor_b32 s13, s4, s2
	s_mul_hi_u32 s12, s14, s12
	s_ashr_i32 s13, s13, 31
	s_mul_i32 s16, s12, s11
	s_sub_i32 s14, s14, s16
	s_add_i32 s16, s12, 1
	s_sub_i32 s17, s14, s11
	s_cmp_ge_u32 s14, s11
	s_cselect_b32 s12, s16, s12
	s_cselect_b32 s14, s17, s14
	s_add_i32 s16, s12, 1
	s_cmp_ge_u32 s14, s11
	s_cselect_b32 s11, s16, s12
	s_delay_alu instid0(SALU_CYCLE_1) | instskip(NEXT) | instid1(SALU_CYCLE_1)
	s_xor_b32 s11, s11, s13
	s_sub_i32 s11, s11, s13
	s_mov_b32 s13, 0
	s_mul_i32 s2, s11, s2
	s_delay_alu instid0(SALU_CYCLE_1) | instskip(NEXT) | instid1(SALU_CYCLE_1)
	s_sub_i32 s4, s4, s2
	s_cmp_lt_u32 s15, s4
	s_cselect_b32 s2, -1, 0
	s_add_i32 s12, s11, 1
	s_cmp_ge_u32 s15, s4
	s_cbranch_scc0 .LBB102_5
; %bb.4:
	s_sub_i32 s14, s15, s4
	s_mul_i32 s4, s4, s12
	s_mul_i32 s14, s14, s11
	s_delay_alu instid0(SALU_CYCLE_1)
	s_add_i32 s4, s14, s4
	s_and_not1_b32 vcc_lo, exec_lo, s13
	s_cbranch_vccz .LBB102_6
	s_branch .LBB102_7
.LBB102_5:
                                        ; implicit-def: $sgpr4
.LBB102_6:
	s_mul_i32 s4, s12, s15
.LBB102_7:
	v_cndmask_b32_e64 v1, 0, 1, s2
	s_delay_alu instid0(VALU_DEP_1) | instskip(NEXT) | instid1(VALU_DEP_1)
	v_readfirstlane_b32 s2, v1
	s_add_i32 s11, s11, s2
	s_delay_alu instid0(SALU_CYCLE_1)
	s_cmp_lt_i32 s11, 1
	s_cbranch_scc1 .LBB102_18
; %bb.8:
	s_abs_i32 s34, s6
	s_abs_i32 s35, s5
	v_cvt_f32_u32_e32 v6, s34
	v_cvt_f32_u32_e32 v7, s35
	v_and_b32_e32 v3, 31, v0
	v_lshrrev_b32_e32 v4, 3, v0
	v_and_b32_e32 v5, 7, v0
	v_rcp_iflag_f32_e32 v6, v6
	v_rcp_iflag_f32_e32 v7, v7
	s_load_b256 s[12:19], s[0:1], 0x0
	s_add_i32 s1, s3, 7
	v_lshlrev_b32_e32 v2, 5, v0
	s_ashr_i32 s0, s1, 31
	v_cmp_eq_u32_e32 vcc_lo, 31, v3
	v_and_b32_e32 v3, 0x7c, v4
	v_lshlrev_b32_e32 v4, 2, v5
	s_lshr_b32 s2, s0, 29
	s_waitcnt_depctr 0xfff
	v_mul_f32_e32 v5, 0x4f7ffffe, v6
	v_dual_mul_f32 v6, 0x4f7ffffe, v7 :: v_dual_lshlrev_b32 v1, 4, v0
	s_add_i32 s1, s1, s2
	s_add_i32 s2, s3, 3
	s_mov_b32 s33, s3
	s_lshl_b32 s22, s3, 1
	s_lshl_b32 s26, s3, 2
	s_ashr_i32 s3, s2, 31
	v_cvt_u32_f32_e32 v5, v5
	s_lshr_b32 s3, s3, 30
	v_cvt_u32_f32_e32 v6, v6
	s_add_i32 s2, s2, s3
	s_sub_i32 s3, 0, s34
	s_and_b32 s30, s2, -4
	v_readfirstlane_b32 s2, v5
	v_readfirstlane_b32 s20, v6
	s_sub_i32 s21, 0, s35
	s_ashr_i32 s1, s1, 3
	v_cmp_eq_u32_e64 s0, 0, v0
	s_mul_i32 s3, s3, s2
	s_mul_i32 s21, s21, s20
	s_mul_hi_u32 s3, s2, s3
	v_cmp_gt_u32_e64 s1, s1, v0
	v_dual_mov_b32 v5, 0 :: v_dual_lshlrev_b32 v0, 3, v0
	s_mov_b32 s23, -1
	s_waitcnt lgkmcnt(0)
	s_and_b32 s19, s19, 0xffff
	s_add_i32 s37, s2, s3
	s_mul_hi_u32 s2, s20, s21
	s_mov_b32 s27, s23
	s_ashr_i32 s36, s6, 31
	s_ashr_i32 s38, s5, 31
	s_add_i32 s39, s20, s2
	s_mov_b32 s24, s18
	s_mov_b32 s25, s19
	;; [unrolled: 1-line block ×4, first 2 shown]
                                        ; implicit-def: $vgpr6
                                        ; implicit-def: $vgpr9
                                        ; implicit-def: $vgpr7
                                        ; implicit-def: $vgpr10
                                        ; implicit-def: $vgpr8
                                        ; implicit-def: $vgpr12
                                        ; implicit-def: $vgpr11
                                        ; implicit-def: $vgpr13
	s_branch .LBB102_10
.LBB102_9:                              ;   in Loop: Header=BB102_10 Depth=1
	s_or_b32 exec_lo, exec_lo, s3
	s_add_i32 s11, s11, -1
	s_add_i32 s4, s4, 1
	s_cmp_eq_u32 s11, 0
	s_cbranch_scc1 .LBB102_18
.LBB102_10:                             ; =>This Inner Loop Header: Depth=1
	s_abs_i32 s3, s4
	s_ashr_i32 s28, s4, 31
	s_mul_hi_u32 s2, s3, s37
	s_xor_b32 s21, s28, s36
	s_mul_i32 s20, s2, s34
	s_add_i32 s29, s2, 1
	s_sub_i32 s20, s3, s20
	s_delay_alu instid0(SALU_CYCLE_1)
	s_sub_i32 s31, s20, s34
	s_cmp_ge_u32 s20, s34
	s_cselect_b32 s2, s29, s2
	s_cselect_b32 s20, s31, s20
	s_add_i32 s29, s2, 1
	s_cmp_ge_u32 s20, s34
	s_cselect_b32 s2, s29, s2
	s_delay_alu instid0(SALU_CYCLE_1) | instskip(NEXT) | instid1(SALU_CYCLE_1)
	s_xor_b32 s2, s2, s21
	s_sub_i32 s2, s2, s21
	s_delay_alu instid0(SALU_CYCLE_1) | instskip(SKIP_2) | instid1(SALU_CYCLE_1)
	s_mul_i32 s20, s2, s6
	s_mul_i32 s2, s2, s7
	s_sub_i32 s20, s4, s20
	s_mul_i32 s20, s20, s8
	s_delay_alu instid0(SALU_CYCLE_1) | instskip(NEXT) | instid1(SALU_CYCLE_1)
	s_add_i32 s2, s20, s2
	s_cmp_eq_u32 s2, s19
	s_cbranch_scc1 .LBB102_12
; %bb.11:                               ;   in Loop: Header=BB102_10 Depth=1
	s_mul_hi_i32 s21, s2, s33
	s_mul_i32 s20, s2, s33
	s_delay_alu instid0(SALU_CYCLE_1) | instskip(NEXT) | instid1(SALU_CYCLE_1)
	s_lshl_b64 s[20:21], s[20:21], 1
	s_add_u32 s20, s16, s20
	s_addc_u32 s19, s17, s21
	s_delay_alu instid0(SALU_CYCLE_1)
	s_and_b32 s21, s19, 0xffff
	s_mov_b32 s19, s2
	buffer_load_b128 v[7:10], v1, s[20:23], 0 offen
	s_waitcnt vmcnt(0)
	v_lshrrev_b32_e32 v12, 16, v7
	v_lshrrev_b32_e32 v13, 16, v8
	;; [unrolled: 1-line block ×4, first 2 shown]
	v_cvt_f32_f16_e32 v6, v7
	v_cvt_f32_f16_e32 v7, v8
	;; [unrolled: 1-line block ×8, first 2 shown]
.LBB102_12:                             ;   in Loop: Header=BB102_10 Depth=1
	s_clause 0x1
	buffer_load_b128 v[14:17], v2, s[24:27], 0 offen
	buffer_load_b128 v[21:24], v2, s[24:27], 16 offen
	s_waitcnt vmcnt(1)
	v_dual_mul_f32 v19, v6, v14 :: v_dual_mul_f32 v20, v9, v15
	v_dual_mul_f32 v14, v7, v16 :: v_dual_mul_f32 v15, v10, v17
	s_waitcnt vmcnt(0)
	v_dual_mul_f32 v16, v8, v21 :: v_dual_mul_f32 v21, v13, v24
	s_delay_alu instid0(VALU_DEP_3) | instskip(SKIP_1) | instid1(VALU_DEP_2)
	v_max3_f32 v18, |v19|, 0x2edbe6ff, |v20|
	v_mul_f32_e32 v17, v12, v22
	v_max3_f32 v22, v18, |v14|, |v15|
	v_mul_f32_e32 v18, v11, v23
	s_delay_alu instid0(VALU_DEP_2) | instskip(NEXT) | instid1(VALU_DEP_1)
	v_max3_f32 v22, v22, |v16|, |v17|
	v_max3_f32 v22, v22, |v18|, |v21|
	s_delay_alu instid0(VALU_DEP_1) | instskip(NEXT) | instid1(VALU_DEP_1)
	v_mov_b32_dpp v23, v22 quad_perm:[1,0,3,2] row_mask:0xf bank_mask:0xf
	v_cmp_gt_f32_e64 s2, v22, v23
	s_delay_alu instid0(VALU_DEP_1) | instskip(NEXT) | instid1(VALU_DEP_1)
	v_cndmask_b32_e64 v22, v23, v22, s2
	v_mov_b32_dpp v23, v22 quad_perm:[2,3,0,1] row_mask:0xf bank_mask:0xf
	s_delay_alu instid0(VALU_DEP_1) | instskip(NEXT) | instid1(VALU_DEP_1)
	v_cmp_gt_f32_e64 s2, v22, v23
	v_cndmask_b32_e64 v22, v23, v22, s2
	s_delay_alu instid0(VALU_DEP_1) | instskip(NEXT) | instid1(VALU_DEP_1)
	v_mov_b32_dpp v23, v22 row_xmask:7 row_mask:0xf bank_mask:0xf
	v_cmp_gt_f32_e64 s2, v22, v23
	s_delay_alu instid0(VALU_DEP_1) | instskip(NEXT) | instid1(VALU_DEP_1)
	v_cndmask_b32_e64 v22, v23, v22, s2
	v_mov_b32_dpp v23, v22 row_xmask:15 row_mask:0xf bank_mask:0xf
	s_delay_alu instid0(VALU_DEP_1)
	v_cmp_gt_f32_e64 s2, v22, v23
	s_and_saveexec_b32 s20, vcc_lo
	s_cbranch_execz .LBB102_14
; %bb.13:                               ;   in Loop: Header=BB102_10 Depth=1
	s_delay_alu instid0(VALU_DEP_1) | instskip(NEXT) | instid1(VALU_DEP_1)
	v_cndmask_b32_e64 v22, v23, v22, s2
	v_permlanex16_b32 v23, v22, s18, 0xfedcba98 op_sel:[1,1]
	s_delay_alu instid0(VALU_DEP_1) | instskip(NEXT) | instid1(VALU_DEP_1)
	v_cmp_gt_f32_e64 s2, v22, v23
	v_cndmask_b32_e64 v22, v23, v22, s2
	ds_store_b32 v3, v22
.LBB102_14:                             ;   in Loop: Header=BB102_10 Depth=1
	s_or_b32 exec_lo, exec_lo, s20
	s_waitcnt lgkmcnt(0)
	s_waitcnt_vscnt null, 0x0
	s_barrier
	buffer_gl0_inv
	ds_load_b32 v22, v4
	s_mul_hi_u32 s20, s3, s39
	s_xor_b32 s28, s28, s38
	s_mul_i32 s21, s20, s35
	s_waitcnt lgkmcnt(0)
	v_mov_b32_dpp v23, v22 quad_perm:[1,0,3,2] row_mask:0xf bank_mask:0xf
	s_delay_alu instid0(VALU_DEP_1) | instskip(NEXT) | instid1(VALU_DEP_1)
	v_cmp_gt_f32_e64 s2, v22, v23
	v_cndmask_b32_e64 v22, v23, v22, s2
	s_sub_i32 s2, s3, s21
	s_add_i32 s3, s20, 1
	s_sub_i32 s21, s2, s35
	s_cmp_ge_u32 s2, s35
	v_mov_b32_dpp v23, v22 quad_perm:[2,3,0,1] row_mask:0xf bank_mask:0xf
	s_cselect_b32 s3, s3, s20
	s_cselect_b32 s20, s21, s2
	s_delay_alu instid0(VALU_DEP_1) | instskip(NEXT) | instid1(VALU_DEP_1)
	v_cmp_gt_f32_e64 s2, v22, v23
	v_cndmask_b32_e64 v22, v23, v22, s2
	s_add_i32 s2, s3, 1
	s_cmp_ge_u32 s20, s35
	s_cselect_b32 s2, s2, s3
	s_delay_alu instid0(VALU_DEP_1) | instskip(SKIP_1) | instid1(SALU_CYCLE_1)
	v_mov_b32_dpp v23, v22 row_xmask:7 row_mask:0xf bank_mask:0xf
	s_xor_b32 s2, s2, s28
	s_sub_i32 s3, s2, s28
	s_delay_alu instid0(VALU_DEP_1) | instskip(NEXT) | instid1(VALU_DEP_1)
	v_cmp_gt_f32_e64 s2, v22, v23
	v_cndmask_b32_e64 v22, v23, v22, s2
	s_mul_i32 s2, s3, s5
	s_mul_i32 s3, s3, s9
	s_sub_i32 s2, s4, s2
	s_delay_alu instid0(VALU_DEP_1) | instskip(SKIP_1) | instid1(SALU_CYCLE_1)
	v_mul_f32_e32 v22, 0x3c010204, v22
	s_mul_i32 s2, s2, s10
	s_add_i32 s2, s2, s3
	s_and_saveexec_b32 s20, s0
	s_cbranch_execz .LBB102_16
; %bb.15:                               ;   in Loop: Header=BB102_10 Depth=1
	s_ashr_i32 s3, s2, 31
	s_delay_alu instid0(SALU_CYCLE_1) | instskip(NEXT) | instid1(SALU_CYCLE_1)
	s_lshl_b64 s[28:29], s[2:3], 2
	s_add_u32 s28, s14, s28
	s_addc_u32 s29, s15, s29
	global_store_b32 v5, v22, s[28:29]
.LBB102_16:                             ;   in Loop: Header=BB102_10 Depth=1
	s_or_b32 exec_lo, exec_lo, s20
	s_and_saveexec_b32 s3, s1
	s_cbranch_execz .LBB102_9
; %bb.17:                               ;   in Loop: Header=BB102_10 Depth=1
	v_rcp_f32_e32 v22, v22
	s_mul_i32 s20, s2, s33
	s_mul_hi_i32 s2, s2, s33
	s_add_u32 s28, s12, s20
	s_addc_u32 s2, s13, s2
	s_mov_b32 s31, s23
	s_and_b32 s29, s2, 0xffff
	s_waitcnt_depctr 0xfff
	v_mul_f32_e32 v16, v16, v22
	v_mul_f32_e32 v17, v17, v22
	v_mul_f32_e32 v18, v18, v22
	v_mul_f32_e32 v21, v21, v22
	s_delay_alu instid0(VALU_DEP_4) | instskip(NEXT) | instid1(VALU_DEP_4)
	v_cvt_i32_f32_e32 v16, v16
	v_cvt_i32_f32_e32 v17, v17
	s_delay_alu instid0(VALU_DEP_4) | instskip(NEXT) | instid1(VALU_DEP_4)
	v_cvt_i32_f32_e32 v18, v18
	v_cvt_i32_f32_e32 v21, v21
	s_delay_alu instid0(VALU_DEP_4) | instskip(NEXT) | instid1(VALU_DEP_4)
	v_dual_mul_f32 v19, v19, v22 :: v_dual_and_b32 v16, 0xff, v16
	v_lshlrev_b16 v17, 8, v17
	s_delay_alu instid0(VALU_DEP_4) | instskip(NEXT) | instid1(VALU_DEP_4)
	v_and_b32_e32 v18, 0xff, v18
	v_lshlrev_b16 v21, 8, v21
	s_delay_alu instid0(VALU_DEP_4)
	v_cvt_i32_f32_e32 v19, v19
	v_mul_f32_e32 v20, v20, v22
	v_or_b32_e32 v16, v16, v17
	v_mul_f32_e32 v14, v14, v22
	v_or_b32_e32 v17, v18, v21
	v_mul_f32_e32 v15, v15, v22
	v_and_b32_e32 v19, 0xff, v19
	v_cvt_i32_f32_e32 v20, v20
	v_cvt_i32_f32_e32 v14, v14
	s_delay_alu instid0(VALU_DEP_4) | instskip(NEXT) | instid1(VALU_DEP_3)
	v_cvt_i32_f32_e32 v15, v15
	v_lshlrev_b16 v20, 8, v20
	s_delay_alu instid0(VALU_DEP_3) | instskip(NEXT) | instid1(VALU_DEP_3)
	v_and_b32_e32 v14, 0xff, v14
	v_lshlrev_b16 v15, 8, v15
	s_delay_alu instid0(VALU_DEP_3) | instskip(NEXT) | instid1(VALU_DEP_2)
	v_or_b32_e32 v18, v19, v20
	v_or_b32_e32 v14, v14, v15
	v_and_b32_e32 v15, 0xffff, v16
	v_lshlrev_b32_e32 v16, 16, v17
	s_delay_alu instid0(VALU_DEP_4) | instskip(NEXT) | instid1(VALU_DEP_4)
	v_and_b32_e32 v17, 0xffff, v18
	v_lshlrev_b32_e32 v14, 16, v14
	s_delay_alu instid0(VALU_DEP_3) | instskip(NEXT) | instid1(VALU_DEP_2)
	v_or_b32_e32 v15, v15, v16
	v_or_b32_e32 v14, v17, v14
	buffer_store_b64 v[14:15], v0, s[28:31], 0 offen
	;;#ASMSTART
	s_nop 0
	;;#ASMEND
	s_branch .LBB102_9
.LBB102_18:
	s_nop 0
	s_sendmsg sendmsg(MSG_DEALLOC_VGPRS)
	s_endpgm
.LBB102_19:
                                        ; implicit-def: $sgpr4
	s_branch .LBB102_2
	.section	.rodata,"a",@progbits
	.p2align	6, 0x0
	.amdhsa_kernel _ZN5aiter36smooth_per_token_scaled_quant_kernelIDF16_aLi256ELi8ELb1ELb0ELb0ELi1024EEEvPT0_PfPT_S3_PiS6_iiPKiiiiiiiii
		.amdhsa_group_segment_fixed_size 32
		.amdhsa_private_segment_fixed_size 0
		.amdhsa_kernarg_size 96
		.amdhsa_user_sgpr_count 15
		.amdhsa_user_sgpr_dispatch_ptr 0
		.amdhsa_user_sgpr_queue_ptr 0
		.amdhsa_user_sgpr_kernarg_segment_ptr 1
		.amdhsa_user_sgpr_dispatch_id 0
		.amdhsa_user_sgpr_private_segment_size 0
		.amdhsa_wavefront_size32 1
		.amdhsa_uses_dynamic_stack 0
		.amdhsa_enable_private_segment 0
		.amdhsa_system_sgpr_workgroup_id_x 1
		.amdhsa_system_sgpr_workgroup_id_y 0
		.amdhsa_system_sgpr_workgroup_id_z 0
		.amdhsa_system_sgpr_workgroup_info 0
		.amdhsa_system_vgpr_workitem_id 0
		.amdhsa_next_free_vgpr 25
		.amdhsa_next_free_sgpr 40
		.amdhsa_reserve_vcc 1
		.amdhsa_float_round_mode_32 0
		.amdhsa_float_round_mode_16_64 0
		.amdhsa_float_denorm_mode_32 3
		.amdhsa_float_denorm_mode_16_64 3
		.amdhsa_dx10_clamp 1
		.amdhsa_ieee_mode 1
		.amdhsa_fp16_overflow 0
		.amdhsa_workgroup_processor_mode 1
		.amdhsa_memory_ordered 1
		.amdhsa_forward_progress 0
		.amdhsa_shared_vgpr_count 0
		.amdhsa_exception_fp_ieee_invalid_op 0
		.amdhsa_exception_fp_denorm_src 0
		.amdhsa_exception_fp_ieee_div_zero 0
		.amdhsa_exception_fp_ieee_overflow 0
		.amdhsa_exception_fp_ieee_underflow 0
		.amdhsa_exception_fp_ieee_inexact 0
		.amdhsa_exception_int_div_zero 0
	.end_amdhsa_kernel
	.section	.text._ZN5aiter36smooth_per_token_scaled_quant_kernelIDF16_aLi256ELi8ELb1ELb0ELb0ELi1024EEEvPT0_PfPT_S3_PiS6_iiPKiiiiiiiii,"axG",@progbits,_ZN5aiter36smooth_per_token_scaled_quant_kernelIDF16_aLi256ELi8ELb1ELb0ELb0ELi1024EEEvPT0_PfPT_S3_PiS6_iiPKiiiiiiiii,comdat
.Lfunc_end102:
	.size	_ZN5aiter36smooth_per_token_scaled_quant_kernelIDF16_aLi256ELi8ELb1ELb0ELb0ELi1024EEEvPT0_PfPT_S3_PiS6_iiPKiiiiiiiii, .Lfunc_end102-_ZN5aiter36smooth_per_token_scaled_quant_kernelIDF16_aLi256ELi8ELb1ELb0ELb0ELi1024EEEvPT0_PfPT_S3_PiS6_iiPKiiiiiiiii
                                        ; -- End function
	.section	.AMDGPU.csdata,"",@progbits
; Kernel info:
; codeLenInByte = 1632
; NumSgprs: 42
; NumVgprs: 25
; ScratchSize: 0
; MemoryBound: 0
; FloatMode: 240
; IeeeMode: 1
; LDSByteSize: 32 bytes/workgroup (compile time only)
; SGPRBlocks: 5
; VGPRBlocks: 3
; NumSGPRsForWavesPerEU: 42
; NumVGPRsForWavesPerEU: 25
; Occupancy: 16
; WaveLimiterHint : 0
; COMPUTE_PGM_RSRC2:SCRATCH_EN: 0
; COMPUTE_PGM_RSRC2:USER_SGPR: 15
; COMPUTE_PGM_RSRC2:TRAP_HANDLER: 0
; COMPUTE_PGM_RSRC2:TGID_X_EN: 1
; COMPUTE_PGM_RSRC2:TGID_Y_EN: 0
; COMPUTE_PGM_RSRC2:TGID_Z_EN: 0
; COMPUTE_PGM_RSRC2:TIDIG_COMP_CNT: 0
	.section	.text._ZN5aiter36smooth_per_token_scaled_quant_kernelItaLi256ELi8ELb1ELb0ELb0ELi1024EEEvPT0_PfPT_S3_PiS6_iiPKiiiiiiiii,"axG",@progbits,_ZN5aiter36smooth_per_token_scaled_quant_kernelItaLi256ELi8ELb1ELb0ELb0ELi1024EEEvPT0_PfPT_S3_PiS6_iiPKiiiiiiiii,comdat
	.protected	_ZN5aiter36smooth_per_token_scaled_quant_kernelItaLi256ELi8ELb1ELb0ELb0ELi1024EEEvPT0_PfPT_S3_PiS6_iiPKiiiiiiiii ; -- Begin function _ZN5aiter36smooth_per_token_scaled_quant_kernelItaLi256ELi8ELb1ELb0ELb0ELi1024EEEvPT0_PfPT_S3_PiS6_iiPKiiiiiiiii
	.globl	_ZN5aiter36smooth_per_token_scaled_quant_kernelItaLi256ELi8ELb1ELb0ELb0ELi1024EEEvPT0_PfPT_S3_PiS6_iiPKiiiiiiiii
	.p2align	8
	.type	_ZN5aiter36smooth_per_token_scaled_quant_kernelItaLi256ELi8ELb1ELb0ELb0ELi1024EEEvPT0_PfPT_S3_PiS6_iiPKiiiiiiiii,@function
_ZN5aiter36smooth_per_token_scaled_quant_kernelItaLi256ELi8ELb1ELb0ELb0ELi1024EEEvPT0_PfPT_S3_PiS6_iiPKiiiiiiiii: ; @_ZN5aiter36smooth_per_token_scaled_quant_kernelItaLi256ELi8ELb1ELb0ELb0ELi1024EEEvPT0_PfPT_S3_PiS6_iiPKiiiiiiiii
; %bb.0:
	s_clause 0x1
	s_load_b64 s[2:3], s[0:1], 0x38
	s_load_b256 s[4:11], s[0:1], 0x40
	s_waitcnt lgkmcnt(0)
	s_cmp_lg_u64 s[2:3], 0
	s_cbranch_scc0 .LBB103_19
; %bb.1:
	s_load_b32 s2, s[2:3], 0x0
	s_waitcnt lgkmcnt(0)
	s_mul_i32 s4, s2, s4
	s_cbranch_execnz .LBB103_3
.LBB103_2:
	s_mul_i32 s4, s6, s5
.LBB103_3:
	s_load_b64 s[2:3], s[0:1], 0x30
	s_abs_i32 s14, s4
	s_waitcnt lgkmcnt(0)
	s_abs_i32 s11, s2
	s_delay_alu instid0(SALU_CYCLE_1) | instskip(SKIP_1) | instid1(VALU_DEP_1)
	v_cvt_f32_u32_e32 v1, s11
	s_sub_i32 s13, 0, s11
	v_rcp_iflag_f32_e32 v1, v1
	s_waitcnt_depctr 0xfff
	v_mul_f32_e32 v1, 0x4f7ffffe, v1
	s_delay_alu instid0(VALU_DEP_1) | instskip(NEXT) | instid1(VALU_DEP_1)
	v_cvt_u32_f32_e32 v1, v1
	v_readfirstlane_b32 s12, v1
	s_delay_alu instid0(VALU_DEP_1) | instskip(NEXT) | instid1(SALU_CYCLE_1)
	s_mul_i32 s13, s13, s12
	s_mul_hi_u32 s13, s12, s13
	s_delay_alu instid0(SALU_CYCLE_1) | instskip(SKIP_4) | instid1(SALU_CYCLE_1)
	s_add_i32 s12, s12, s13
	s_xor_b32 s13, s4, s2
	s_mul_hi_u32 s12, s14, s12
	s_ashr_i32 s13, s13, 31
	s_mul_i32 s16, s12, s11
	s_sub_i32 s14, s14, s16
	s_add_i32 s16, s12, 1
	s_sub_i32 s17, s14, s11
	s_cmp_ge_u32 s14, s11
	s_cselect_b32 s12, s16, s12
	s_cselect_b32 s14, s17, s14
	s_add_i32 s16, s12, 1
	s_cmp_ge_u32 s14, s11
	s_cselect_b32 s11, s16, s12
	s_delay_alu instid0(SALU_CYCLE_1) | instskip(NEXT) | instid1(SALU_CYCLE_1)
	s_xor_b32 s11, s11, s13
	s_sub_i32 s11, s11, s13
	s_mov_b32 s13, 0
	s_mul_i32 s2, s11, s2
	s_delay_alu instid0(SALU_CYCLE_1) | instskip(NEXT) | instid1(SALU_CYCLE_1)
	s_sub_i32 s4, s4, s2
	s_cmp_lt_u32 s15, s4
	s_cselect_b32 s2, -1, 0
	s_add_i32 s12, s11, 1
	s_cmp_ge_u32 s15, s4
	s_cbranch_scc0 .LBB103_5
; %bb.4:
	s_sub_i32 s14, s15, s4
	s_mul_i32 s4, s4, s12
	s_mul_i32 s14, s14, s11
	s_delay_alu instid0(SALU_CYCLE_1)
	s_add_i32 s4, s14, s4
	s_and_not1_b32 vcc_lo, exec_lo, s13
	s_cbranch_vccz .LBB103_6
	s_branch .LBB103_7
.LBB103_5:
                                        ; implicit-def: $sgpr4
.LBB103_6:
	s_mul_i32 s4, s12, s15
.LBB103_7:
	v_cndmask_b32_e64 v1, 0, 1, s2
	s_delay_alu instid0(VALU_DEP_1) | instskip(NEXT) | instid1(VALU_DEP_1)
	v_readfirstlane_b32 s2, v1
	s_add_i32 s11, s11, s2
	s_delay_alu instid0(SALU_CYCLE_1)
	s_cmp_lt_i32 s11, 1
	s_cbranch_scc1 .LBB103_18
; %bb.8:
	s_abs_i32 s34, s6
	s_abs_i32 s35, s5
	v_cvt_f32_u32_e32 v6, s34
	v_cvt_f32_u32_e32 v7, s35
	v_and_b32_e32 v3, 31, v0
	v_lshrrev_b32_e32 v4, 3, v0
	v_and_b32_e32 v5, 7, v0
	v_rcp_iflag_f32_e32 v6, v6
	v_rcp_iflag_f32_e32 v7, v7
	s_load_b256 s[12:19], s[0:1], 0x0
	s_add_i32 s1, s3, 7
	v_lshlrev_b32_e32 v2, 5, v0
	s_ashr_i32 s0, s1, 31
	v_cmp_eq_u32_e32 vcc_lo, 31, v3
	v_and_b32_e32 v3, 0x7c, v4
	v_lshlrev_b32_e32 v4, 2, v5
	s_lshr_b32 s2, s0, 29
	s_waitcnt_depctr 0xfff
	v_mul_f32_e32 v5, 0x4f7ffffe, v6
	v_dual_mul_f32 v6, 0x4f7ffffe, v7 :: v_dual_lshlrev_b32 v1, 4, v0
	s_add_i32 s1, s1, s2
	s_add_i32 s2, s3, 3
	s_mov_b32 s33, s3
	s_lshl_b32 s22, s3, 1
	s_lshl_b32 s26, s3, 2
	s_ashr_i32 s3, s2, 31
	v_cvt_u32_f32_e32 v5, v5
	s_lshr_b32 s3, s3, 30
	v_cvt_u32_f32_e32 v6, v6
	s_add_i32 s2, s2, s3
	s_sub_i32 s3, 0, s34
	s_and_b32 s30, s2, -4
	v_readfirstlane_b32 s2, v5
	v_readfirstlane_b32 s20, v6
	s_sub_i32 s21, 0, s35
	s_ashr_i32 s1, s1, 3
	v_cmp_eq_u32_e64 s0, 0, v0
	s_mul_i32 s3, s3, s2
	s_mul_i32 s21, s21, s20
	s_mul_hi_u32 s3, s2, s3
	v_cmp_gt_u32_e64 s1, s1, v0
	v_dual_mov_b32 v5, 0 :: v_dual_lshlrev_b32 v0, 3, v0
	s_mov_b32 s23, -1
	s_waitcnt lgkmcnt(0)
	s_and_b32 s19, s19, 0xffff
	s_add_i32 s37, s2, s3
	s_mul_hi_u32 s2, s20, s21
	s_mov_b32 s27, s23
	s_ashr_i32 s36, s6, 31
	s_ashr_i32 s38, s5, 31
	s_add_i32 s39, s20, s2
	s_mov_b32 s24, s18
	s_mov_b32 s25, s19
	;; [unrolled: 1-line block ×4, first 2 shown]
                                        ; implicit-def: $vgpr6
                                        ; implicit-def: $vgpr7
                                        ; implicit-def: $vgpr8
                                        ; implicit-def: $vgpr9
                                        ; implicit-def: $vgpr10
                                        ; implicit-def: $vgpr11
                                        ; implicit-def: $vgpr12
                                        ; implicit-def: $vgpr13
	s_branch .LBB103_10
.LBB103_9:                              ;   in Loop: Header=BB103_10 Depth=1
	s_or_b32 exec_lo, exec_lo, s3
	s_add_i32 s11, s11, -1
	s_add_i32 s4, s4, 1
	s_cmp_eq_u32 s11, 0
	s_cbranch_scc1 .LBB103_18
.LBB103_10:                             ; =>This Inner Loop Header: Depth=1
	s_abs_i32 s3, s4
	s_ashr_i32 s28, s4, 31
	s_mul_hi_u32 s2, s3, s37
	s_xor_b32 s21, s28, s36
	s_mul_i32 s20, s2, s34
	s_add_i32 s29, s2, 1
	s_sub_i32 s20, s3, s20
	s_delay_alu instid0(SALU_CYCLE_1)
	s_sub_i32 s31, s20, s34
	s_cmp_ge_u32 s20, s34
	s_cselect_b32 s2, s29, s2
	s_cselect_b32 s20, s31, s20
	s_add_i32 s29, s2, 1
	s_cmp_ge_u32 s20, s34
	s_cselect_b32 s2, s29, s2
	s_delay_alu instid0(SALU_CYCLE_1) | instskip(NEXT) | instid1(SALU_CYCLE_1)
	s_xor_b32 s2, s2, s21
	s_sub_i32 s2, s2, s21
	s_delay_alu instid0(SALU_CYCLE_1) | instskip(SKIP_2) | instid1(SALU_CYCLE_1)
	s_mul_i32 s20, s2, s6
	s_mul_i32 s2, s2, s7
	s_sub_i32 s20, s4, s20
	s_mul_i32 s20, s20, s8
	s_delay_alu instid0(SALU_CYCLE_1) | instskip(NEXT) | instid1(SALU_CYCLE_1)
	s_add_i32 s2, s20, s2
	s_cmp_eq_u32 s2, s19
	s_cbranch_scc1 .LBB103_12
; %bb.11:                               ;   in Loop: Header=BB103_10 Depth=1
	s_mul_hi_i32 s21, s2, s33
	s_mul_i32 s20, s2, s33
	s_delay_alu instid0(SALU_CYCLE_1) | instskip(NEXT) | instid1(SALU_CYCLE_1)
	s_lshl_b64 s[20:21], s[20:21], 1
	s_add_u32 s20, s16, s20
	s_addc_u32 s19, s17, s21
	s_delay_alu instid0(SALU_CYCLE_1)
	s_and_b32 s21, s19, 0xffff
	s_mov_b32 s19, s2
	buffer_load_b128 v[6:9], v1, s[20:23], 0 offen
	s_waitcnt vmcnt(0)
	v_and_b32_e32 v10, 0xffff, v6
	v_lshrrev_b32_e32 v11, 16, v6
	v_and_b32_e32 v12, 0xffff, v7
	v_lshrrev_b32_e32 v13, 16, v7
	;; [unrolled: 2-line block ×4, first 2 shown]
	v_cvt_f32_u32_e32 v6, v10
	v_cvt_f32_u32_e32 v7, v11
	v_cvt_f32_u32_e32 v8, v12
	v_cvt_f32_u32_e32 v9, v13
	v_cvt_f32_u32_e32 v10, v14
	v_cvt_f32_u32_e32 v11, v15
	v_cvt_f32_u32_e32 v12, v16
	v_cvt_f32_u32_e32 v13, v17
.LBB103_12:                             ;   in Loop: Header=BB103_10 Depth=1
	s_clause 0x1
	buffer_load_b128 v[14:17], v2, s[24:27], 0 offen
	buffer_load_b128 v[21:24], v2, s[24:27], 16 offen
	s_waitcnt vmcnt(1)
	v_dual_mul_f32 v19, v6, v14 :: v_dual_mul_f32 v20, v7, v15
	v_dual_mul_f32 v14, v8, v16 :: v_dual_mul_f32 v15, v9, v17
	s_waitcnt vmcnt(0)
	v_dual_mul_f32 v16, v10, v21 :: v_dual_mul_f32 v17, v11, v22
	s_delay_alu instid0(VALU_DEP_3) | instskip(SKIP_1) | instid1(VALU_DEP_2)
	v_max3_f32 v18, |v19|, 0x2edbe6ff, |v20|
	v_mul_f32_e32 v21, v13, v24
	v_max3_f32 v22, v18, |v14|, |v15|
	v_mul_f32_e32 v18, v12, v23
	s_delay_alu instid0(VALU_DEP_2) | instskip(NEXT) | instid1(VALU_DEP_1)
	v_max3_f32 v22, v22, |v16|, |v17|
	v_max3_f32 v22, v22, |v18|, |v21|
	s_delay_alu instid0(VALU_DEP_1) | instskip(NEXT) | instid1(VALU_DEP_1)
	v_mov_b32_dpp v23, v22 quad_perm:[1,0,3,2] row_mask:0xf bank_mask:0xf
	v_cmp_gt_f32_e64 s2, v22, v23
	s_delay_alu instid0(VALU_DEP_1) | instskip(NEXT) | instid1(VALU_DEP_1)
	v_cndmask_b32_e64 v22, v23, v22, s2
	v_mov_b32_dpp v23, v22 quad_perm:[2,3,0,1] row_mask:0xf bank_mask:0xf
	s_delay_alu instid0(VALU_DEP_1) | instskip(NEXT) | instid1(VALU_DEP_1)
	v_cmp_gt_f32_e64 s2, v22, v23
	v_cndmask_b32_e64 v22, v23, v22, s2
	s_delay_alu instid0(VALU_DEP_1) | instskip(NEXT) | instid1(VALU_DEP_1)
	v_mov_b32_dpp v23, v22 row_xmask:7 row_mask:0xf bank_mask:0xf
	v_cmp_gt_f32_e64 s2, v22, v23
	s_delay_alu instid0(VALU_DEP_1) | instskip(NEXT) | instid1(VALU_DEP_1)
	v_cndmask_b32_e64 v22, v23, v22, s2
	v_mov_b32_dpp v23, v22 row_xmask:15 row_mask:0xf bank_mask:0xf
	s_delay_alu instid0(VALU_DEP_1)
	v_cmp_gt_f32_e64 s2, v22, v23
	s_and_saveexec_b32 s20, vcc_lo
	s_cbranch_execz .LBB103_14
; %bb.13:                               ;   in Loop: Header=BB103_10 Depth=1
	s_delay_alu instid0(VALU_DEP_1) | instskip(NEXT) | instid1(VALU_DEP_1)
	v_cndmask_b32_e64 v22, v23, v22, s2
	v_permlanex16_b32 v23, v22, s18, 0xfedcba98 op_sel:[1,1]
	s_delay_alu instid0(VALU_DEP_1) | instskip(NEXT) | instid1(VALU_DEP_1)
	v_cmp_gt_f32_e64 s2, v22, v23
	v_cndmask_b32_e64 v22, v23, v22, s2
	ds_store_b32 v3, v22
.LBB103_14:                             ;   in Loop: Header=BB103_10 Depth=1
	s_or_b32 exec_lo, exec_lo, s20
	s_waitcnt lgkmcnt(0)
	s_waitcnt_vscnt null, 0x0
	s_barrier
	buffer_gl0_inv
	ds_load_b32 v22, v4
	s_mul_hi_u32 s20, s3, s39
	s_xor_b32 s28, s28, s38
	s_mul_i32 s21, s20, s35
	s_waitcnt lgkmcnt(0)
	v_mov_b32_dpp v23, v22 quad_perm:[1,0,3,2] row_mask:0xf bank_mask:0xf
	s_delay_alu instid0(VALU_DEP_1) | instskip(NEXT) | instid1(VALU_DEP_1)
	v_cmp_gt_f32_e64 s2, v22, v23
	v_cndmask_b32_e64 v22, v23, v22, s2
	s_sub_i32 s2, s3, s21
	s_add_i32 s3, s20, 1
	s_sub_i32 s21, s2, s35
	s_cmp_ge_u32 s2, s35
	v_mov_b32_dpp v23, v22 quad_perm:[2,3,0,1] row_mask:0xf bank_mask:0xf
	s_cselect_b32 s3, s3, s20
	s_cselect_b32 s20, s21, s2
	s_delay_alu instid0(VALU_DEP_1) | instskip(NEXT) | instid1(VALU_DEP_1)
	v_cmp_gt_f32_e64 s2, v22, v23
	v_cndmask_b32_e64 v22, v23, v22, s2
	s_add_i32 s2, s3, 1
	s_cmp_ge_u32 s20, s35
	s_cselect_b32 s2, s2, s3
	s_delay_alu instid0(VALU_DEP_1) | instskip(SKIP_1) | instid1(SALU_CYCLE_1)
	v_mov_b32_dpp v23, v22 row_xmask:7 row_mask:0xf bank_mask:0xf
	s_xor_b32 s2, s2, s28
	s_sub_i32 s3, s2, s28
	s_delay_alu instid0(VALU_DEP_1) | instskip(NEXT) | instid1(VALU_DEP_1)
	v_cmp_gt_f32_e64 s2, v22, v23
	v_cndmask_b32_e64 v22, v23, v22, s2
	s_mul_i32 s2, s3, s5
	s_mul_i32 s3, s3, s9
	s_sub_i32 s2, s4, s2
	s_delay_alu instid0(VALU_DEP_1) | instskip(SKIP_1) | instid1(SALU_CYCLE_1)
	v_mul_f32_e32 v22, 0x3c010204, v22
	s_mul_i32 s2, s2, s10
	s_add_i32 s2, s2, s3
	s_and_saveexec_b32 s20, s0
	s_cbranch_execz .LBB103_16
; %bb.15:                               ;   in Loop: Header=BB103_10 Depth=1
	s_ashr_i32 s3, s2, 31
	s_delay_alu instid0(SALU_CYCLE_1) | instskip(NEXT) | instid1(SALU_CYCLE_1)
	s_lshl_b64 s[28:29], s[2:3], 2
	s_add_u32 s28, s14, s28
	s_addc_u32 s29, s15, s29
	global_store_b32 v5, v22, s[28:29]
.LBB103_16:                             ;   in Loop: Header=BB103_10 Depth=1
	s_or_b32 exec_lo, exec_lo, s20
	s_and_saveexec_b32 s3, s1
	s_cbranch_execz .LBB103_9
; %bb.17:                               ;   in Loop: Header=BB103_10 Depth=1
	v_rcp_f32_e32 v22, v22
	s_mul_i32 s20, s2, s33
	s_mul_hi_i32 s2, s2, s33
	s_add_u32 s28, s12, s20
	s_addc_u32 s2, s13, s2
	s_mov_b32 s31, s23
	s_and_b32 s29, s2, 0xffff
	s_waitcnt_depctr 0xfff
	v_mul_f32_e32 v16, v16, v22
	v_mul_f32_e32 v17, v17, v22
	;; [unrolled: 1-line block ×4, first 2 shown]
	s_delay_alu instid0(VALU_DEP_4) | instskip(NEXT) | instid1(VALU_DEP_4)
	v_cvt_i32_f32_e32 v16, v16
	v_cvt_i32_f32_e32 v17, v17
	s_delay_alu instid0(VALU_DEP_4) | instskip(NEXT) | instid1(VALU_DEP_4)
	v_cvt_i32_f32_e32 v18, v18
	v_cvt_i32_f32_e32 v21, v21
	s_delay_alu instid0(VALU_DEP_4) | instskip(NEXT) | instid1(VALU_DEP_4)
	v_dual_mul_f32 v19, v19, v22 :: v_dual_and_b32 v16, 0xff, v16
	v_lshlrev_b16 v17, 8, v17
	s_delay_alu instid0(VALU_DEP_4) | instskip(NEXT) | instid1(VALU_DEP_4)
	v_and_b32_e32 v18, 0xff, v18
	v_lshlrev_b16 v21, 8, v21
	s_delay_alu instid0(VALU_DEP_4)
	v_cvt_i32_f32_e32 v19, v19
	v_mul_f32_e32 v20, v20, v22
	v_or_b32_e32 v16, v16, v17
	v_mul_f32_e32 v14, v14, v22
	v_or_b32_e32 v17, v18, v21
	v_mul_f32_e32 v15, v15, v22
	v_and_b32_e32 v19, 0xff, v19
	v_cvt_i32_f32_e32 v20, v20
	v_cvt_i32_f32_e32 v14, v14
	s_delay_alu instid0(VALU_DEP_4) | instskip(NEXT) | instid1(VALU_DEP_3)
	v_cvt_i32_f32_e32 v15, v15
	v_lshlrev_b16 v20, 8, v20
	s_delay_alu instid0(VALU_DEP_3) | instskip(NEXT) | instid1(VALU_DEP_3)
	v_and_b32_e32 v14, 0xff, v14
	v_lshlrev_b16 v15, 8, v15
	s_delay_alu instid0(VALU_DEP_3) | instskip(NEXT) | instid1(VALU_DEP_2)
	v_or_b32_e32 v18, v19, v20
	v_or_b32_e32 v14, v14, v15
	v_and_b32_e32 v15, 0xffff, v16
	v_lshlrev_b32_e32 v16, 16, v17
	s_delay_alu instid0(VALU_DEP_4) | instskip(NEXT) | instid1(VALU_DEP_4)
	v_and_b32_e32 v17, 0xffff, v18
	v_lshlrev_b32_e32 v14, 16, v14
	s_delay_alu instid0(VALU_DEP_3) | instskip(NEXT) | instid1(VALU_DEP_2)
	v_or_b32_e32 v15, v15, v16
	v_or_b32_e32 v14, v17, v14
	buffer_store_b64 v[14:15], v0, s[28:31], 0 offen
	;;#ASMSTART
	s_nop 0
	;;#ASMEND
	s_branch .LBB103_9
.LBB103_18:
	s_nop 0
	s_sendmsg sendmsg(MSG_DEALLOC_VGPRS)
	s_endpgm
.LBB103_19:
                                        ; implicit-def: $sgpr4
	s_branch .LBB103_2
	.section	.rodata,"a",@progbits
	.p2align	6, 0x0
	.amdhsa_kernel _ZN5aiter36smooth_per_token_scaled_quant_kernelItaLi256ELi8ELb1ELb0ELb0ELi1024EEEvPT0_PfPT_S3_PiS6_iiPKiiiiiiiii
		.amdhsa_group_segment_fixed_size 32
		.amdhsa_private_segment_fixed_size 0
		.amdhsa_kernarg_size 96
		.amdhsa_user_sgpr_count 15
		.amdhsa_user_sgpr_dispatch_ptr 0
		.amdhsa_user_sgpr_queue_ptr 0
		.amdhsa_user_sgpr_kernarg_segment_ptr 1
		.amdhsa_user_sgpr_dispatch_id 0
		.amdhsa_user_sgpr_private_segment_size 0
		.amdhsa_wavefront_size32 1
		.amdhsa_uses_dynamic_stack 0
		.amdhsa_enable_private_segment 0
		.amdhsa_system_sgpr_workgroup_id_x 1
		.amdhsa_system_sgpr_workgroup_id_y 0
		.amdhsa_system_sgpr_workgroup_id_z 0
		.amdhsa_system_sgpr_workgroup_info 0
		.amdhsa_system_vgpr_workitem_id 0
		.amdhsa_next_free_vgpr 25
		.amdhsa_next_free_sgpr 40
		.amdhsa_reserve_vcc 1
		.amdhsa_float_round_mode_32 0
		.amdhsa_float_round_mode_16_64 0
		.amdhsa_float_denorm_mode_32 3
		.amdhsa_float_denorm_mode_16_64 3
		.amdhsa_dx10_clamp 1
		.amdhsa_ieee_mode 1
		.amdhsa_fp16_overflow 0
		.amdhsa_workgroup_processor_mode 1
		.amdhsa_memory_ordered 1
		.amdhsa_forward_progress 0
		.amdhsa_shared_vgpr_count 0
		.amdhsa_exception_fp_ieee_invalid_op 0
		.amdhsa_exception_fp_denorm_src 0
		.amdhsa_exception_fp_ieee_div_zero 0
		.amdhsa_exception_fp_ieee_overflow 0
		.amdhsa_exception_fp_ieee_underflow 0
		.amdhsa_exception_fp_ieee_inexact 0
		.amdhsa_exception_int_div_zero 0
	.end_amdhsa_kernel
	.section	.text._ZN5aiter36smooth_per_token_scaled_quant_kernelItaLi256ELi8ELb1ELb0ELb0ELi1024EEEvPT0_PfPT_S3_PiS6_iiPKiiiiiiiii,"axG",@progbits,_ZN5aiter36smooth_per_token_scaled_quant_kernelItaLi256ELi8ELb1ELb0ELb0ELi1024EEEvPT0_PfPT_S3_PiS6_iiPKiiiiiiiii,comdat
.Lfunc_end103:
	.size	_ZN5aiter36smooth_per_token_scaled_quant_kernelItaLi256ELi8ELb1ELb0ELb0ELi1024EEEvPT0_PfPT_S3_PiS6_iiPKiiiiiiiii, .Lfunc_end103-_ZN5aiter36smooth_per_token_scaled_quant_kernelItaLi256ELi8ELb1ELb0ELb0ELi1024EEEvPT0_PfPT_S3_PiS6_iiPKiiiiiiiii
                                        ; -- End function
	.section	.AMDGPU.csdata,"",@progbits
; Kernel info:
; codeLenInByte = 1664
; NumSgprs: 42
; NumVgprs: 25
; ScratchSize: 0
; MemoryBound: 0
; FloatMode: 240
; IeeeMode: 1
; LDSByteSize: 32 bytes/workgroup (compile time only)
; SGPRBlocks: 5
; VGPRBlocks: 3
; NumSGPRsForWavesPerEU: 42
; NumVGPRsForWavesPerEU: 25
; Occupancy: 16
; WaveLimiterHint : 0
; COMPUTE_PGM_RSRC2:SCRATCH_EN: 0
; COMPUTE_PGM_RSRC2:USER_SGPR: 15
; COMPUTE_PGM_RSRC2:TRAP_HANDLER: 0
; COMPUTE_PGM_RSRC2:TGID_X_EN: 1
; COMPUTE_PGM_RSRC2:TGID_Y_EN: 0
; COMPUTE_PGM_RSRC2:TGID_Z_EN: 0
; COMPUTE_PGM_RSRC2:TIDIG_COMP_CNT: 0
	.section	.text._ZN5aiter36smooth_per_token_scaled_quant_kernelIDF16_aLi256ELi8ELb0ELb1ELb1ELi1024EEEvPT0_PfPT_S3_PiS6_iiPKiiiiiiiii,"axG",@progbits,_ZN5aiter36smooth_per_token_scaled_quant_kernelIDF16_aLi256ELi8ELb0ELb1ELb1ELi1024EEEvPT0_PfPT_S3_PiS6_iiPKiiiiiiiii,comdat
	.protected	_ZN5aiter36smooth_per_token_scaled_quant_kernelIDF16_aLi256ELi8ELb0ELb1ELb1ELi1024EEEvPT0_PfPT_S3_PiS6_iiPKiiiiiiiii ; -- Begin function _ZN5aiter36smooth_per_token_scaled_quant_kernelIDF16_aLi256ELi8ELb0ELb1ELb1ELi1024EEEvPT0_PfPT_S3_PiS6_iiPKiiiiiiiii
	.globl	_ZN5aiter36smooth_per_token_scaled_quant_kernelIDF16_aLi256ELi8ELb0ELb1ELb1ELi1024EEEvPT0_PfPT_S3_PiS6_iiPKiiiiiiiii
	.p2align	8
	.type	_ZN5aiter36smooth_per_token_scaled_quant_kernelIDF16_aLi256ELi8ELb0ELb1ELb1ELi1024EEEvPT0_PfPT_S3_PiS6_iiPKiiiiiiiii,@function
_ZN5aiter36smooth_per_token_scaled_quant_kernelIDF16_aLi256ELi8ELb0ELb1ELb1ELi1024EEEvPT0_PfPT_S3_PiS6_iiPKiiiiiiiii: ; @_ZN5aiter36smooth_per_token_scaled_quant_kernelIDF16_aLi256ELi8ELb0ELb1ELb1ELi1024EEEvPT0_PfPT_S3_PiS6_iiPKiiiiiiiii
; %bb.0:
	s_clause 0x2
	s_load_b64 s[2:3], s[0:1], 0x38
	s_load_b64 s[16:17], s[0:1], 0x28
	s_load_b256 s[4:11], s[0:1], 0x40
	s_waitcnt lgkmcnt(0)
	s_cmp_lg_u64 s[2:3], 0
	s_cbranch_scc0 .LBB104_11
; %bb.1:
	s_load_b32 s2, s[2:3], 0x0
	s_waitcnt lgkmcnt(0)
	s_mul_i32 s4, s2, s4
	s_cbranch_execnz .LBB104_3
.LBB104_2:
	s_mul_i32 s4, s6, s5
.LBB104_3:
	s_load_b64 s[2:3], s[0:1], 0x30
	s_lshl_b32 s18, s11, 2
	s_and_b32 s17, s17, 0xffff
	s_mov_b32 s19, -1
	s_abs_i32 s13, s4
	s_waitcnt lgkmcnt(0)
	s_abs_i32 s5, s2
	s_delay_alu instid0(SALU_CYCLE_1) | instskip(SKIP_1) | instid1(VALU_DEP_1)
	v_cvt_f32_u32_e32 v6, s5
	s_sub_i32 s12, 0, s5
	v_rcp_iflag_f32_e32 v6, v6
	s_waitcnt_depctr 0xfff
	v_dual_mul_f32 v6, 0x4f7ffffe, v6 :: v_dual_lshlrev_b32 v1, 2, v0
	s_clause 0x3
	buffer_load_b32 v2, v1, s[16:19], 0 offen
	buffer_load_b32 v3, v1, s[16:19], 0 offen offset:1024
	buffer_load_b32 v4, v1, s[16:19], 0 offen offset:2048
	;; [unrolled: 1-line block ×3, first 2 shown]
	s_waitcnt vmcnt(2)
	ds_store_2addr_stride64_b32 v1, v2, v3 offset1:4
	s_waitcnt vmcnt(0)
	ds_store_2addr_stride64_b32 v1, v4, v5 offset0:8 offset1:12
	v_cvt_u32_f32_e32 v6, v6
	s_delay_alu instid0(VALU_DEP_1) | instskip(NEXT) | instid1(VALU_DEP_1)
	v_readfirstlane_b32 s11, v6
	s_mul_i32 s12, s12, s11
	s_delay_alu instid0(SALU_CYCLE_1) | instskip(NEXT) | instid1(SALU_CYCLE_1)
	s_mul_hi_u32 s12, s11, s12
	s_add_i32 s11, s11, s12
	s_xor_b32 s12, s4, s2
	s_mul_hi_u32 s11, s13, s11
	s_ashr_i32 s12, s12, 31
	s_mul_i32 s14, s11, s5
	s_delay_alu instid0(SALU_CYCLE_1)
	s_sub_i32 s13, s13, s14
	s_add_i32 s14, s11, 1
	s_sub_i32 s16, s13, s5
	s_cmp_ge_u32 s13, s5
	s_cselect_b32 s11, s14, s11
	s_cselect_b32 s13, s16, s13
	s_add_i32 s14, s11, 1
	s_cmp_ge_u32 s13, s5
	s_cselect_b32 s5, s14, s11
	s_delay_alu instid0(SALU_CYCLE_1) | instskip(NEXT) | instid1(SALU_CYCLE_1)
	s_xor_b32 s5, s5, s12
	s_sub_i32 s11, s5, s12
	s_delay_alu instid0(SALU_CYCLE_1) | instskip(NEXT) | instid1(SALU_CYCLE_1)
	s_mul_i32 s2, s11, s2
	s_sub_i32 s12, s4, s2
                                        ; implicit-def: $sgpr4
	s_delay_alu instid0(SALU_CYCLE_1)
	s_cmp_lt_u32 s15, s12
	s_cselect_b32 s2, -1, 0
	s_add_i32 s5, s11, 1
	s_cmp_ge_u32 s15, s12
	s_cbranch_scc0 .LBB104_5
; %bb.4:
	s_sub_i32 s4, s15, s12
	s_mul_i32 s12, s12, s5
	s_mul_i32 s4, s4, s11
	s_mov_b32 s19, 0
	s_add_i32 s4, s4, s12
.LBB104_5:
	s_and_not1_b32 vcc_lo, exec_lo, s19
	s_cbranch_vccnz .LBB104_7
; %bb.6:
	s_mul_i32 s4, s5, s15
.LBB104_7:
	v_cndmask_b32_e64 v1, 0, 1, s2
	s_delay_alu instid0(VALU_DEP_1) | instskip(NEXT) | instid1(VALU_DEP_1)
	v_readfirstlane_b32 s2, v1
	s_add_i32 s11, s11, s2
	s_delay_alu instid0(SALU_CYCLE_1)
	s_cmp_lt_i32 s11, 1
	s_cbranch_scc1 .LBB104_35
; %bb.8:
	s_load_b64 s[12:13], s[0:1], 0x20
	s_ashr_i32 s5, s4, 31
	v_and_b32_e32 v1, 31, v0
	s_lshl_b64 s[14:15], s[4:5], 2
	s_mov_b32 s34, -1
	v_and_b32_e32 v4, 7, v0
	s_mov_b32 s23, s34
	v_cmp_eq_u32_e32 vcc_lo, 31, v1
	v_lshlrev_b32_e32 v8, 4, v0
	v_lshlrev_b32_e32 v9, 5, v0
	v_lshl_or_b32 v11, v4, 2, 0x1000
	v_lshlrev_b32_e32 v13, 3, v0
	s_mov_b32 s41, s3
	s_waitcnt lgkmcnt(0)
	s_add_u32 s20, s12, s14
	s_addc_u32 s2, s13, s15
	s_abs_i32 s33, s6
	s_lshl_b32 s22, s11, 2
	v_cvt_f32_u32_e32 v3, s33
	s_and_b32 s21, s2, 0xffff
	s_load_b256 s[12:19], s[0:1], 0x0
	s_movk_i32 s0, 0x7c
	s_add_i32 s1, s3, 7
	v_rcp_iflag_f32_e32 v3, v3
	v_lshlrev_b32_e32 v14, 2, v1
	v_lshrrev_b32_e32 v1, 3, v0
	s_ashr_i32 s2, s1, 31
	s_lshl_b32 s26, s3, 1
	s_lshr_b32 s2, s2, 29
	s_lshl_b32 s30, s3, 2
	v_and_or_b32 v10, v1, s0, 0x1000
	s_add_i32 s1, s1, s2
	v_cmp_eq_u32_e64 s0, 0, v0
	s_waitcnt_depctr 0xfff
	v_mul_f32_e32 v1, 0x4f7ffffe, v3
	buffer_load_b32 v2, v14, s[20:23], 0 offen
	s_waitcnt vmcnt(0) expcnt(0) lgkmcnt(0)
	s_barrier
	buffer_gl0_inv
	v_cvt_u32_f32_e32 v1, v1
	s_add_i32 s23, s3, 3
	s_ashr_i32 s1, s1, 3
	s_ashr_i32 s2, s23, 31
	v_cmp_gt_u32_e64 s1, s1, v0
	v_readfirstlane_b32 s40, v1
	s_lshr_b32 s2, s2, 30
	s_ashr_i32 s35, s6, 31
	s_add_i32 s23, s23, s2
	s_sub_i32 s2, 0, s33
	s_and_b32 s38, s23, -4
	s_mul_i32 s23, s2, s40
	s_delay_alu instid0(SALU_CYCLE_1) | instskip(NEXT) | instid1(SALU_CYCLE_1)
	s_mul_hi_u32 s23, s40, s23
	s_add_i32 s40, s40, s23
	v_lshlrev_b32_e32 v2, 2, v2
	ds_load_b32 v12, v2
	s_waitcnt lgkmcnt(0)
	v_readlane_b32 s2, v12, 0
	s_delay_alu instid0(VALU_DEP_1)
	s_cmp_lt_i32 s2, 0
	s_cbranch_scc1 .LBB104_12
; %bb.9:
	s_abs_i32 s23, s4
	s_xor_b32 s5, s5, s35
	s_mul_hi_u32 s24, s23, s40
	s_mov_b32 s31, -1
	s_mul_i32 s25, s24, s33
	s_delay_alu instid0(SALU_CYCLE_1)
	s_sub_i32 s23, s23, s25
	s_add_i32 s25, s24, 1
	s_sub_i32 s27, s23, s33
	s_cmp_ge_u32 s23, s33
	s_cselect_b32 s24, s25, s24
	s_cselect_b32 s23, s27, s23
	s_add_i32 s25, s24, 1
	s_cmp_ge_u32 s23, s33
	s_cselect_b32 s23, s25, s24
	s_delay_alu instid0(SALU_CYCLE_1) | instskip(NEXT) | instid1(SALU_CYCLE_1)
	s_xor_b32 s23, s23, s5
	s_sub_i32 s5, s23, s5
	s_delay_alu instid0(SALU_CYCLE_1) | instskip(SKIP_2) | instid1(SALU_CYCLE_1)
	s_mul_i32 s23, s5, s6
	s_mul_i32 s25, s5, s7
	s_sub_i32 s23, s4, s23
	s_mul_i32 s24, s23, s8
	s_delay_alu instid0(SALU_CYCLE_1) | instskip(NEXT) | instid1(SALU_CYCLE_1)
	s_add_i32 s34, s24, s25
	s_cmp_eq_u32 s34, -1
	s_cbranch_scc1 .LBB104_13
; %bb.10:
	s_mul_hi_i32 s25, s34, s41
	s_mul_i32 s24, s34, s41
	s_mov_b32 s27, s31
	s_lshl_b64 s[24:25], s[24:25], 1
	s_delay_alu instid0(SALU_CYCLE_1) | instskip(SKIP_1) | instid1(SALU_CYCLE_1)
	s_add_u32 s24, s16, s24
	s_addc_u32 s25, s17, s25
	s_and_b32 s25, s25, 0xffff
	buffer_load_b128 v[3:6], v8, s[24:27], 0 offen
	s_waitcnt vmcnt(0)
	v_cvt_f32_f16_e32 v0, v3
	v_lshrrev_b32_e32 v1, 16, v3
	v_cvt_f32_f16_e32 v2, v4
	v_lshrrev_b32_e32 v3, 16, v4
	;; [unrolled: 2-line block ×3, first 2 shown]
	v_lshrrev_b32_e32 v7, 16, v6
	v_cvt_f32_f16_e32 v6, v6
	v_cvt_f32_f16_e32 v1, v1
	;; [unrolled: 1-line block ×5, first 2 shown]
	s_branch .LBB104_14
.LBB104_11:
                                        ; implicit-def: $sgpr4
	s_branch .LBB104_2
.LBB104_12:
                                        ; implicit-def: $vgpr0_vgpr1_vgpr2_vgpr3_vgpr4_vgpr5_vgpr6_vgpr7
	s_cmp_eq_u32 s11, 1
	s_mov_b32 s5, 1
	s_cbranch_scc0 .LBB104_21
	s_branch .LBB104_35
.LBB104_13:
                                        ; implicit-def: $vgpr0_vgpr1_vgpr2_vgpr3_vgpr4_vgpr5_vgpr6_vgpr7
.LBB104_14:
	s_mul_i32 s24, s2, s3
	s_delay_alu instid0(SALU_CYCLE_1) | instskip(NEXT) | instid1(SALU_CYCLE_1)
	s_ashr_i32 s25, s24, 31
	s_lshl_b64 s[24:25], s[24:25], 2
	s_delay_alu instid0(SALU_CYCLE_1) | instskip(SKIP_1) | instid1(SALU_CYCLE_1)
	s_add_u32 s28, s18, s24
	s_addc_u32 s2, s19, s25
	s_and_b32 s29, s2, 0xffff
	s_clause 0x1
	buffer_load_b128 v[15:18], v9, s[28:31], 0 offen
	buffer_load_b128 v[23:26], v9, s[28:31], 16 offen
	s_waitcnt vmcnt(1)
	v_dual_mul_f32 v21, v0, v15 :: v_dual_mul_f32 v22, v1, v16
	v_dual_mul_f32 v15, v2, v17 :: v_dual_mul_f32 v16, v3, v18
	s_waitcnt vmcnt(0)
	v_dual_mul_f32 v17, v4, v23 :: v_dual_mul_f32 v18, v5, v24
	s_delay_alu instid0(VALU_DEP_3) | instskip(SKIP_1) | instid1(VALU_DEP_2)
	v_max3_f32 v19, |v21|, 0x2edbe6ff, |v22|
	v_mul_f32_e32 v20, v7, v26
	v_max3_f32 v23, v19, |v15|, |v16|
	v_mul_f32_e32 v19, v6, v25
	s_delay_alu instid0(VALU_DEP_2) | instskip(NEXT) | instid1(VALU_DEP_1)
	v_max3_f32 v23, v23, |v17|, |v18|
	v_max3_f32 v23, v23, |v19|, |v20|
	s_delay_alu instid0(VALU_DEP_1) | instskip(NEXT) | instid1(VALU_DEP_1)
	v_mov_b32_dpp v24, v23 quad_perm:[1,0,3,2] row_mask:0xf bank_mask:0xf
	v_cmp_gt_f32_e64 s2, v23, v24
	s_delay_alu instid0(VALU_DEP_1) | instskip(NEXT) | instid1(VALU_DEP_1)
	v_cndmask_b32_e64 v23, v24, v23, s2
	v_mov_b32_dpp v24, v23 quad_perm:[2,3,0,1] row_mask:0xf bank_mask:0xf
	s_delay_alu instid0(VALU_DEP_1) | instskip(NEXT) | instid1(VALU_DEP_1)
	v_cmp_gt_f32_e64 s2, v23, v24
	v_cndmask_b32_e64 v23, v24, v23, s2
	s_delay_alu instid0(VALU_DEP_1) | instskip(NEXT) | instid1(VALU_DEP_1)
	v_mov_b32_dpp v24, v23 row_xmask:7 row_mask:0xf bank_mask:0xf
	v_cmp_gt_f32_e64 s2, v23, v24
	s_delay_alu instid0(VALU_DEP_1) | instskip(NEXT) | instid1(VALU_DEP_1)
	v_cndmask_b32_e64 v23, v24, v23, s2
	v_mov_b32_dpp v24, v23 row_xmask:15 row_mask:0xf bank_mask:0xf
	s_delay_alu instid0(VALU_DEP_1)
	v_cmp_gt_f32_e64 s2, v23, v24
	s_and_saveexec_b32 s24, vcc_lo
	s_cbranch_execz .LBB104_16
; %bb.15:
	s_delay_alu instid0(VALU_DEP_1)
	v_cndmask_b32_e64 v23, v24, v23, s2
	s_mov_b32 s2, 0x76543210
	s_delay_alu instid0(VALU_DEP_1) | instid1(SALU_CYCLE_1)
	v_permlanex16_b32 v24, v23, s2, 0xfedcba98 op_sel:[1,1]
	s_delay_alu instid0(VALU_DEP_1) | instskip(NEXT) | instid1(VALU_DEP_1)
	v_cmp_gt_f32_e64 s2, v23, v24
	v_cndmask_b32_e64 v23, v24, v23, s2
	ds_store_b32 v10, v23
.LBB104_16:
	s_or_b32 exec_lo, exec_lo, s24
	s_waitcnt lgkmcnt(0)
	s_barrier
	buffer_gl0_inv
	ds_load_b32 v23, v11
	s_mul_i32 s5, s5, s9
	s_waitcnt lgkmcnt(0)
	v_mov_b32_dpp v24, v23 quad_perm:[1,0,3,2] row_mask:0xf bank_mask:0xf
	s_delay_alu instid0(VALU_DEP_1) | instskip(NEXT) | instid1(VALU_DEP_1)
	v_cmp_gt_f32_e64 s2, v23, v24
	v_cndmask_b32_e64 v23, v24, v23, s2
	s_delay_alu instid0(VALU_DEP_1) | instskip(NEXT) | instid1(VALU_DEP_1)
	v_mov_b32_dpp v24, v23 quad_perm:[2,3,0,1] row_mask:0xf bank_mask:0xf
	v_cmp_gt_f32_e64 s2, v23, v24
	s_delay_alu instid0(VALU_DEP_1) | instskip(NEXT) | instid1(VALU_DEP_1)
	v_cndmask_b32_e64 v23, v24, v23, s2
	v_mov_b32_dpp v24, v23 row_xmask:7 row_mask:0xf bank_mask:0xf
	s_delay_alu instid0(VALU_DEP_1) | instskip(NEXT) | instid1(VALU_DEP_1)
	v_cmp_gt_f32_e64 s2, v23, v24
	v_cndmask_b32_e64 v23, v24, v23, s2
	s_mul_i32 s2, s23, s10
	s_delay_alu instid0(SALU_CYCLE_1) | instskip(NEXT) | instid1(VALU_DEP_1)
	s_add_i32 s24, s2, s5
	v_mul_f32_e32 v23, 0x3c010204, v23
	s_and_saveexec_b32 s2, s0
	s_cbranch_execz .LBB104_18
; %bb.17:
	s_ashr_i32 s25, s24, 31
	v_mov_b32_e32 v24, 0
	s_lshl_b64 s[28:29], s[24:25], 2
	s_delay_alu instid0(SALU_CYCLE_1)
	s_add_u32 s28, s14, s28
	s_addc_u32 s29, s15, s29
	global_store_b32 v24, v23, s[28:29]
.LBB104_18:
	s_or_b32 exec_lo, exec_lo, s2
	s_and_saveexec_b32 s2, s1
	s_cbranch_execz .LBB104_20
; %bb.19:
	v_rcp_f32_e32 v23, v23
	s_mul_i32 s5, s24, s41
	s_mul_hi_i32 s23, s24, s41
	s_add_u32 s36, s12, s5
	s_addc_u32 s5, s13, s23
	s_mov_b32 s39, -1
	s_and_b32 s37, s5, 0xffff
	s_waitcnt_depctr 0xfff
	v_mul_f32_e32 v17, v17, v23
	v_mul_f32_e32 v18, v18, v23
	;; [unrolled: 1-line block ×5, first 2 shown]
	v_cvt_i32_f32_e32 v17, v17
	v_cvt_i32_f32_e32 v18, v18
	v_mul_f32_e32 v22, v22, v23
	v_cvt_i32_f32_e32 v15, v15
	v_cvt_i32_f32_e32 v16, v16
	v_and_b32_e32 v17, 0xff, v17
	v_lshlrev_b16 v18, 8, v18
	v_mul_f32_e32 v20, v20, v23
	v_and_b32_e32 v15, 0xff, v15
	v_lshlrev_b16 v16, 8, v16
	v_cvt_i32_f32_e32 v22, v22
	v_or_b32_e32 v17, v17, v18
	v_mul_f32_e32 v21, v21, v23
	v_cvt_i32_f32_e32 v20, v20
	v_cvt_i32_f32_e32 v19, v19
	v_or_b32_e32 v15, v15, v16
	v_and_b32_e32 v16, 0xffff, v17
	v_cvt_i32_f32_e32 v21, v21
	v_lshlrev_b16 v20, 8, v20
	v_and_b32_e32 v19, 0xff, v19
	v_lshlrev_b16 v22, 8, v22
	v_lshlrev_b32_e32 v15, 16, v15
	v_and_b32_e32 v21, 0xff, v21
	s_delay_alu instid0(VALU_DEP_4) | instskip(NEXT) | instid1(VALU_DEP_2)
	v_or_b32_e32 v18, v19, v20
	v_or_b32_e32 v19, v21, v22
	s_delay_alu instid0(VALU_DEP_2) | instskip(NEXT) | instid1(VALU_DEP_2)
	v_lshlrev_b32_e32 v17, 16, v18
	v_and_b32_e32 v18, 0xffff, v19
	s_delay_alu instid0(VALU_DEP_2) | instskip(NEXT) | instid1(VALU_DEP_2)
	v_or_b32_e32 v16, v16, v17
	v_or_b32_e32 v15, v18, v15
	buffer_store_b64 v[15:16], v13, s[36:39], 0 offen
	;;#ASMSTART
	s_nop 0
	;;#ASMEND
.LBB104_20:
	s_or_b32 exec_lo, exec_lo, s2
	s_cmp_eq_u32 s11, 1
	s_mov_b32 s5, 1
	s_cbranch_scc1 .LBB104_35
.LBB104_21:
	v_dual_mov_b32 v15, 0 :: v_dual_add_nc_u32 v14, 4, v14
	s_mov_b32 s31, -1
	s_mov_b32 s42, 0x76543210
	s_branch .LBB104_24
.LBB104_22:                             ;   in Loop: Header=BB104_24 Depth=1
	s_or_b32 exec_lo, exec_lo, s2
.LBB104_23:                             ;   in Loop: Header=BB104_24 Depth=1
	v_add_nc_u32_e32 v14, 4, v14
	s_add_i32 s5, s5, 1
	s_delay_alu instid0(SALU_CYCLE_1)
	s_cmp_eq_u32 s11, s5
	s_cbranch_scc1 .LBB104_35
.LBB104_24:                             ; =>This Inner Loop Header: Depth=1
	s_and_b32 s2, s5, 31
	s_delay_alu instid0(SALU_CYCLE_1)
	s_cmp_lg_u32 s2, 0
	s_cbranch_scc1 .LBB104_26
; %bb.25:                               ;   in Loop: Header=BB104_24 Depth=1
	s_mov_b32 s23, s31
	buffer_load_b32 v12, v14, s[20:23], 0 offen
	s_waitcnt vmcnt(0) expcnt(0) lgkmcnt(55)
	v_lshlrev_b32_e32 v12, 2, v12
	ds_load_b32 v12, v12
.LBB104_26:                             ;   in Loop: Header=BB104_24 Depth=1
	s_waitcnt lgkmcnt(0)
	v_readlane_b32 s2, v12, s2
	s_delay_alu instid0(VALU_DEP_1)
	s_cmp_lt_i32 s2, 0
	s_cbranch_scc1 .LBB104_23
; %bb.27:                               ;   in Loop: Header=BB104_24 Depth=1
	s_add_i32 s24, s4, s5
	s_delay_alu instid0(SALU_CYCLE_1) | instskip(SKIP_4) | instid1(SALU_CYCLE_1)
	s_abs_i32 s23, s24
	s_ashr_i32 s27, s24, 31
	s_mul_hi_u32 s25, s23, s40
	s_xor_b32 s27, s27, s35
	s_mul_i32 s28, s25, s33
	s_sub_i32 s23, s23, s28
	s_add_i32 s28, s25, 1
	s_sub_i32 s29, s23, s33
	s_cmp_ge_u32 s23, s33
	s_cselect_b32 s25, s28, s25
	s_cselect_b32 s23, s29, s23
	s_add_i32 s28, s25, 1
	s_cmp_ge_u32 s23, s33
	s_cselect_b32 s23, s28, s25
	s_delay_alu instid0(SALU_CYCLE_1) | instskip(NEXT) | instid1(SALU_CYCLE_1)
	s_xor_b32 s23, s23, s27
	s_sub_i32 s23, s23, s27
	s_delay_alu instid0(SALU_CYCLE_1) | instskip(NEXT) | instid1(SALU_CYCLE_1)
	s_mul_i32 s25, s23, s6
	s_sub_i32 s36, s24, s25
	s_mul_i32 s24, s23, s7
	s_mul_i32 s28, s36, s8
	s_delay_alu instid0(SALU_CYCLE_1) | instskip(NEXT) | instid1(SALU_CYCLE_1)
	s_add_i32 s28, s28, s24
	s_cmp_eq_u32 s28, s34
	s_cbranch_scc1 .LBB104_29
; %bb.28:                               ;   in Loop: Header=BB104_24 Depth=1
	s_mul_hi_i32 s25, s28, s41
	s_mul_i32 s24, s28, s41
	s_mov_b32 s27, s31
	s_lshl_b64 s[24:25], s[24:25], 1
	s_mov_b32 s34, s28
	s_add_u32 s24, s16, s24
	s_addc_u32 s25, s17, s25
	s_delay_alu instid0(SALU_CYCLE_1)
	s_and_b32 s25, s25, 0xffff
	buffer_load_b128 v[3:6], v8, s[24:27], 0 offen
	s_waitcnt vmcnt(0)
	v_cvt_f32_f16_e32 v0, v3
	v_lshrrev_b32_e32 v1, 16, v3
	v_cvt_f32_f16_e32 v2, v4
	v_lshrrev_b32_e32 v3, 16, v4
	;; [unrolled: 2-line block ×3, first 2 shown]
	v_lshrrev_b32_e32 v7, 16, v6
	v_cvt_f32_f16_e32 v6, v6
	v_cvt_f32_f16_e32 v1, v1
	;; [unrolled: 1-line block ×5, first 2 shown]
.LBB104_29:                             ;   in Loop: Header=BB104_24 Depth=1
	s_mul_i32 s24, s2, s3
	s_delay_alu instid0(SALU_CYCLE_1) | instskip(NEXT) | instid1(SALU_CYCLE_1)
	s_ashr_i32 s25, s24, 31
	s_lshl_b64 s[24:25], s[24:25], 2
	s_delay_alu instid0(SALU_CYCLE_1) | instskip(SKIP_1) | instid1(SALU_CYCLE_1)
	s_add_u32 s28, s18, s24
	s_addc_u32 s2, s19, s25
	s_and_b32 s29, s2, 0xffff
	s_clause 0x1
	buffer_load_b128 v[16:19], v9, s[28:31], 0 offen
	buffer_load_b128 v[24:27], v9, s[28:31], 16 offen
	s_waitcnt vmcnt(1)
	v_dual_mul_f32 v22, v0, v16 :: v_dual_mul_f32 v23, v1, v17
	v_dual_mul_f32 v16, v2, v18 :: v_dual_mul_f32 v17, v3, v19
	s_waitcnt vmcnt(0)
	v_dual_mul_f32 v18, v4, v24 :: v_dual_mul_f32 v19, v5, v25
	s_delay_alu instid0(VALU_DEP_3) | instskip(SKIP_1) | instid1(VALU_DEP_2)
	v_max3_f32 v20, |v22|, 0x2edbe6ff, |v23|
	v_mul_f32_e32 v21, v7, v27
	v_max3_f32 v24, v20, |v16|, |v17|
	v_mul_f32_e32 v20, v6, v26
	s_delay_alu instid0(VALU_DEP_2) | instskip(NEXT) | instid1(VALU_DEP_1)
	v_max3_f32 v24, v24, |v18|, |v19|
	v_max3_f32 v24, v24, |v20|, |v21|
	s_delay_alu instid0(VALU_DEP_1) | instskip(NEXT) | instid1(VALU_DEP_1)
	v_mov_b32_dpp v25, v24 quad_perm:[1,0,3,2] row_mask:0xf bank_mask:0xf
	v_cmp_gt_f32_e64 s2, v24, v25
	s_delay_alu instid0(VALU_DEP_1) | instskip(NEXT) | instid1(VALU_DEP_1)
	v_cndmask_b32_e64 v24, v25, v24, s2
	v_mov_b32_dpp v25, v24 quad_perm:[2,3,0,1] row_mask:0xf bank_mask:0xf
	s_delay_alu instid0(VALU_DEP_1) | instskip(NEXT) | instid1(VALU_DEP_1)
	v_cmp_gt_f32_e64 s2, v24, v25
	v_cndmask_b32_e64 v24, v25, v24, s2
	s_delay_alu instid0(VALU_DEP_1) | instskip(NEXT) | instid1(VALU_DEP_1)
	v_mov_b32_dpp v25, v24 row_xmask:7 row_mask:0xf bank_mask:0xf
	v_cmp_gt_f32_e64 s2, v24, v25
	s_delay_alu instid0(VALU_DEP_1) | instskip(NEXT) | instid1(VALU_DEP_1)
	v_cndmask_b32_e64 v24, v25, v24, s2
	v_mov_b32_dpp v25, v24 row_xmask:15 row_mask:0xf bank_mask:0xf
	s_delay_alu instid0(VALU_DEP_1)
	v_cmp_gt_f32_e64 s2, v24, v25
	s_and_saveexec_b32 s24, vcc_lo
	s_cbranch_execz .LBB104_31
; %bb.30:                               ;   in Loop: Header=BB104_24 Depth=1
	s_delay_alu instid0(VALU_DEP_1) | instskip(NEXT) | instid1(VALU_DEP_1)
	v_cndmask_b32_e64 v24, v25, v24, s2
	v_permlanex16_b32 v25, v24, s42, 0xfedcba98 op_sel:[1,1]
	s_delay_alu instid0(VALU_DEP_1) | instskip(NEXT) | instid1(VALU_DEP_1)
	v_cmp_gt_f32_e64 s2, v24, v25
	v_cndmask_b32_e64 v24, v25, v24, s2
	ds_store_b32 v10, v24
.LBB104_31:                             ;   in Loop: Header=BB104_24 Depth=1
	s_or_b32 exec_lo, exec_lo, s24
	s_waitcnt lgkmcnt(0)
	s_waitcnt_vscnt null, 0x0
	s_barrier
	buffer_gl0_inv
	ds_load_b32 v24, v11
	s_mul_i32 s23, s23, s9
	s_waitcnt lgkmcnt(0)
	v_mov_b32_dpp v25, v24 quad_perm:[1,0,3,2] row_mask:0xf bank_mask:0xf
	s_delay_alu instid0(VALU_DEP_1) | instskip(NEXT) | instid1(VALU_DEP_1)
	v_cmp_gt_f32_e64 s2, v24, v25
	v_cndmask_b32_e64 v24, v25, v24, s2
	s_delay_alu instid0(VALU_DEP_1) | instskip(NEXT) | instid1(VALU_DEP_1)
	v_mov_b32_dpp v25, v24 quad_perm:[2,3,0,1] row_mask:0xf bank_mask:0xf
	v_cmp_gt_f32_e64 s2, v24, v25
	s_delay_alu instid0(VALU_DEP_1) | instskip(NEXT) | instid1(VALU_DEP_1)
	v_cndmask_b32_e64 v24, v25, v24, s2
	v_mov_b32_dpp v25, v24 row_xmask:7 row_mask:0xf bank_mask:0xf
	s_delay_alu instid0(VALU_DEP_1) | instskip(NEXT) | instid1(VALU_DEP_1)
	v_cmp_gt_f32_e64 s2, v24, v25
	v_cndmask_b32_e64 v24, v25, v24, s2
	s_mul_i32 s2, s36, s10
	s_delay_alu instid0(SALU_CYCLE_1) | instskip(NEXT) | instid1(VALU_DEP_1)
	s_add_i32 s24, s2, s23
	v_mul_f32_e32 v24, 0x3c010204, v24
	s_and_saveexec_b32 s2, s0
	s_cbranch_execz .LBB104_33
; %bb.32:                               ;   in Loop: Header=BB104_24 Depth=1
	s_ashr_i32 s25, s24, 31
	s_delay_alu instid0(SALU_CYCLE_1) | instskip(NEXT) | instid1(SALU_CYCLE_1)
	s_lshl_b64 s[28:29], s[24:25], 2
	s_add_u32 s28, s14, s28
	s_addc_u32 s29, s15, s29
	global_store_b32 v15, v24, s[28:29]
.LBB104_33:                             ;   in Loop: Header=BB104_24 Depth=1
	s_or_b32 exec_lo, exec_lo, s2
	s_and_saveexec_b32 s2, s1
	s_cbranch_execz .LBB104_22
; %bb.34:                               ;   in Loop: Header=BB104_24 Depth=1
	v_rcp_f32_e32 v24, v24
	s_mul_i32 s23, s24, s41
	s_mul_hi_i32 s24, s24, s41
	s_add_u32 s36, s12, s23
	s_addc_u32 s23, s13, s24
	s_mov_b32 s39, s31
	s_and_b32 s37, s23, 0xffff
	s_waitcnt_depctr 0xfff
	v_mul_f32_e32 v18, v18, v24
	v_mul_f32_e32 v19, v19, v24
	;; [unrolled: 1-line block ×5, first 2 shown]
	v_cvt_i32_f32_e32 v18, v18
	v_cvt_i32_f32_e32 v19, v19
	v_mul_f32_e32 v23, v23, v24
	v_cvt_i32_f32_e32 v16, v16
	v_cvt_i32_f32_e32 v17, v17
	v_and_b32_e32 v18, 0xff, v18
	v_lshlrev_b16 v19, 8, v19
	v_mul_f32_e32 v21, v21, v24
	v_and_b32_e32 v16, 0xff, v16
	v_lshlrev_b16 v17, 8, v17
	v_cvt_i32_f32_e32 v23, v23
	v_or_b32_e32 v18, v18, v19
	v_mul_f32_e32 v22, v22, v24
	v_cvt_i32_f32_e32 v21, v21
	v_cvt_i32_f32_e32 v20, v20
	v_or_b32_e32 v16, v16, v17
	v_and_b32_e32 v17, 0xffff, v18
	v_cvt_i32_f32_e32 v22, v22
	v_lshlrev_b16 v21, 8, v21
	v_and_b32_e32 v20, 0xff, v20
	v_lshlrev_b16 v23, 8, v23
	v_lshlrev_b32_e32 v16, 16, v16
	v_and_b32_e32 v22, 0xff, v22
	s_delay_alu instid0(VALU_DEP_4) | instskip(NEXT) | instid1(VALU_DEP_2)
	v_or_b32_e32 v19, v20, v21
	v_or_b32_e32 v20, v22, v23
	s_delay_alu instid0(VALU_DEP_2) | instskip(NEXT) | instid1(VALU_DEP_2)
	v_lshlrev_b32_e32 v18, 16, v19
	v_and_b32_e32 v19, 0xffff, v20
	s_delay_alu instid0(VALU_DEP_2) | instskip(NEXT) | instid1(VALU_DEP_2)
	v_or_b32_e32 v17, v17, v18
	v_or_b32_e32 v16, v19, v16
	buffer_store_b64 v[16:17], v13, s[36:39], 0 offen
	;;#ASMSTART
	s_nop 0
	;;#ASMEND
	s_branch .LBB104_22
.LBB104_35:
	s_nop 0
	s_sendmsg sendmsg(MSG_DEALLOC_VGPRS)
	s_endpgm
	.section	.rodata,"a",@progbits
	.p2align	6, 0x0
	.amdhsa_kernel _ZN5aiter36smooth_per_token_scaled_quant_kernelIDF16_aLi256ELi8ELb0ELb1ELb1ELi1024EEEvPT0_PfPT_S3_PiS6_iiPKiiiiiiiii
		.amdhsa_group_segment_fixed_size 4128
		.amdhsa_private_segment_fixed_size 0
		.amdhsa_kernarg_size 96
		.amdhsa_user_sgpr_count 15
		.amdhsa_user_sgpr_dispatch_ptr 0
		.amdhsa_user_sgpr_queue_ptr 0
		.amdhsa_user_sgpr_kernarg_segment_ptr 1
		.amdhsa_user_sgpr_dispatch_id 0
		.amdhsa_user_sgpr_private_segment_size 0
		.amdhsa_wavefront_size32 1
		.amdhsa_uses_dynamic_stack 0
		.amdhsa_enable_private_segment 0
		.amdhsa_system_sgpr_workgroup_id_x 1
		.amdhsa_system_sgpr_workgroup_id_y 0
		.amdhsa_system_sgpr_workgroup_id_z 0
		.amdhsa_system_sgpr_workgroup_info 0
		.amdhsa_system_vgpr_workitem_id 0
		.amdhsa_next_free_vgpr 28
		.amdhsa_next_free_sgpr 43
		.amdhsa_reserve_vcc 1
		.amdhsa_float_round_mode_32 0
		.amdhsa_float_round_mode_16_64 0
		.amdhsa_float_denorm_mode_32 3
		.amdhsa_float_denorm_mode_16_64 3
		.amdhsa_dx10_clamp 1
		.amdhsa_ieee_mode 1
		.amdhsa_fp16_overflow 0
		.amdhsa_workgroup_processor_mode 1
		.amdhsa_memory_ordered 1
		.amdhsa_forward_progress 0
		.amdhsa_shared_vgpr_count 0
		.amdhsa_exception_fp_ieee_invalid_op 0
		.amdhsa_exception_fp_denorm_src 0
		.amdhsa_exception_fp_ieee_div_zero 0
		.amdhsa_exception_fp_ieee_overflow 0
		.amdhsa_exception_fp_ieee_underflow 0
		.amdhsa_exception_fp_ieee_inexact 0
		.amdhsa_exception_int_div_zero 0
	.end_amdhsa_kernel
	.section	.text._ZN5aiter36smooth_per_token_scaled_quant_kernelIDF16_aLi256ELi8ELb0ELb1ELb1ELi1024EEEvPT0_PfPT_S3_PiS6_iiPKiiiiiiiii,"axG",@progbits,_ZN5aiter36smooth_per_token_scaled_quant_kernelIDF16_aLi256ELi8ELb0ELb1ELb1ELi1024EEEvPT0_PfPT_S3_PiS6_iiPKiiiiiiiii,comdat
.Lfunc_end104:
	.size	_ZN5aiter36smooth_per_token_scaled_quant_kernelIDF16_aLi256ELi8ELb0ELb1ELb1ELi1024EEEvPT0_PfPT_S3_PiS6_iiPKiiiiiiiii, .Lfunc_end104-_ZN5aiter36smooth_per_token_scaled_quant_kernelIDF16_aLi256ELi8ELb0ELb1ELb1ELi1024EEEvPT0_PfPT_S3_PiS6_iiPKiiiiiiiii
                                        ; -- End function
	.section	.AMDGPU.csdata,"",@progbits
; Kernel info:
; codeLenInByte = 2808
; NumSgprs: 45
; NumVgprs: 28
; ScratchSize: 0
; MemoryBound: 0
; FloatMode: 240
; IeeeMode: 1
; LDSByteSize: 4128 bytes/workgroup (compile time only)
; SGPRBlocks: 5
; VGPRBlocks: 3
; NumSGPRsForWavesPerEU: 45
; NumVGPRsForWavesPerEU: 28
; Occupancy: 16
; WaveLimiterHint : 0
; COMPUTE_PGM_RSRC2:SCRATCH_EN: 0
; COMPUTE_PGM_RSRC2:USER_SGPR: 15
; COMPUTE_PGM_RSRC2:TRAP_HANDLER: 0
; COMPUTE_PGM_RSRC2:TGID_X_EN: 1
; COMPUTE_PGM_RSRC2:TGID_Y_EN: 0
; COMPUTE_PGM_RSRC2:TGID_Z_EN: 0
; COMPUTE_PGM_RSRC2:TIDIG_COMP_CNT: 0
	.section	.text._ZN5aiter36smooth_per_token_scaled_quant_kernelItaLi256ELi8ELb0ELb1ELb1ELi1024EEEvPT0_PfPT_S3_PiS6_iiPKiiiiiiiii,"axG",@progbits,_ZN5aiter36smooth_per_token_scaled_quant_kernelItaLi256ELi8ELb0ELb1ELb1ELi1024EEEvPT0_PfPT_S3_PiS6_iiPKiiiiiiiii,comdat
	.protected	_ZN5aiter36smooth_per_token_scaled_quant_kernelItaLi256ELi8ELb0ELb1ELb1ELi1024EEEvPT0_PfPT_S3_PiS6_iiPKiiiiiiiii ; -- Begin function _ZN5aiter36smooth_per_token_scaled_quant_kernelItaLi256ELi8ELb0ELb1ELb1ELi1024EEEvPT0_PfPT_S3_PiS6_iiPKiiiiiiiii
	.globl	_ZN5aiter36smooth_per_token_scaled_quant_kernelItaLi256ELi8ELb0ELb1ELb1ELi1024EEEvPT0_PfPT_S3_PiS6_iiPKiiiiiiiii
	.p2align	8
	.type	_ZN5aiter36smooth_per_token_scaled_quant_kernelItaLi256ELi8ELb0ELb1ELb1ELi1024EEEvPT0_PfPT_S3_PiS6_iiPKiiiiiiiii,@function
_ZN5aiter36smooth_per_token_scaled_quant_kernelItaLi256ELi8ELb0ELb1ELb1ELi1024EEEvPT0_PfPT_S3_PiS6_iiPKiiiiiiiii: ; @_ZN5aiter36smooth_per_token_scaled_quant_kernelItaLi256ELi8ELb0ELb1ELb1ELi1024EEEvPT0_PfPT_S3_PiS6_iiPKiiiiiiiii
; %bb.0:
	s_clause 0x2
	s_load_b64 s[2:3], s[0:1], 0x38
	s_load_b64 s[16:17], s[0:1], 0x28
	s_load_b256 s[4:11], s[0:1], 0x40
	s_waitcnt lgkmcnt(0)
	s_cmp_lg_u64 s[2:3], 0
	s_cbranch_scc0 .LBB105_11
; %bb.1:
	s_load_b32 s2, s[2:3], 0x0
	s_waitcnt lgkmcnt(0)
	s_mul_i32 s4, s2, s4
	s_cbranch_execnz .LBB105_3
.LBB105_2:
	s_mul_i32 s4, s6, s5
.LBB105_3:
	s_load_b64 s[2:3], s[0:1], 0x30
	s_lshl_b32 s18, s11, 2
	s_and_b32 s17, s17, 0xffff
	s_mov_b32 s19, -1
	s_abs_i32 s13, s4
	s_waitcnt lgkmcnt(0)
	s_abs_i32 s5, s2
	s_delay_alu instid0(SALU_CYCLE_1) | instskip(SKIP_1) | instid1(VALU_DEP_1)
	v_cvt_f32_u32_e32 v6, s5
	s_sub_i32 s12, 0, s5
	v_rcp_iflag_f32_e32 v6, v6
	s_waitcnt_depctr 0xfff
	v_dual_mul_f32 v6, 0x4f7ffffe, v6 :: v_dual_lshlrev_b32 v1, 2, v0
	s_clause 0x3
	buffer_load_b32 v2, v1, s[16:19], 0 offen
	buffer_load_b32 v3, v1, s[16:19], 0 offen offset:1024
	buffer_load_b32 v4, v1, s[16:19], 0 offen offset:2048
	;; [unrolled: 1-line block ×3, first 2 shown]
	s_waitcnt vmcnt(2)
	ds_store_2addr_stride64_b32 v1, v2, v3 offset1:4
	s_waitcnt vmcnt(0)
	ds_store_2addr_stride64_b32 v1, v4, v5 offset0:8 offset1:12
	v_cvt_u32_f32_e32 v6, v6
	s_delay_alu instid0(VALU_DEP_1) | instskip(NEXT) | instid1(VALU_DEP_1)
	v_readfirstlane_b32 s11, v6
	s_mul_i32 s12, s12, s11
	s_delay_alu instid0(SALU_CYCLE_1) | instskip(NEXT) | instid1(SALU_CYCLE_1)
	s_mul_hi_u32 s12, s11, s12
	s_add_i32 s11, s11, s12
	s_xor_b32 s12, s4, s2
	s_mul_hi_u32 s11, s13, s11
	s_ashr_i32 s12, s12, 31
	s_mul_i32 s14, s11, s5
	s_delay_alu instid0(SALU_CYCLE_1)
	s_sub_i32 s13, s13, s14
	s_add_i32 s14, s11, 1
	s_sub_i32 s16, s13, s5
	s_cmp_ge_u32 s13, s5
	s_cselect_b32 s11, s14, s11
	s_cselect_b32 s13, s16, s13
	s_add_i32 s14, s11, 1
	s_cmp_ge_u32 s13, s5
	s_cselect_b32 s5, s14, s11
	s_delay_alu instid0(SALU_CYCLE_1) | instskip(NEXT) | instid1(SALU_CYCLE_1)
	s_xor_b32 s5, s5, s12
	s_sub_i32 s11, s5, s12
	s_delay_alu instid0(SALU_CYCLE_1) | instskip(NEXT) | instid1(SALU_CYCLE_1)
	s_mul_i32 s2, s11, s2
	s_sub_i32 s12, s4, s2
                                        ; implicit-def: $sgpr4
	s_delay_alu instid0(SALU_CYCLE_1)
	s_cmp_lt_u32 s15, s12
	s_cselect_b32 s2, -1, 0
	s_add_i32 s5, s11, 1
	s_cmp_ge_u32 s15, s12
	s_cbranch_scc0 .LBB105_5
; %bb.4:
	s_sub_i32 s4, s15, s12
	s_mul_i32 s12, s12, s5
	s_mul_i32 s4, s4, s11
	s_mov_b32 s19, 0
	s_add_i32 s4, s4, s12
.LBB105_5:
	s_and_not1_b32 vcc_lo, exec_lo, s19
	s_cbranch_vccnz .LBB105_7
; %bb.6:
	s_mul_i32 s4, s5, s15
.LBB105_7:
	v_cndmask_b32_e64 v1, 0, 1, s2
	s_delay_alu instid0(VALU_DEP_1) | instskip(NEXT) | instid1(VALU_DEP_1)
	v_readfirstlane_b32 s2, v1
	s_add_i32 s11, s11, s2
	s_delay_alu instid0(SALU_CYCLE_1)
	s_cmp_lt_i32 s11, 1
	s_cbranch_scc1 .LBB105_35
; %bb.8:
	s_load_b64 s[12:13], s[0:1], 0x20
	s_ashr_i32 s5, s4, 31
	v_and_b32_e32 v1, 31, v0
	s_lshl_b64 s[14:15], s[4:5], 2
	s_mov_b32 s34, -1
	v_and_b32_e32 v4, 7, v0
	s_mov_b32 s23, s34
	v_cmp_eq_u32_e32 vcc_lo, 31, v1
	v_lshlrev_b32_e32 v8, 4, v0
	v_lshlrev_b32_e32 v9, 5, v0
	v_lshl_or_b32 v11, v4, 2, 0x1000
	v_lshlrev_b32_e32 v13, 3, v0
	s_mov_b32 s41, s3
	s_waitcnt lgkmcnt(0)
	s_add_u32 s20, s12, s14
	s_addc_u32 s2, s13, s15
	s_abs_i32 s33, s6
	s_lshl_b32 s22, s11, 2
	v_cvt_f32_u32_e32 v3, s33
	s_and_b32 s21, s2, 0xffff
	s_load_b256 s[12:19], s[0:1], 0x0
	s_movk_i32 s0, 0x7c
	s_add_i32 s1, s3, 7
	v_rcp_iflag_f32_e32 v3, v3
	v_lshlrev_b32_e32 v14, 2, v1
	v_lshrrev_b32_e32 v1, 3, v0
	s_ashr_i32 s2, s1, 31
	s_lshl_b32 s26, s3, 1
	s_lshr_b32 s2, s2, 29
	s_lshl_b32 s30, s3, 2
	v_and_or_b32 v10, v1, s0, 0x1000
	s_add_i32 s1, s1, s2
	v_cmp_eq_u32_e64 s0, 0, v0
	s_waitcnt_depctr 0xfff
	v_mul_f32_e32 v1, 0x4f7ffffe, v3
	buffer_load_b32 v2, v14, s[20:23], 0 offen
	s_waitcnt vmcnt(0) expcnt(0) lgkmcnt(0)
	s_barrier
	buffer_gl0_inv
	v_cvt_u32_f32_e32 v1, v1
	s_add_i32 s23, s3, 3
	s_ashr_i32 s1, s1, 3
	s_ashr_i32 s2, s23, 31
	v_cmp_gt_u32_e64 s1, s1, v0
	v_readfirstlane_b32 s40, v1
	s_lshr_b32 s2, s2, 30
	s_ashr_i32 s35, s6, 31
	s_add_i32 s23, s23, s2
	s_sub_i32 s2, 0, s33
	s_and_b32 s38, s23, -4
	s_mul_i32 s23, s2, s40
	s_delay_alu instid0(SALU_CYCLE_1) | instskip(NEXT) | instid1(SALU_CYCLE_1)
	s_mul_hi_u32 s23, s40, s23
	s_add_i32 s40, s40, s23
	v_lshlrev_b32_e32 v2, 2, v2
	ds_load_b32 v12, v2
	s_waitcnt lgkmcnt(0)
	v_readlane_b32 s2, v12, 0
	s_delay_alu instid0(VALU_DEP_1)
	s_cmp_lt_i32 s2, 0
	s_cbranch_scc1 .LBB105_12
; %bb.9:
	s_abs_i32 s23, s4
	s_xor_b32 s5, s5, s35
	s_mul_hi_u32 s24, s23, s40
	s_mov_b32 s31, -1
	s_mul_i32 s25, s24, s33
	s_delay_alu instid0(SALU_CYCLE_1)
	s_sub_i32 s23, s23, s25
	s_add_i32 s25, s24, 1
	s_sub_i32 s27, s23, s33
	s_cmp_ge_u32 s23, s33
	s_cselect_b32 s24, s25, s24
	s_cselect_b32 s23, s27, s23
	s_add_i32 s25, s24, 1
	s_cmp_ge_u32 s23, s33
	s_cselect_b32 s23, s25, s24
	s_delay_alu instid0(SALU_CYCLE_1) | instskip(NEXT) | instid1(SALU_CYCLE_1)
	s_xor_b32 s23, s23, s5
	s_sub_i32 s5, s23, s5
	s_delay_alu instid0(SALU_CYCLE_1) | instskip(SKIP_2) | instid1(SALU_CYCLE_1)
	s_mul_i32 s23, s5, s6
	s_mul_i32 s25, s5, s7
	s_sub_i32 s23, s4, s23
	s_mul_i32 s24, s23, s8
	s_delay_alu instid0(SALU_CYCLE_1) | instskip(NEXT) | instid1(SALU_CYCLE_1)
	s_add_i32 s34, s24, s25
	s_cmp_eq_u32 s34, -1
	s_cbranch_scc1 .LBB105_13
; %bb.10:
	s_mul_hi_i32 s25, s34, s41
	s_mul_i32 s24, s34, s41
	s_mov_b32 s27, s31
	s_lshl_b64 s[24:25], s[24:25], 1
	s_delay_alu instid0(SALU_CYCLE_1) | instskip(SKIP_1) | instid1(SALU_CYCLE_1)
	s_add_u32 s24, s16, s24
	s_addc_u32 s25, s17, s25
	s_and_b32 s25, s25, 0xffff
	buffer_load_b128 v[0:3], v8, s[24:27], 0 offen
	s_waitcnt vmcnt(0)
	v_lshrrev_b32_e32 v4, 16, v0
	v_and_b32_e32 v0, 0xffff, v0
	v_lshrrev_b32_e32 v5, 16, v1
	v_and_b32_e32 v6, 0xffff, v1
	;; [unrolled: 2-line block ×4, first 2 shown]
	v_cvt_f32_u32_e32 v1, v4
	v_cvt_f32_u32_e32 v0, v0
	;; [unrolled: 1-line block ×8, first 2 shown]
	s_branch .LBB105_14
.LBB105_11:
                                        ; implicit-def: $sgpr4
	s_branch .LBB105_2
.LBB105_12:
                                        ; implicit-def: $vgpr0_vgpr1_vgpr2_vgpr3_vgpr4_vgpr5_vgpr6_vgpr7
	s_cmp_eq_u32 s11, 1
	s_mov_b32 s5, 1
	s_cbranch_scc0 .LBB105_21
	s_branch .LBB105_35
.LBB105_13:
                                        ; implicit-def: $vgpr0_vgpr1_vgpr2_vgpr3_vgpr4_vgpr5_vgpr6_vgpr7
.LBB105_14:
	s_mul_i32 s24, s2, s3
	s_delay_alu instid0(SALU_CYCLE_1) | instskip(NEXT) | instid1(SALU_CYCLE_1)
	s_ashr_i32 s25, s24, 31
	s_lshl_b64 s[24:25], s[24:25], 2
	s_delay_alu instid0(SALU_CYCLE_1) | instskip(SKIP_1) | instid1(SALU_CYCLE_1)
	s_add_u32 s28, s18, s24
	s_addc_u32 s2, s19, s25
	s_and_b32 s29, s2, 0xffff
	s_clause 0x1
	buffer_load_b128 v[15:18], v9, s[28:31], 0 offen
	buffer_load_b128 v[23:26], v9, s[28:31], 16 offen
	s_waitcnt vmcnt(1)
	v_dual_mul_f32 v21, v0, v15 :: v_dual_mul_f32 v22, v1, v16
	v_dual_mul_f32 v15, v2, v17 :: v_dual_mul_f32 v16, v3, v18
	s_waitcnt vmcnt(0)
	v_dual_mul_f32 v17, v4, v23 :: v_dual_mul_f32 v18, v5, v24
	s_delay_alu instid0(VALU_DEP_3) | instskip(SKIP_1) | instid1(VALU_DEP_2)
	v_max3_f32 v19, |v21|, 0x2edbe6ff, |v22|
	v_mul_f32_e32 v20, v7, v26
	v_max3_f32 v23, v19, |v15|, |v16|
	v_mul_f32_e32 v19, v6, v25
	s_delay_alu instid0(VALU_DEP_2) | instskip(NEXT) | instid1(VALU_DEP_1)
	v_max3_f32 v23, v23, |v17|, |v18|
	v_max3_f32 v23, v23, |v19|, |v20|
	s_delay_alu instid0(VALU_DEP_1) | instskip(NEXT) | instid1(VALU_DEP_1)
	v_mov_b32_dpp v24, v23 quad_perm:[1,0,3,2] row_mask:0xf bank_mask:0xf
	v_cmp_gt_f32_e64 s2, v23, v24
	s_delay_alu instid0(VALU_DEP_1) | instskip(NEXT) | instid1(VALU_DEP_1)
	v_cndmask_b32_e64 v23, v24, v23, s2
	v_mov_b32_dpp v24, v23 quad_perm:[2,3,0,1] row_mask:0xf bank_mask:0xf
	s_delay_alu instid0(VALU_DEP_1) | instskip(NEXT) | instid1(VALU_DEP_1)
	v_cmp_gt_f32_e64 s2, v23, v24
	v_cndmask_b32_e64 v23, v24, v23, s2
	s_delay_alu instid0(VALU_DEP_1) | instskip(NEXT) | instid1(VALU_DEP_1)
	v_mov_b32_dpp v24, v23 row_xmask:7 row_mask:0xf bank_mask:0xf
	v_cmp_gt_f32_e64 s2, v23, v24
	s_delay_alu instid0(VALU_DEP_1) | instskip(NEXT) | instid1(VALU_DEP_1)
	v_cndmask_b32_e64 v23, v24, v23, s2
	v_mov_b32_dpp v24, v23 row_xmask:15 row_mask:0xf bank_mask:0xf
	s_delay_alu instid0(VALU_DEP_1)
	v_cmp_gt_f32_e64 s2, v23, v24
	s_and_saveexec_b32 s24, vcc_lo
	s_cbranch_execz .LBB105_16
; %bb.15:
	s_delay_alu instid0(VALU_DEP_1)
	v_cndmask_b32_e64 v23, v24, v23, s2
	s_mov_b32 s2, 0x76543210
	s_delay_alu instid0(VALU_DEP_1) | instid1(SALU_CYCLE_1)
	v_permlanex16_b32 v24, v23, s2, 0xfedcba98 op_sel:[1,1]
	s_delay_alu instid0(VALU_DEP_1) | instskip(NEXT) | instid1(VALU_DEP_1)
	v_cmp_gt_f32_e64 s2, v23, v24
	v_cndmask_b32_e64 v23, v24, v23, s2
	ds_store_b32 v10, v23
.LBB105_16:
	s_or_b32 exec_lo, exec_lo, s24
	s_waitcnt lgkmcnt(0)
	s_barrier
	buffer_gl0_inv
	ds_load_b32 v23, v11
	s_mul_i32 s5, s5, s9
	s_waitcnt lgkmcnt(0)
	v_mov_b32_dpp v24, v23 quad_perm:[1,0,3,2] row_mask:0xf bank_mask:0xf
	s_delay_alu instid0(VALU_DEP_1) | instskip(NEXT) | instid1(VALU_DEP_1)
	v_cmp_gt_f32_e64 s2, v23, v24
	v_cndmask_b32_e64 v23, v24, v23, s2
	s_delay_alu instid0(VALU_DEP_1) | instskip(NEXT) | instid1(VALU_DEP_1)
	v_mov_b32_dpp v24, v23 quad_perm:[2,3,0,1] row_mask:0xf bank_mask:0xf
	v_cmp_gt_f32_e64 s2, v23, v24
	s_delay_alu instid0(VALU_DEP_1) | instskip(NEXT) | instid1(VALU_DEP_1)
	v_cndmask_b32_e64 v23, v24, v23, s2
	v_mov_b32_dpp v24, v23 row_xmask:7 row_mask:0xf bank_mask:0xf
	s_delay_alu instid0(VALU_DEP_1) | instskip(NEXT) | instid1(VALU_DEP_1)
	v_cmp_gt_f32_e64 s2, v23, v24
	v_cndmask_b32_e64 v23, v24, v23, s2
	s_mul_i32 s2, s23, s10
	s_delay_alu instid0(SALU_CYCLE_1) | instskip(NEXT) | instid1(VALU_DEP_1)
	s_add_i32 s24, s2, s5
	v_mul_f32_e32 v23, 0x3c010204, v23
	s_and_saveexec_b32 s2, s0
	s_cbranch_execz .LBB105_18
; %bb.17:
	s_ashr_i32 s25, s24, 31
	v_mov_b32_e32 v24, 0
	s_lshl_b64 s[28:29], s[24:25], 2
	s_delay_alu instid0(SALU_CYCLE_1)
	s_add_u32 s28, s14, s28
	s_addc_u32 s29, s15, s29
	global_store_b32 v24, v23, s[28:29]
.LBB105_18:
	s_or_b32 exec_lo, exec_lo, s2
	s_and_saveexec_b32 s2, s1
	s_cbranch_execz .LBB105_20
; %bb.19:
	v_rcp_f32_e32 v23, v23
	s_mul_i32 s5, s24, s41
	s_mul_hi_i32 s23, s24, s41
	s_add_u32 s36, s12, s5
	s_addc_u32 s5, s13, s23
	s_mov_b32 s39, -1
	s_and_b32 s37, s5, 0xffff
	s_waitcnt_depctr 0xfff
	v_mul_f32_e32 v17, v17, v23
	v_mul_f32_e32 v18, v18, v23
	v_mul_f32_e32 v15, v15, v23
	v_mul_f32_e32 v16, v16, v23
	v_mul_f32_e32 v19, v19, v23
	v_cvt_i32_f32_e32 v17, v17
	v_cvt_i32_f32_e32 v18, v18
	v_mul_f32_e32 v22, v22, v23
	v_cvt_i32_f32_e32 v15, v15
	v_cvt_i32_f32_e32 v16, v16
	v_and_b32_e32 v17, 0xff, v17
	v_lshlrev_b16 v18, 8, v18
	v_mul_f32_e32 v20, v20, v23
	v_and_b32_e32 v15, 0xff, v15
	v_lshlrev_b16 v16, 8, v16
	v_cvt_i32_f32_e32 v22, v22
	v_or_b32_e32 v17, v17, v18
	v_mul_f32_e32 v21, v21, v23
	v_cvt_i32_f32_e32 v20, v20
	v_cvt_i32_f32_e32 v19, v19
	v_or_b32_e32 v15, v15, v16
	v_and_b32_e32 v16, 0xffff, v17
	v_cvt_i32_f32_e32 v21, v21
	v_lshlrev_b16 v20, 8, v20
	v_and_b32_e32 v19, 0xff, v19
	v_lshlrev_b16 v22, 8, v22
	v_lshlrev_b32_e32 v15, 16, v15
	v_and_b32_e32 v21, 0xff, v21
	s_delay_alu instid0(VALU_DEP_4) | instskip(NEXT) | instid1(VALU_DEP_2)
	v_or_b32_e32 v18, v19, v20
	v_or_b32_e32 v19, v21, v22
	s_delay_alu instid0(VALU_DEP_2) | instskip(NEXT) | instid1(VALU_DEP_2)
	v_lshlrev_b32_e32 v17, 16, v18
	v_and_b32_e32 v18, 0xffff, v19
	s_delay_alu instid0(VALU_DEP_2) | instskip(NEXT) | instid1(VALU_DEP_2)
	v_or_b32_e32 v16, v16, v17
	v_or_b32_e32 v15, v18, v15
	buffer_store_b64 v[15:16], v13, s[36:39], 0 offen
	;;#ASMSTART
	s_nop 0
	;;#ASMEND
.LBB105_20:
	s_or_b32 exec_lo, exec_lo, s2
	s_cmp_eq_u32 s11, 1
	s_mov_b32 s5, 1
	s_cbranch_scc1 .LBB105_35
.LBB105_21:
	v_dual_mov_b32 v15, 0 :: v_dual_add_nc_u32 v14, 4, v14
	s_mov_b32 s31, -1
	s_mov_b32 s42, 0x76543210
	s_branch .LBB105_24
.LBB105_22:                             ;   in Loop: Header=BB105_24 Depth=1
	s_or_b32 exec_lo, exec_lo, s2
.LBB105_23:                             ;   in Loop: Header=BB105_24 Depth=1
	v_add_nc_u32_e32 v14, 4, v14
	s_add_i32 s5, s5, 1
	s_delay_alu instid0(SALU_CYCLE_1)
	s_cmp_eq_u32 s11, s5
	s_cbranch_scc1 .LBB105_35
.LBB105_24:                             ; =>This Inner Loop Header: Depth=1
	s_and_b32 s2, s5, 31
	s_delay_alu instid0(SALU_CYCLE_1)
	s_cmp_lg_u32 s2, 0
	s_cbranch_scc1 .LBB105_26
; %bb.25:                               ;   in Loop: Header=BB105_24 Depth=1
	s_mov_b32 s23, s31
	buffer_load_b32 v12, v14, s[20:23], 0 offen
	s_waitcnt vmcnt(0) expcnt(0) lgkmcnt(55)
	v_lshlrev_b32_e32 v12, 2, v12
	ds_load_b32 v12, v12
.LBB105_26:                             ;   in Loop: Header=BB105_24 Depth=1
	s_waitcnt lgkmcnt(0)
	v_readlane_b32 s2, v12, s2
	s_delay_alu instid0(VALU_DEP_1)
	s_cmp_lt_i32 s2, 0
	s_cbranch_scc1 .LBB105_23
; %bb.27:                               ;   in Loop: Header=BB105_24 Depth=1
	s_add_i32 s24, s4, s5
	s_delay_alu instid0(SALU_CYCLE_1) | instskip(SKIP_4) | instid1(SALU_CYCLE_1)
	s_abs_i32 s23, s24
	s_ashr_i32 s27, s24, 31
	s_mul_hi_u32 s25, s23, s40
	s_xor_b32 s27, s27, s35
	s_mul_i32 s28, s25, s33
	s_sub_i32 s23, s23, s28
	s_add_i32 s28, s25, 1
	s_sub_i32 s29, s23, s33
	s_cmp_ge_u32 s23, s33
	s_cselect_b32 s25, s28, s25
	s_cselect_b32 s23, s29, s23
	s_add_i32 s28, s25, 1
	s_cmp_ge_u32 s23, s33
	s_cselect_b32 s23, s28, s25
	s_delay_alu instid0(SALU_CYCLE_1) | instskip(NEXT) | instid1(SALU_CYCLE_1)
	s_xor_b32 s23, s23, s27
	s_sub_i32 s23, s23, s27
	s_delay_alu instid0(SALU_CYCLE_1) | instskip(NEXT) | instid1(SALU_CYCLE_1)
	s_mul_i32 s25, s23, s6
	s_sub_i32 s36, s24, s25
	s_mul_i32 s24, s23, s7
	s_mul_i32 s28, s36, s8
	s_delay_alu instid0(SALU_CYCLE_1) | instskip(NEXT) | instid1(SALU_CYCLE_1)
	s_add_i32 s28, s28, s24
	s_cmp_eq_u32 s28, s34
	s_cbranch_scc1 .LBB105_29
; %bb.28:                               ;   in Loop: Header=BB105_24 Depth=1
	s_mul_hi_i32 s25, s28, s41
	s_mul_i32 s24, s28, s41
	s_mov_b32 s27, s31
	s_lshl_b64 s[24:25], s[24:25], 1
	s_mov_b32 s34, s28
	s_add_u32 s24, s16, s24
	s_addc_u32 s25, s17, s25
	s_delay_alu instid0(SALU_CYCLE_1)
	s_and_b32 s25, s25, 0xffff
	buffer_load_b128 v[0:3], v8, s[24:27], 0 offen
	s_waitcnt vmcnt(0)
	v_lshrrev_b32_e32 v4, 16, v0
	v_and_b32_e32 v0, 0xffff, v0
	v_lshrrev_b32_e32 v5, 16, v1
	v_and_b32_e32 v6, 0xffff, v1
	;; [unrolled: 2-line block ×4, first 2 shown]
	v_cvt_f32_u32_e32 v1, v4
	v_cvt_f32_u32_e32 v0, v0
	;; [unrolled: 1-line block ×8, first 2 shown]
.LBB105_29:                             ;   in Loop: Header=BB105_24 Depth=1
	s_mul_i32 s24, s2, s3
	s_delay_alu instid0(SALU_CYCLE_1) | instskip(NEXT) | instid1(SALU_CYCLE_1)
	s_ashr_i32 s25, s24, 31
	s_lshl_b64 s[24:25], s[24:25], 2
	s_delay_alu instid0(SALU_CYCLE_1) | instskip(SKIP_1) | instid1(SALU_CYCLE_1)
	s_add_u32 s28, s18, s24
	s_addc_u32 s2, s19, s25
	s_and_b32 s29, s2, 0xffff
	s_clause 0x1
	buffer_load_b128 v[16:19], v9, s[28:31], 0 offen
	buffer_load_b128 v[24:27], v9, s[28:31], 16 offen
	s_waitcnt vmcnt(1)
	v_dual_mul_f32 v22, v0, v16 :: v_dual_mul_f32 v23, v1, v17
	v_dual_mul_f32 v16, v2, v18 :: v_dual_mul_f32 v17, v3, v19
	s_waitcnt vmcnt(0)
	v_dual_mul_f32 v18, v4, v24 :: v_dual_mul_f32 v19, v5, v25
	s_delay_alu instid0(VALU_DEP_3) | instskip(SKIP_1) | instid1(VALU_DEP_2)
	v_max3_f32 v20, |v22|, 0x2edbe6ff, |v23|
	v_mul_f32_e32 v21, v7, v27
	v_max3_f32 v24, v20, |v16|, |v17|
	v_mul_f32_e32 v20, v6, v26
	s_delay_alu instid0(VALU_DEP_2) | instskip(NEXT) | instid1(VALU_DEP_1)
	v_max3_f32 v24, v24, |v18|, |v19|
	v_max3_f32 v24, v24, |v20|, |v21|
	s_delay_alu instid0(VALU_DEP_1) | instskip(NEXT) | instid1(VALU_DEP_1)
	v_mov_b32_dpp v25, v24 quad_perm:[1,0,3,2] row_mask:0xf bank_mask:0xf
	v_cmp_gt_f32_e64 s2, v24, v25
	s_delay_alu instid0(VALU_DEP_1) | instskip(NEXT) | instid1(VALU_DEP_1)
	v_cndmask_b32_e64 v24, v25, v24, s2
	v_mov_b32_dpp v25, v24 quad_perm:[2,3,0,1] row_mask:0xf bank_mask:0xf
	s_delay_alu instid0(VALU_DEP_1) | instskip(NEXT) | instid1(VALU_DEP_1)
	v_cmp_gt_f32_e64 s2, v24, v25
	v_cndmask_b32_e64 v24, v25, v24, s2
	s_delay_alu instid0(VALU_DEP_1) | instskip(NEXT) | instid1(VALU_DEP_1)
	v_mov_b32_dpp v25, v24 row_xmask:7 row_mask:0xf bank_mask:0xf
	v_cmp_gt_f32_e64 s2, v24, v25
	s_delay_alu instid0(VALU_DEP_1) | instskip(NEXT) | instid1(VALU_DEP_1)
	v_cndmask_b32_e64 v24, v25, v24, s2
	v_mov_b32_dpp v25, v24 row_xmask:15 row_mask:0xf bank_mask:0xf
	s_delay_alu instid0(VALU_DEP_1)
	v_cmp_gt_f32_e64 s2, v24, v25
	s_and_saveexec_b32 s24, vcc_lo
	s_cbranch_execz .LBB105_31
; %bb.30:                               ;   in Loop: Header=BB105_24 Depth=1
	s_delay_alu instid0(VALU_DEP_1) | instskip(NEXT) | instid1(VALU_DEP_1)
	v_cndmask_b32_e64 v24, v25, v24, s2
	v_permlanex16_b32 v25, v24, s42, 0xfedcba98 op_sel:[1,1]
	s_delay_alu instid0(VALU_DEP_1) | instskip(NEXT) | instid1(VALU_DEP_1)
	v_cmp_gt_f32_e64 s2, v24, v25
	v_cndmask_b32_e64 v24, v25, v24, s2
	ds_store_b32 v10, v24
.LBB105_31:                             ;   in Loop: Header=BB105_24 Depth=1
	s_or_b32 exec_lo, exec_lo, s24
	s_waitcnt lgkmcnt(0)
	s_waitcnt_vscnt null, 0x0
	s_barrier
	buffer_gl0_inv
	ds_load_b32 v24, v11
	s_mul_i32 s23, s23, s9
	s_waitcnt lgkmcnt(0)
	v_mov_b32_dpp v25, v24 quad_perm:[1,0,3,2] row_mask:0xf bank_mask:0xf
	s_delay_alu instid0(VALU_DEP_1) | instskip(NEXT) | instid1(VALU_DEP_1)
	v_cmp_gt_f32_e64 s2, v24, v25
	v_cndmask_b32_e64 v24, v25, v24, s2
	s_delay_alu instid0(VALU_DEP_1) | instskip(NEXT) | instid1(VALU_DEP_1)
	v_mov_b32_dpp v25, v24 quad_perm:[2,3,0,1] row_mask:0xf bank_mask:0xf
	v_cmp_gt_f32_e64 s2, v24, v25
	s_delay_alu instid0(VALU_DEP_1) | instskip(NEXT) | instid1(VALU_DEP_1)
	v_cndmask_b32_e64 v24, v25, v24, s2
	v_mov_b32_dpp v25, v24 row_xmask:7 row_mask:0xf bank_mask:0xf
	s_delay_alu instid0(VALU_DEP_1) | instskip(NEXT) | instid1(VALU_DEP_1)
	v_cmp_gt_f32_e64 s2, v24, v25
	v_cndmask_b32_e64 v24, v25, v24, s2
	s_mul_i32 s2, s36, s10
	s_delay_alu instid0(SALU_CYCLE_1) | instskip(NEXT) | instid1(VALU_DEP_1)
	s_add_i32 s24, s2, s23
	v_mul_f32_e32 v24, 0x3c010204, v24
	s_and_saveexec_b32 s2, s0
	s_cbranch_execz .LBB105_33
; %bb.32:                               ;   in Loop: Header=BB105_24 Depth=1
	s_ashr_i32 s25, s24, 31
	s_delay_alu instid0(SALU_CYCLE_1) | instskip(NEXT) | instid1(SALU_CYCLE_1)
	s_lshl_b64 s[28:29], s[24:25], 2
	s_add_u32 s28, s14, s28
	s_addc_u32 s29, s15, s29
	global_store_b32 v15, v24, s[28:29]
.LBB105_33:                             ;   in Loop: Header=BB105_24 Depth=1
	s_or_b32 exec_lo, exec_lo, s2
	s_and_saveexec_b32 s2, s1
	s_cbranch_execz .LBB105_22
; %bb.34:                               ;   in Loop: Header=BB105_24 Depth=1
	v_rcp_f32_e32 v24, v24
	s_mul_i32 s23, s24, s41
	s_mul_hi_i32 s24, s24, s41
	s_add_u32 s36, s12, s23
	s_addc_u32 s23, s13, s24
	s_mov_b32 s39, s31
	s_and_b32 s37, s23, 0xffff
	s_waitcnt_depctr 0xfff
	v_mul_f32_e32 v18, v18, v24
	v_mul_f32_e32 v19, v19, v24
	;; [unrolled: 1-line block ×5, first 2 shown]
	v_cvt_i32_f32_e32 v18, v18
	v_cvt_i32_f32_e32 v19, v19
	v_mul_f32_e32 v23, v23, v24
	v_cvt_i32_f32_e32 v16, v16
	v_cvt_i32_f32_e32 v17, v17
	v_and_b32_e32 v18, 0xff, v18
	v_lshlrev_b16 v19, 8, v19
	v_mul_f32_e32 v21, v21, v24
	v_and_b32_e32 v16, 0xff, v16
	v_lshlrev_b16 v17, 8, v17
	v_cvt_i32_f32_e32 v23, v23
	v_or_b32_e32 v18, v18, v19
	v_mul_f32_e32 v22, v22, v24
	v_cvt_i32_f32_e32 v21, v21
	v_cvt_i32_f32_e32 v20, v20
	v_or_b32_e32 v16, v16, v17
	v_and_b32_e32 v17, 0xffff, v18
	v_cvt_i32_f32_e32 v22, v22
	v_lshlrev_b16 v21, 8, v21
	v_and_b32_e32 v20, 0xff, v20
	v_lshlrev_b16 v23, 8, v23
	v_lshlrev_b32_e32 v16, 16, v16
	v_and_b32_e32 v22, 0xff, v22
	s_delay_alu instid0(VALU_DEP_4) | instskip(NEXT) | instid1(VALU_DEP_2)
	v_or_b32_e32 v19, v20, v21
	v_or_b32_e32 v20, v22, v23
	s_delay_alu instid0(VALU_DEP_2) | instskip(NEXT) | instid1(VALU_DEP_2)
	v_lshlrev_b32_e32 v18, 16, v19
	v_and_b32_e32 v19, 0xffff, v20
	s_delay_alu instid0(VALU_DEP_2) | instskip(NEXT) | instid1(VALU_DEP_2)
	v_or_b32_e32 v17, v17, v18
	v_or_b32_e32 v16, v19, v16
	buffer_store_b64 v[16:17], v13, s[36:39], 0 offen
	;;#ASMSTART
	s_nop 0
	;;#ASMEND
	s_branch .LBB105_22
.LBB105_35:
	s_nop 0
	s_sendmsg sendmsg(MSG_DEALLOC_VGPRS)
	s_endpgm
	.section	.rodata,"a",@progbits
	.p2align	6, 0x0
	.amdhsa_kernel _ZN5aiter36smooth_per_token_scaled_quant_kernelItaLi256ELi8ELb0ELb1ELb1ELi1024EEEvPT0_PfPT_S3_PiS6_iiPKiiiiiiiii
		.amdhsa_group_segment_fixed_size 4128
		.amdhsa_private_segment_fixed_size 0
		.amdhsa_kernarg_size 96
		.amdhsa_user_sgpr_count 15
		.amdhsa_user_sgpr_dispatch_ptr 0
		.amdhsa_user_sgpr_queue_ptr 0
		.amdhsa_user_sgpr_kernarg_segment_ptr 1
		.amdhsa_user_sgpr_dispatch_id 0
		.amdhsa_user_sgpr_private_segment_size 0
		.amdhsa_wavefront_size32 1
		.amdhsa_uses_dynamic_stack 0
		.amdhsa_enable_private_segment 0
		.amdhsa_system_sgpr_workgroup_id_x 1
		.amdhsa_system_sgpr_workgroup_id_y 0
		.amdhsa_system_sgpr_workgroup_id_z 0
		.amdhsa_system_sgpr_workgroup_info 0
		.amdhsa_system_vgpr_workitem_id 0
		.amdhsa_next_free_vgpr 28
		.amdhsa_next_free_sgpr 43
		.amdhsa_reserve_vcc 1
		.amdhsa_float_round_mode_32 0
		.amdhsa_float_round_mode_16_64 0
		.amdhsa_float_denorm_mode_32 3
		.amdhsa_float_denorm_mode_16_64 3
		.amdhsa_dx10_clamp 1
		.amdhsa_ieee_mode 1
		.amdhsa_fp16_overflow 0
		.amdhsa_workgroup_processor_mode 1
		.amdhsa_memory_ordered 1
		.amdhsa_forward_progress 0
		.amdhsa_shared_vgpr_count 0
		.amdhsa_exception_fp_ieee_invalid_op 0
		.amdhsa_exception_fp_denorm_src 0
		.amdhsa_exception_fp_ieee_div_zero 0
		.amdhsa_exception_fp_ieee_overflow 0
		.amdhsa_exception_fp_ieee_underflow 0
		.amdhsa_exception_fp_ieee_inexact 0
		.amdhsa_exception_int_div_zero 0
	.end_amdhsa_kernel
	.section	.text._ZN5aiter36smooth_per_token_scaled_quant_kernelItaLi256ELi8ELb0ELb1ELb1ELi1024EEEvPT0_PfPT_S3_PiS6_iiPKiiiiiiiii,"axG",@progbits,_ZN5aiter36smooth_per_token_scaled_quant_kernelItaLi256ELi8ELb0ELb1ELb1ELi1024EEEvPT0_PfPT_S3_PiS6_iiPKiiiiiiiii,comdat
.Lfunc_end105:
	.size	_ZN5aiter36smooth_per_token_scaled_quant_kernelItaLi256ELi8ELb0ELb1ELb1ELi1024EEEvPT0_PfPT_S3_PiS6_iiPKiiiiiiiii, .Lfunc_end105-_ZN5aiter36smooth_per_token_scaled_quant_kernelItaLi256ELi8ELb0ELb1ELb1ELi1024EEEvPT0_PfPT_S3_PiS6_iiPKiiiiiiiii
                                        ; -- End function
	.section	.AMDGPU.csdata,"",@progbits
; Kernel info:
; codeLenInByte = 2872
; NumSgprs: 45
; NumVgprs: 28
; ScratchSize: 0
; MemoryBound: 0
; FloatMode: 240
; IeeeMode: 1
; LDSByteSize: 4128 bytes/workgroup (compile time only)
; SGPRBlocks: 5
; VGPRBlocks: 3
; NumSGPRsForWavesPerEU: 45
; NumVGPRsForWavesPerEU: 28
; Occupancy: 16
; WaveLimiterHint : 0
; COMPUTE_PGM_RSRC2:SCRATCH_EN: 0
; COMPUTE_PGM_RSRC2:USER_SGPR: 15
; COMPUTE_PGM_RSRC2:TRAP_HANDLER: 0
; COMPUTE_PGM_RSRC2:TGID_X_EN: 1
; COMPUTE_PGM_RSRC2:TGID_Y_EN: 0
; COMPUTE_PGM_RSRC2:TGID_Z_EN: 0
; COMPUTE_PGM_RSRC2:TIDIG_COMP_CNT: 0
	.section	.text._ZN5aiter36smooth_per_token_scaled_quant_kernelIDF16_aLi256ELi8ELb0ELb1ELb0ELi1024EEEvPT0_PfPT_S3_PiS6_iiPKiiiiiiiii,"axG",@progbits,_ZN5aiter36smooth_per_token_scaled_quant_kernelIDF16_aLi256ELi8ELb0ELb1ELb0ELi1024EEEvPT0_PfPT_S3_PiS6_iiPKiiiiiiiii,comdat
	.protected	_ZN5aiter36smooth_per_token_scaled_quant_kernelIDF16_aLi256ELi8ELb0ELb1ELb0ELi1024EEEvPT0_PfPT_S3_PiS6_iiPKiiiiiiiii ; -- Begin function _ZN5aiter36smooth_per_token_scaled_quant_kernelIDF16_aLi256ELi8ELb0ELb1ELb0ELi1024EEEvPT0_PfPT_S3_PiS6_iiPKiiiiiiiii
	.globl	_ZN5aiter36smooth_per_token_scaled_quant_kernelIDF16_aLi256ELi8ELb0ELb1ELb0ELi1024EEEvPT0_PfPT_S3_PiS6_iiPKiiiiiiiii
	.p2align	8
	.type	_ZN5aiter36smooth_per_token_scaled_quant_kernelIDF16_aLi256ELi8ELb0ELb1ELb0ELi1024EEEvPT0_PfPT_S3_PiS6_iiPKiiiiiiiii,@function
_ZN5aiter36smooth_per_token_scaled_quant_kernelIDF16_aLi256ELi8ELb0ELb1ELb0ELi1024EEEvPT0_PfPT_S3_PiS6_iiPKiiiiiiiii: ; @_ZN5aiter36smooth_per_token_scaled_quant_kernelIDF16_aLi256ELi8ELb0ELb1ELb0ELi1024EEEvPT0_PfPT_S3_PiS6_iiPKiiiiiiiii
; %bb.0:
	s_clause 0x1
	s_load_b64 s[2:3], s[0:1], 0x38
	s_load_b256 s[4:11], s[0:1], 0x40
	s_waitcnt lgkmcnt(0)
	s_cmp_lg_u64 s[2:3], 0
	s_cbranch_scc0 .LBB106_11
; %bb.1:
	s_load_b32 s2, s[2:3], 0x0
	s_waitcnt lgkmcnt(0)
	s_mul_i32 s4, s2, s4
	s_cbranch_execnz .LBB106_3
.LBB106_2:
	s_mul_i32 s4, s6, s5
.LBB106_3:
	s_load_b64 s[2:3], s[0:1], 0x30
	s_abs_i32 s13, s4
	s_waitcnt lgkmcnt(0)
	s_abs_i32 s5, s2
	s_delay_alu instid0(SALU_CYCLE_1) | instskip(SKIP_1) | instid1(VALU_DEP_1)
	v_cvt_f32_u32_e32 v1, s5
	s_sub_i32 s12, 0, s5
	v_rcp_iflag_f32_e32 v1, v1
	s_waitcnt_depctr 0xfff
	v_mul_f32_e32 v1, 0x4f7ffffe, v1
	s_delay_alu instid0(VALU_DEP_1) | instskip(NEXT) | instid1(VALU_DEP_1)
	v_cvt_u32_f32_e32 v1, v1
	v_readfirstlane_b32 s11, v1
	s_delay_alu instid0(VALU_DEP_1) | instskip(NEXT) | instid1(SALU_CYCLE_1)
	s_mul_i32 s12, s12, s11
	s_mul_hi_u32 s12, s11, s12
	s_delay_alu instid0(SALU_CYCLE_1) | instskip(SKIP_4) | instid1(SALU_CYCLE_1)
	s_add_i32 s11, s11, s12
	s_xor_b32 s12, s4, s2
	s_mul_hi_u32 s11, s13, s11
	s_ashr_i32 s12, s12, 31
	s_mul_i32 s14, s11, s5
	s_sub_i32 s13, s13, s14
	s_add_i32 s14, s11, 1
	s_sub_i32 s16, s13, s5
	s_cmp_ge_u32 s13, s5
	s_cselect_b32 s11, s14, s11
	s_cselect_b32 s13, s16, s13
	s_add_i32 s14, s11, 1
	s_cmp_ge_u32 s13, s5
	s_cselect_b32 s5, s14, s11
	s_delay_alu instid0(SALU_CYCLE_1) | instskip(NEXT) | instid1(SALU_CYCLE_1)
	s_xor_b32 s5, s5, s12
	s_sub_i32 s11, s5, s12
	s_mov_b32 s12, 0
	s_mul_i32 s2, s11, s2
	s_delay_alu instid0(SALU_CYCLE_1) | instskip(NEXT) | instid1(SALU_CYCLE_1)
	s_sub_i32 s4, s4, s2
	s_cmp_lt_u32 s15, s4
	s_cselect_b32 s2, -1, 0
	s_add_i32 s5, s11, 1
	s_cmp_ge_u32 s15, s4
	s_cbranch_scc0 .LBB106_5
; %bb.4:
	s_sub_i32 s13, s15, s4
	s_mul_i32 s4, s4, s5
	s_mul_i32 s13, s13, s11
	s_delay_alu instid0(SALU_CYCLE_1)
	s_add_i32 s4, s13, s4
	s_and_not1_b32 vcc_lo, exec_lo, s12
	s_cbranch_vccz .LBB106_6
	s_branch .LBB106_7
.LBB106_5:
                                        ; implicit-def: $sgpr4
.LBB106_6:
	s_mul_i32 s4, s5, s15
.LBB106_7:
	v_cndmask_b32_e64 v1, 0, 1, s2
	s_delay_alu instid0(VALU_DEP_1) | instskip(NEXT) | instid1(VALU_DEP_1)
	v_readfirstlane_b32 s2, v1
	s_add_i32 s11, s11, s2
	s_delay_alu instid0(SALU_CYCLE_1)
	s_cmp_lt_i32 s11, 1
	s_cbranch_scc1 .LBB106_35
; %bb.8:
	s_load_b64 s[12:13], s[0:1], 0x20
	s_ashr_i32 s5, s4, 31
	v_and_b32_e32 v1, 31, v0
	s_lshl_b64 s[14:15], s[4:5], 2
	s_mov_b32 s35, -1
	v_lshrrev_b32_e32 v3, 3, v0
	s_mov_b32 s23, s35
	v_cmp_eq_u32_e32 vcc_lo, 31, v1
	v_and_b32_e32 v4, 7, v0
	v_lshlrev_b32_e32 v9, 4, v0
	v_lshlrev_b32_e32 v10, 5, v0
	v_and_b32_e32 v11, 0x7c, v3
	v_lshlrev_b32_e32 v13, 3, v0
	v_lshlrev_b32_e32 v12, 2, v4
	s_mov_b32 s34, s3
	s_waitcnt lgkmcnt(0)
	s_add_u32 s20, s12, s14
	s_addc_u32 s2, s13, s15
	s_abs_i32 s33, s6
	s_lshl_b32 s22, s11, 2
	v_cvt_f32_u32_e32 v2, s33
	s_and_b32 s21, s2, 0xffff
	s_load_b256 s[12:19], s[0:1], 0x0
	s_add_i32 s1, s3, 7
	v_cmp_eq_u32_e64 s0, 0, v0
	v_rcp_iflag_f32_e32 v2, v2
	v_lshlrev_b32_e32 v14, 2, v1
	s_ashr_i32 s2, s1, 31
	s_lshl_b32 s26, s3, 1
	s_lshr_b32 s2, s2, 29
	s_lshl_b32 s30, s3, 2
	s_add_i32 s1, s1, s2
	s_ashr_i32 s40, s6, 31
	s_ashr_i32 s1, s1, 3
	s_waitcnt_depctr 0xfff
	v_mul_f32_e32 v1, 0x4f7ffffe, v2
	buffer_load_b32 v8, v14, s[20:23], 0 offen
	s_add_i32 s23, s3, 3
	v_cmp_gt_u32_e64 s1, s1, v0
	s_ashr_i32 s2, s23, 31
	v_cvt_u32_f32_e32 v1, v1
	s_lshr_b32 s2, s2, 30
	s_waitcnt vmcnt(3) expcnt(0) lgkmcnt(55)
	s_add_i32 s23, s23, s2
	s_sub_i32 s2, 0, s33
	v_readfirstlane_b32 s41, v1
	s_and_b32 s38, s23, -4
	s_waitcnt vmcnt(0) lgkmcnt(0)
	s_barrier
	buffer_gl0_inv
	s_mul_i32 s23, s2, s41
	s_delay_alu instid0(SALU_CYCLE_1) | instskip(NEXT) | instid1(SALU_CYCLE_1)
	s_mul_hi_u32 s23, s41, s23
	s_add_i32 s41, s41, s23
	v_readlane_b32 s2, v8, 0
	s_delay_alu instid0(VALU_DEP_1)
	s_cmp_lt_i32 s2, 0
	s_cbranch_scc1 .LBB106_12
; %bb.9:
	s_abs_i32 s23, s4
	s_xor_b32 s5, s5, s40
	s_mul_hi_u32 s24, s23, s41
	s_mov_b32 s31, -1
	s_mul_i32 s25, s24, s33
	s_delay_alu instid0(SALU_CYCLE_1)
	s_sub_i32 s23, s23, s25
	s_add_i32 s25, s24, 1
	s_sub_i32 s27, s23, s33
	s_cmp_ge_u32 s23, s33
	s_cselect_b32 s24, s25, s24
	s_cselect_b32 s23, s27, s23
	s_add_i32 s25, s24, 1
	s_cmp_ge_u32 s23, s33
	s_cselect_b32 s23, s25, s24
	s_delay_alu instid0(SALU_CYCLE_1) | instskip(NEXT) | instid1(SALU_CYCLE_1)
	s_xor_b32 s23, s23, s5
	s_sub_i32 s5, s23, s5
	s_delay_alu instid0(SALU_CYCLE_1) | instskip(SKIP_2) | instid1(SALU_CYCLE_1)
	s_mul_i32 s23, s5, s6
	s_mul_i32 s25, s5, s7
	s_sub_i32 s23, s4, s23
	s_mul_i32 s24, s23, s8
	s_delay_alu instid0(SALU_CYCLE_1) | instskip(NEXT) | instid1(SALU_CYCLE_1)
	s_add_i32 s35, s24, s25
	s_cmp_eq_u32 s35, -1
	s_cbranch_scc1 .LBB106_13
; %bb.10:
	s_mul_hi_i32 s25, s35, s34
	s_mul_i32 s24, s35, s34
	s_mov_b32 s27, s31
	s_lshl_b64 s[24:25], s[24:25], 1
	s_delay_alu instid0(SALU_CYCLE_1) | instskip(SKIP_1) | instid1(SALU_CYCLE_1)
	s_add_u32 s24, s16, s24
	s_addc_u32 s25, s17, s25
	s_and_b32 s25, s25, 0xffff
	buffer_load_b128 v[3:6], v9, s[24:27], 0 offen
	s_waitcnt vmcnt(0)
	v_cvt_f32_f16_e32 v0, v3
	v_lshrrev_b32_e32 v1, 16, v3
	v_cvt_f32_f16_e32 v2, v4
	v_lshrrev_b32_e32 v3, 16, v4
	;; [unrolled: 2-line block ×3, first 2 shown]
	v_lshrrev_b32_e32 v7, 16, v6
	v_cvt_f32_f16_e32 v6, v6
	v_cvt_f32_f16_e32 v1, v1
	;; [unrolled: 1-line block ×5, first 2 shown]
	s_branch .LBB106_14
.LBB106_11:
                                        ; implicit-def: $sgpr4
	s_branch .LBB106_2
.LBB106_12:
                                        ; implicit-def: $vgpr0_vgpr1_vgpr2_vgpr3_vgpr4_vgpr5_vgpr6_vgpr7
	s_cmp_eq_u32 s11, 1
	s_mov_b32 s5, 1
	s_cbranch_scc0 .LBB106_21
	s_branch .LBB106_35
.LBB106_13:
                                        ; implicit-def: $vgpr0_vgpr1_vgpr2_vgpr3_vgpr4_vgpr5_vgpr6_vgpr7
.LBB106_14:
	s_mul_i32 s24, s2, s3
	s_delay_alu instid0(SALU_CYCLE_1) | instskip(NEXT) | instid1(SALU_CYCLE_1)
	s_ashr_i32 s25, s24, 31
	s_lshl_b64 s[24:25], s[24:25], 2
	s_delay_alu instid0(SALU_CYCLE_1) | instskip(SKIP_1) | instid1(SALU_CYCLE_1)
	s_add_u32 s28, s18, s24
	s_addc_u32 s2, s19, s25
	s_and_b32 s29, s2, 0xffff
	s_clause 0x1
	buffer_load_b128 v[15:18], v10, s[28:31], 0 offen
	buffer_load_b128 v[23:26], v10, s[28:31], 16 offen
	s_waitcnt vmcnt(1)
	v_dual_mul_f32 v21, v0, v15 :: v_dual_mul_f32 v22, v1, v16
	v_dual_mul_f32 v15, v2, v17 :: v_dual_mul_f32 v16, v3, v18
	s_waitcnt vmcnt(0)
	v_dual_mul_f32 v17, v4, v23 :: v_dual_mul_f32 v18, v5, v24
	s_delay_alu instid0(VALU_DEP_3) | instskip(SKIP_1) | instid1(VALU_DEP_2)
	v_max3_f32 v19, |v21|, 0x2edbe6ff, |v22|
	v_mul_f32_e32 v20, v7, v26
	v_max3_f32 v23, v19, |v15|, |v16|
	v_mul_f32_e32 v19, v6, v25
	s_delay_alu instid0(VALU_DEP_2) | instskip(NEXT) | instid1(VALU_DEP_1)
	v_max3_f32 v23, v23, |v17|, |v18|
	v_max3_f32 v23, v23, |v19|, |v20|
	s_delay_alu instid0(VALU_DEP_1) | instskip(NEXT) | instid1(VALU_DEP_1)
	v_mov_b32_dpp v24, v23 quad_perm:[1,0,3,2] row_mask:0xf bank_mask:0xf
	v_cmp_gt_f32_e64 s2, v23, v24
	s_delay_alu instid0(VALU_DEP_1) | instskip(NEXT) | instid1(VALU_DEP_1)
	v_cndmask_b32_e64 v23, v24, v23, s2
	v_mov_b32_dpp v24, v23 quad_perm:[2,3,0,1] row_mask:0xf bank_mask:0xf
	s_delay_alu instid0(VALU_DEP_1) | instskip(NEXT) | instid1(VALU_DEP_1)
	v_cmp_gt_f32_e64 s2, v23, v24
	v_cndmask_b32_e64 v23, v24, v23, s2
	s_delay_alu instid0(VALU_DEP_1) | instskip(NEXT) | instid1(VALU_DEP_1)
	v_mov_b32_dpp v24, v23 row_xmask:7 row_mask:0xf bank_mask:0xf
	v_cmp_gt_f32_e64 s2, v23, v24
	s_delay_alu instid0(VALU_DEP_1) | instskip(NEXT) | instid1(VALU_DEP_1)
	v_cndmask_b32_e64 v23, v24, v23, s2
	v_mov_b32_dpp v24, v23 row_xmask:15 row_mask:0xf bank_mask:0xf
	s_delay_alu instid0(VALU_DEP_1)
	v_cmp_gt_f32_e64 s2, v23, v24
	s_and_saveexec_b32 s24, vcc_lo
	s_cbranch_execz .LBB106_16
; %bb.15:
	s_delay_alu instid0(VALU_DEP_1)
	v_cndmask_b32_e64 v23, v24, v23, s2
	s_mov_b32 s2, 0x76543210
	s_delay_alu instid0(VALU_DEP_1) | instid1(SALU_CYCLE_1)
	v_permlanex16_b32 v24, v23, s2, 0xfedcba98 op_sel:[1,1]
	s_delay_alu instid0(VALU_DEP_1) | instskip(NEXT) | instid1(VALU_DEP_1)
	v_cmp_gt_f32_e64 s2, v23, v24
	v_cndmask_b32_e64 v23, v24, v23, s2
	ds_store_b32 v11, v23
.LBB106_16:
	s_or_b32 exec_lo, exec_lo, s24
	s_waitcnt lgkmcnt(0)
	s_barrier
	buffer_gl0_inv
	ds_load_b32 v23, v12
	s_mul_i32 s5, s5, s9
	s_waitcnt lgkmcnt(0)
	v_mov_b32_dpp v24, v23 quad_perm:[1,0,3,2] row_mask:0xf bank_mask:0xf
	s_delay_alu instid0(VALU_DEP_1) | instskip(NEXT) | instid1(VALU_DEP_1)
	v_cmp_gt_f32_e64 s2, v23, v24
	v_cndmask_b32_e64 v23, v24, v23, s2
	s_delay_alu instid0(VALU_DEP_1) | instskip(NEXT) | instid1(VALU_DEP_1)
	v_mov_b32_dpp v24, v23 quad_perm:[2,3,0,1] row_mask:0xf bank_mask:0xf
	v_cmp_gt_f32_e64 s2, v23, v24
	s_delay_alu instid0(VALU_DEP_1) | instskip(NEXT) | instid1(VALU_DEP_1)
	v_cndmask_b32_e64 v23, v24, v23, s2
	v_mov_b32_dpp v24, v23 row_xmask:7 row_mask:0xf bank_mask:0xf
	s_delay_alu instid0(VALU_DEP_1) | instskip(NEXT) | instid1(VALU_DEP_1)
	v_cmp_gt_f32_e64 s2, v23, v24
	v_cndmask_b32_e64 v23, v24, v23, s2
	s_mul_i32 s2, s23, s10
	s_delay_alu instid0(SALU_CYCLE_1) | instskip(NEXT) | instid1(VALU_DEP_1)
	s_add_i32 s24, s2, s5
	v_mul_f32_e32 v23, 0x3c010204, v23
	s_and_saveexec_b32 s2, s0
	s_cbranch_execz .LBB106_18
; %bb.17:
	s_ashr_i32 s25, s24, 31
	v_mov_b32_e32 v24, 0
	s_lshl_b64 s[28:29], s[24:25], 2
	s_delay_alu instid0(SALU_CYCLE_1)
	s_add_u32 s28, s14, s28
	s_addc_u32 s29, s15, s29
	global_store_b32 v24, v23, s[28:29]
.LBB106_18:
	s_or_b32 exec_lo, exec_lo, s2
	s_and_saveexec_b32 s2, s1
	s_cbranch_execz .LBB106_20
; %bb.19:
	v_rcp_f32_e32 v23, v23
	s_mul_i32 s5, s24, s34
	s_mul_hi_i32 s23, s24, s34
	s_add_u32 s36, s12, s5
	s_addc_u32 s5, s13, s23
	s_mov_b32 s39, -1
	s_and_b32 s37, s5, 0xffff
	s_waitcnt_depctr 0xfff
	v_mul_f32_e32 v17, v17, v23
	v_mul_f32_e32 v18, v18, v23
	;; [unrolled: 1-line block ×5, first 2 shown]
	v_cvt_i32_f32_e32 v17, v17
	v_cvt_i32_f32_e32 v18, v18
	v_mul_f32_e32 v22, v22, v23
	v_cvt_i32_f32_e32 v15, v15
	v_cvt_i32_f32_e32 v16, v16
	v_and_b32_e32 v17, 0xff, v17
	v_lshlrev_b16 v18, 8, v18
	v_mul_f32_e32 v20, v20, v23
	v_and_b32_e32 v15, 0xff, v15
	v_lshlrev_b16 v16, 8, v16
	v_cvt_i32_f32_e32 v22, v22
	v_or_b32_e32 v17, v17, v18
	v_mul_f32_e32 v21, v21, v23
	v_cvt_i32_f32_e32 v20, v20
	v_cvt_i32_f32_e32 v19, v19
	v_or_b32_e32 v15, v15, v16
	v_and_b32_e32 v16, 0xffff, v17
	v_cvt_i32_f32_e32 v21, v21
	v_lshlrev_b16 v20, 8, v20
	v_and_b32_e32 v19, 0xff, v19
	v_lshlrev_b16 v22, 8, v22
	v_lshlrev_b32_e32 v15, 16, v15
	v_and_b32_e32 v21, 0xff, v21
	s_delay_alu instid0(VALU_DEP_4) | instskip(NEXT) | instid1(VALU_DEP_2)
	v_or_b32_e32 v18, v19, v20
	v_or_b32_e32 v19, v21, v22
	s_delay_alu instid0(VALU_DEP_2) | instskip(NEXT) | instid1(VALU_DEP_2)
	v_lshlrev_b32_e32 v17, 16, v18
	v_and_b32_e32 v18, 0xffff, v19
	s_delay_alu instid0(VALU_DEP_2) | instskip(NEXT) | instid1(VALU_DEP_2)
	v_or_b32_e32 v16, v16, v17
	v_or_b32_e32 v15, v18, v15
	buffer_store_b64 v[15:16], v13, s[36:39], 0 offen
	;;#ASMSTART
	s_nop 0
	;;#ASMEND
.LBB106_20:
	s_or_b32 exec_lo, exec_lo, s2
	s_cmp_eq_u32 s11, 1
	s_mov_b32 s5, 1
	s_cbranch_scc1 .LBB106_35
.LBB106_21:
	v_dual_mov_b32 v15, 0 :: v_dual_add_nc_u32 v14, 4, v14
	s_mov_b32 s31, -1
	s_mov_b32 s42, 0x76543210
	s_branch .LBB106_24
.LBB106_22:                             ;   in Loop: Header=BB106_24 Depth=1
	s_or_b32 exec_lo, exec_lo, s2
.LBB106_23:                             ;   in Loop: Header=BB106_24 Depth=1
	v_add_nc_u32_e32 v14, 4, v14
	s_add_i32 s5, s5, 1
	s_delay_alu instid0(SALU_CYCLE_1)
	s_cmp_eq_u32 s11, s5
	s_cbranch_scc1 .LBB106_35
.LBB106_24:                             ; =>This Inner Loop Header: Depth=1
	s_and_b32 s2, s5, 31
	s_delay_alu instid0(SALU_CYCLE_1)
	s_cmp_lg_u32 s2, 0
	s_cbranch_scc1 .LBB106_26
; %bb.25:                               ;   in Loop: Header=BB106_24 Depth=1
	s_mov_b32 s23, s31
	buffer_load_b32 v8, v14, s[20:23], 0 offen
	s_waitcnt vmcnt(3) expcnt(0) lgkmcnt(55)
.LBB106_26:                             ;   in Loop: Header=BB106_24 Depth=1
	s_waitcnt vmcnt(0)
	v_readlane_b32 s2, v8, s2
	s_delay_alu instid0(VALU_DEP_1)
	s_cmp_lt_i32 s2, 0
	s_cbranch_scc1 .LBB106_23
; %bb.27:                               ;   in Loop: Header=BB106_24 Depth=1
	s_add_i32 s24, s4, s5
	s_delay_alu instid0(SALU_CYCLE_1) | instskip(SKIP_4) | instid1(SALU_CYCLE_1)
	s_abs_i32 s23, s24
	s_ashr_i32 s27, s24, 31
	s_mul_hi_u32 s25, s23, s41
	s_xor_b32 s27, s27, s40
	s_mul_i32 s28, s25, s33
	s_sub_i32 s23, s23, s28
	s_add_i32 s28, s25, 1
	s_sub_i32 s29, s23, s33
	s_cmp_ge_u32 s23, s33
	s_cselect_b32 s25, s28, s25
	s_cselect_b32 s23, s29, s23
	s_add_i32 s28, s25, 1
	s_cmp_ge_u32 s23, s33
	s_cselect_b32 s23, s28, s25
	s_delay_alu instid0(SALU_CYCLE_1) | instskip(NEXT) | instid1(SALU_CYCLE_1)
	s_xor_b32 s23, s23, s27
	s_sub_i32 s23, s23, s27
	s_delay_alu instid0(SALU_CYCLE_1) | instskip(NEXT) | instid1(SALU_CYCLE_1)
	s_mul_i32 s25, s23, s6
	s_sub_i32 s36, s24, s25
	s_mul_i32 s24, s23, s7
	s_mul_i32 s28, s36, s8
	s_delay_alu instid0(SALU_CYCLE_1) | instskip(NEXT) | instid1(SALU_CYCLE_1)
	s_add_i32 s28, s28, s24
	s_cmp_eq_u32 s28, s35
	s_cbranch_scc1 .LBB106_29
; %bb.28:                               ;   in Loop: Header=BB106_24 Depth=1
	s_mul_hi_i32 s25, s28, s34
	s_mul_i32 s24, s28, s34
	s_mov_b32 s27, s31
	s_lshl_b64 s[24:25], s[24:25], 1
	s_mov_b32 s35, s28
	s_add_u32 s24, s16, s24
	s_addc_u32 s25, s17, s25
	s_delay_alu instid0(SALU_CYCLE_1)
	s_and_b32 s25, s25, 0xffff
	buffer_load_b128 v[3:6], v9, s[24:27], 0 offen
	s_waitcnt vmcnt(0)
	v_cvt_f32_f16_e32 v0, v3
	v_lshrrev_b32_e32 v1, 16, v3
	v_cvt_f32_f16_e32 v2, v4
	v_lshrrev_b32_e32 v3, 16, v4
	;; [unrolled: 2-line block ×3, first 2 shown]
	v_lshrrev_b32_e32 v7, 16, v6
	v_cvt_f32_f16_e32 v6, v6
	v_cvt_f32_f16_e32 v1, v1
	;; [unrolled: 1-line block ×5, first 2 shown]
.LBB106_29:                             ;   in Loop: Header=BB106_24 Depth=1
	s_mul_i32 s24, s2, s3
	s_delay_alu instid0(SALU_CYCLE_1) | instskip(NEXT) | instid1(SALU_CYCLE_1)
	s_ashr_i32 s25, s24, 31
	s_lshl_b64 s[24:25], s[24:25], 2
	s_delay_alu instid0(SALU_CYCLE_1) | instskip(SKIP_1) | instid1(SALU_CYCLE_1)
	s_add_u32 s28, s18, s24
	s_addc_u32 s2, s19, s25
	s_and_b32 s29, s2, 0xffff
	s_clause 0x1
	buffer_load_b128 v[16:19], v10, s[28:31], 0 offen
	buffer_load_b128 v[24:27], v10, s[28:31], 16 offen
	s_waitcnt vmcnt(1)
	v_dual_mul_f32 v22, v0, v16 :: v_dual_mul_f32 v23, v1, v17
	v_dual_mul_f32 v16, v2, v18 :: v_dual_mul_f32 v17, v3, v19
	s_waitcnt vmcnt(0)
	v_dual_mul_f32 v18, v4, v24 :: v_dual_mul_f32 v19, v5, v25
	s_delay_alu instid0(VALU_DEP_3) | instskip(SKIP_1) | instid1(VALU_DEP_2)
	v_max3_f32 v20, |v22|, 0x2edbe6ff, |v23|
	v_mul_f32_e32 v21, v7, v27
	v_max3_f32 v24, v20, |v16|, |v17|
	v_mul_f32_e32 v20, v6, v26
	s_delay_alu instid0(VALU_DEP_2) | instskip(NEXT) | instid1(VALU_DEP_1)
	v_max3_f32 v24, v24, |v18|, |v19|
	v_max3_f32 v24, v24, |v20|, |v21|
	s_delay_alu instid0(VALU_DEP_1) | instskip(NEXT) | instid1(VALU_DEP_1)
	v_mov_b32_dpp v25, v24 quad_perm:[1,0,3,2] row_mask:0xf bank_mask:0xf
	v_cmp_gt_f32_e64 s2, v24, v25
	s_delay_alu instid0(VALU_DEP_1) | instskip(NEXT) | instid1(VALU_DEP_1)
	v_cndmask_b32_e64 v24, v25, v24, s2
	v_mov_b32_dpp v25, v24 quad_perm:[2,3,0,1] row_mask:0xf bank_mask:0xf
	s_delay_alu instid0(VALU_DEP_1) | instskip(NEXT) | instid1(VALU_DEP_1)
	v_cmp_gt_f32_e64 s2, v24, v25
	v_cndmask_b32_e64 v24, v25, v24, s2
	s_delay_alu instid0(VALU_DEP_1) | instskip(NEXT) | instid1(VALU_DEP_1)
	v_mov_b32_dpp v25, v24 row_xmask:7 row_mask:0xf bank_mask:0xf
	v_cmp_gt_f32_e64 s2, v24, v25
	s_delay_alu instid0(VALU_DEP_1) | instskip(NEXT) | instid1(VALU_DEP_1)
	v_cndmask_b32_e64 v24, v25, v24, s2
	v_mov_b32_dpp v25, v24 row_xmask:15 row_mask:0xf bank_mask:0xf
	s_delay_alu instid0(VALU_DEP_1)
	v_cmp_gt_f32_e64 s2, v24, v25
	s_and_saveexec_b32 s24, vcc_lo
	s_cbranch_execz .LBB106_31
; %bb.30:                               ;   in Loop: Header=BB106_24 Depth=1
	s_delay_alu instid0(VALU_DEP_1) | instskip(NEXT) | instid1(VALU_DEP_1)
	v_cndmask_b32_e64 v24, v25, v24, s2
	v_permlanex16_b32 v25, v24, s42, 0xfedcba98 op_sel:[1,1]
	s_delay_alu instid0(VALU_DEP_1) | instskip(NEXT) | instid1(VALU_DEP_1)
	v_cmp_gt_f32_e64 s2, v24, v25
	v_cndmask_b32_e64 v24, v25, v24, s2
	ds_store_b32 v11, v24
.LBB106_31:                             ;   in Loop: Header=BB106_24 Depth=1
	s_or_b32 exec_lo, exec_lo, s24
	s_waitcnt lgkmcnt(0)
	s_waitcnt_vscnt null, 0x0
	s_barrier
	buffer_gl0_inv
	ds_load_b32 v24, v12
	s_mul_i32 s23, s23, s9
	s_waitcnt lgkmcnt(0)
	v_mov_b32_dpp v25, v24 quad_perm:[1,0,3,2] row_mask:0xf bank_mask:0xf
	s_delay_alu instid0(VALU_DEP_1) | instskip(NEXT) | instid1(VALU_DEP_1)
	v_cmp_gt_f32_e64 s2, v24, v25
	v_cndmask_b32_e64 v24, v25, v24, s2
	s_delay_alu instid0(VALU_DEP_1) | instskip(NEXT) | instid1(VALU_DEP_1)
	v_mov_b32_dpp v25, v24 quad_perm:[2,3,0,1] row_mask:0xf bank_mask:0xf
	v_cmp_gt_f32_e64 s2, v24, v25
	s_delay_alu instid0(VALU_DEP_1) | instskip(NEXT) | instid1(VALU_DEP_1)
	v_cndmask_b32_e64 v24, v25, v24, s2
	v_mov_b32_dpp v25, v24 row_xmask:7 row_mask:0xf bank_mask:0xf
	s_delay_alu instid0(VALU_DEP_1) | instskip(NEXT) | instid1(VALU_DEP_1)
	v_cmp_gt_f32_e64 s2, v24, v25
	v_cndmask_b32_e64 v24, v25, v24, s2
	s_mul_i32 s2, s36, s10
	s_delay_alu instid0(SALU_CYCLE_1) | instskip(NEXT) | instid1(VALU_DEP_1)
	s_add_i32 s24, s2, s23
	v_mul_f32_e32 v24, 0x3c010204, v24
	s_and_saveexec_b32 s2, s0
	s_cbranch_execz .LBB106_33
; %bb.32:                               ;   in Loop: Header=BB106_24 Depth=1
	s_ashr_i32 s25, s24, 31
	s_delay_alu instid0(SALU_CYCLE_1) | instskip(NEXT) | instid1(SALU_CYCLE_1)
	s_lshl_b64 s[28:29], s[24:25], 2
	s_add_u32 s28, s14, s28
	s_addc_u32 s29, s15, s29
	global_store_b32 v15, v24, s[28:29]
.LBB106_33:                             ;   in Loop: Header=BB106_24 Depth=1
	s_or_b32 exec_lo, exec_lo, s2
	s_and_saveexec_b32 s2, s1
	s_cbranch_execz .LBB106_22
; %bb.34:                               ;   in Loop: Header=BB106_24 Depth=1
	v_rcp_f32_e32 v24, v24
	s_mul_i32 s23, s24, s34
	s_mul_hi_i32 s24, s24, s34
	s_add_u32 s36, s12, s23
	s_addc_u32 s23, s13, s24
	s_mov_b32 s39, s31
	s_and_b32 s37, s23, 0xffff
	s_waitcnt_depctr 0xfff
	v_mul_f32_e32 v18, v18, v24
	v_mul_f32_e32 v19, v19, v24
	;; [unrolled: 1-line block ×5, first 2 shown]
	v_cvt_i32_f32_e32 v18, v18
	v_cvt_i32_f32_e32 v19, v19
	v_mul_f32_e32 v23, v23, v24
	v_cvt_i32_f32_e32 v16, v16
	v_cvt_i32_f32_e32 v17, v17
	v_and_b32_e32 v18, 0xff, v18
	v_lshlrev_b16 v19, 8, v19
	v_mul_f32_e32 v21, v21, v24
	v_and_b32_e32 v16, 0xff, v16
	v_lshlrev_b16 v17, 8, v17
	v_cvt_i32_f32_e32 v23, v23
	v_or_b32_e32 v18, v18, v19
	v_mul_f32_e32 v22, v22, v24
	v_cvt_i32_f32_e32 v21, v21
	v_cvt_i32_f32_e32 v20, v20
	v_or_b32_e32 v16, v16, v17
	v_and_b32_e32 v17, 0xffff, v18
	v_cvt_i32_f32_e32 v22, v22
	v_lshlrev_b16 v21, 8, v21
	v_and_b32_e32 v20, 0xff, v20
	v_lshlrev_b16 v23, 8, v23
	v_lshlrev_b32_e32 v16, 16, v16
	v_and_b32_e32 v22, 0xff, v22
	s_delay_alu instid0(VALU_DEP_4) | instskip(NEXT) | instid1(VALU_DEP_2)
	v_or_b32_e32 v19, v20, v21
	v_or_b32_e32 v20, v22, v23
	s_delay_alu instid0(VALU_DEP_2) | instskip(NEXT) | instid1(VALU_DEP_2)
	v_lshlrev_b32_e32 v18, 16, v19
	v_and_b32_e32 v19, 0xffff, v20
	s_delay_alu instid0(VALU_DEP_2) | instskip(NEXT) | instid1(VALU_DEP_2)
	v_or_b32_e32 v17, v17, v18
	v_or_b32_e32 v16, v19, v16
	buffer_store_b64 v[16:17], v13, s[36:39], 0 offen
	;;#ASMSTART
	s_nop 0
	;;#ASMEND
	s_branch .LBB106_22
.LBB106_35:
	s_nop 0
	s_sendmsg sendmsg(MSG_DEALLOC_VGPRS)
	s_endpgm
	.section	.rodata,"a",@progbits
	.p2align	6, 0x0
	.amdhsa_kernel _ZN5aiter36smooth_per_token_scaled_quant_kernelIDF16_aLi256ELi8ELb0ELb1ELb0ELi1024EEEvPT0_PfPT_S3_PiS6_iiPKiiiiiiiii
		.amdhsa_group_segment_fixed_size 32
		.amdhsa_private_segment_fixed_size 0
		.amdhsa_kernarg_size 96
		.amdhsa_user_sgpr_count 15
		.amdhsa_user_sgpr_dispatch_ptr 0
		.amdhsa_user_sgpr_queue_ptr 0
		.amdhsa_user_sgpr_kernarg_segment_ptr 1
		.amdhsa_user_sgpr_dispatch_id 0
		.amdhsa_user_sgpr_private_segment_size 0
		.amdhsa_wavefront_size32 1
		.amdhsa_uses_dynamic_stack 0
		.amdhsa_enable_private_segment 0
		.amdhsa_system_sgpr_workgroup_id_x 1
		.amdhsa_system_sgpr_workgroup_id_y 0
		.amdhsa_system_sgpr_workgroup_id_z 0
		.amdhsa_system_sgpr_workgroup_info 0
		.amdhsa_system_vgpr_workitem_id 0
		.amdhsa_next_free_vgpr 28
		.amdhsa_next_free_sgpr 43
		.amdhsa_reserve_vcc 1
		.amdhsa_float_round_mode_32 0
		.amdhsa_float_round_mode_16_64 0
		.amdhsa_float_denorm_mode_32 3
		.amdhsa_float_denorm_mode_16_64 3
		.amdhsa_dx10_clamp 1
		.amdhsa_ieee_mode 1
		.amdhsa_fp16_overflow 0
		.amdhsa_workgroup_processor_mode 1
		.amdhsa_memory_ordered 1
		.amdhsa_forward_progress 0
		.amdhsa_shared_vgpr_count 0
		.amdhsa_exception_fp_ieee_invalid_op 0
		.amdhsa_exception_fp_denorm_src 0
		.amdhsa_exception_fp_ieee_div_zero 0
		.amdhsa_exception_fp_ieee_overflow 0
		.amdhsa_exception_fp_ieee_underflow 0
		.amdhsa_exception_fp_ieee_inexact 0
		.amdhsa_exception_int_div_zero 0
	.end_amdhsa_kernel
	.section	.text._ZN5aiter36smooth_per_token_scaled_quant_kernelIDF16_aLi256ELi8ELb0ELb1ELb0ELi1024EEEvPT0_PfPT_S3_PiS6_iiPKiiiiiiiii,"axG",@progbits,_ZN5aiter36smooth_per_token_scaled_quant_kernelIDF16_aLi256ELi8ELb0ELb1ELb0ELi1024EEEvPT0_PfPT_S3_PiS6_iiPKiiiiiiiii,comdat
.Lfunc_end106:
	.size	_ZN5aiter36smooth_per_token_scaled_quant_kernelIDF16_aLi256ELi8ELb0ELb1ELb0ELi1024EEEvPT0_PfPT_S3_PiS6_iiPKiiiiiiiii, .Lfunc_end106-_ZN5aiter36smooth_per_token_scaled_quant_kernelIDF16_aLi256ELi8ELb0ELb1ELb0ELi1024EEEvPT0_PfPT_S3_PiS6_iiPKiiiiiiiii
                                        ; -- End function
	.section	.AMDGPU.csdata,"",@progbits
; Kernel info:
; codeLenInByte = 2684
; NumSgprs: 45
; NumVgprs: 28
; ScratchSize: 0
; MemoryBound: 0
; FloatMode: 240
; IeeeMode: 1
; LDSByteSize: 32 bytes/workgroup (compile time only)
; SGPRBlocks: 5
; VGPRBlocks: 3
; NumSGPRsForWavesPerEU: 45
; NumVGPRsForWavesPerEU: 28
; Occupancy: 16
; WaveLimiterHint : 0
; COMPUTE_PGM_RSRC2:SCRATCH_EN: 0
; COMPUTE_PGM_RSRC2:USER_SGPR: 15
; COMPUTE_PGM_RSRC2:TRAP_HANDLER: 0
; COMPUTE_PGM_RSRC2:TGID_X_EN: 1
; COMPUTE_PGM_RSRC2:TGID_Y_EN: 0
; COMPUTE_PGM_RSRC2:TGID_Z_EN: 0
; COMPUTE_PGM_RSRC2:TIDIG_COMP_CNT: 0
	.section	.text._ZN5aiter36smooth_per_token_scaled_quant_kernelItaLi256ELi8ELb0ELb1ELb0ELi1024EEEvPT0_PfPT_S3_PiS6_iiPKiiiiiiiii,"axG",@progbits,_ZN5aiter36smooth_per_token_scaled_quant_kernelItaLi256ELi8ELb0ELb1ELb0ELi1024EEEvPT0_PfPT_S3_PiS6_iiPKiiiiiiiii,comdat
	.protected	_ZN5aiter36smooth_per_token_scaled_quant_kernelItaLi256ELi8ELb0ELb1ELb0ELi1024EEEvPT0_PfPT_S3_PiS6_iiPKiiiiiiiii ; -- Begin function _ZN5aiter36smooth_per_token_scaled_quant_kernelItaLi256ELi8ELb0ELb1ELb0ELi1024EEEvPT0_PfPT_S3_PiS6_iiPKiiiiiiiii
	.globl	_ZN5aiter36smooth_per_token_scaled_quant_kernelItaLi256ELi8ELb0ELb1ELb0ELi1024EEEvPT0_PfPT_S3_PiS6_iiPKiiiiiiiii
	.p2align	8
	.type	_ZN5aiter36smooth_per_token_scaled_quant_kernelItaLi256ELi8ELb0ELb1ELb0ELi1024EEEvPT0_PfPT_S3_PiS6_iiPKiiiiiiiii,@function
_ZN5aiter36smooth_per_token_scaled_quant_kernelItaLi256ELi8ELb0ELb1ELb0ELi1024EEEvPT0_PfPT_S3_PiS6_iiPKiiiiiiiii: ; @_ZN5aiter36smooth_per_token_scaled_quant_kernelItaLi256ELi8ELb0ELb1ELb0ELi1024EEEvPT0_PfPT_S3_PiS6_iiPKiiiiiiiii
; %bb.0:
	s_clause 0x1
	s_load_b64 s[2:3], s[0:1], 0x38
	s_load_b256 s[4:11], s[0:1], 0x40
	s_waitcnt lgkmcnt(0)
	s_cmp_lg_u64 s[2:3], 0
	s_cbranch_scc0 .LBB107_11
; %bb.1:
	s_load_b32 s2, s[2:3], 0x0
	s_waitcnt lgkmcnt(0)
	s_mul_i32 s4, s2, s4
	s_cbranch_execnz .LBB107_3
.LBB107_2:
	s_mul_i32 s4, s6, s5
.LBB107_3:
	s_load_b64 s[2:3], s[0:1], 0x30
	s_abs_i32 s13, s4
	s_waitcnt lgkmcnt(0)
	s_abs_i32 s5, s2
	s_delay_alu instid0(SALU_CYCLE_1) | instskip(SKIP_1) | instid1(VALU_DEP_1)
	v_cvt_f32_u32_e32 v1, s5
	s_sub_i32 s12, 0, s5
	v_rcp_iflag_f32_e32 v1, v1
	s_waitcnt_depctr 0xfff
	v_mul_f32_e32 v1, 0x4f7ffffe, v1
	s_delay_alu instid0(VALU_DEP_1) | instskip(NEXT) | instid1(VALU_DEP_1)
	v_cvt_u32_f32_e32 v1, v1
	v_readfirstlane_b32 s11, v1
	s_delay_alu instid0(VALU_DEP_1) | instskip(NEXT) | instid1(SALU_CYCLE_1)
	s_mul_i32 s12, s12, s11
	s_mul_hi_u32 s12, s11, s12
	s_delay_alu instid0(SALU_CYCLE_1) | instskip(SKIP_4) | instid1(SALU_CYCLE_1)
	s_add_i32 s11, s11, s12
	s_xor_b32 s12, s4, s2
	s_mul_hi_u32 s11, s13, s11
	s_ashr_i32 s12, s12, 31
	s_mul_i32 s14, s11, s5
	s_sub_i32 s13, s13, s14
	s_add_i32 s14, s11, 1
	s_sub_i32 s16, s13, s5
	s_cmp_ge_u32 s13, s5
	s_cselect_b32 s11, s14, s11
	s_cselect_b32 s13, s16, s13
	s_add_i32 s14, s11, 1
	s_cmp_ge_u32 s13, s5
	s_cselect_b32 s5, s14, s11
	s_delay_alu instid0(SALU_CYCLE_1) | instskip(NEXT) | instid1(SALU_CYCLE_1)
	s_xor_b32 s5, s5, s12
	s_sub_i32 s11, s5, s12
	s_mov_b32 s12, 0
	s_mul_i32 s2, s11, s2
	s_delay_alu instid0(SALU_CYCLE_1) | instskip(NEXT) | instid1(SALU_CYCLE_1)
	s_sub_i32 s4, s4, s2
	s_cmp_lt_u32 s15, s4
	s_cselect_b32 s2, -1, 0
	s_add_i32 s5, s11, 1
	s_cmp_ge_u32 s15, s4
	s_cbranch_scc0 .LBB107_5
; %bb.4:
	s_sub_i32 s13, s15, s4
	s_mul_i32 s4, s4, s5
	s_mul_i32 s13, s13, s11
	s_delay_alu instid0(SALU_CYCLE_1)
	s_add_i32 s4, s13, s4
	s_and_not1_b32 vcc_lo, exec_lo, s12
	s_cbranch_vccz .LBB107_6
	s_branch .LBB107_7
.LBB107_5:
                                        ; implicit-def: $sgpr4
.LBB107_6:
	s_mul_i32 s4, s5, s15
.LBB107_7:
	v_cndmask_b32_e64 v1, 0, 1, s2
	s_delay_alu instid0(VALU_DEP_1) | instskip(NEXT) | instid1(VALU_DEP_1)
	v_readfirstlane_b32 s2, v1
	s_add_i32 s11, s11, s2
	s_delay_alu instid0(SALU_CYCLE_1)
	s_cmp_lt_i32 s11, 1
	s_cbranch_scc1 .LBB107_35
; %bb.8:
	s_load_b64 s[12:13], s[0:1], 0x20
	s_ashr_i32 s5, s4, 31
	v_and_b32_e32 v1, 31, v0
	s_lshl_b64 s[14:15], s[4:5], 2
	s_mov_b32 s35, -1
	v_lshrrev_b32_e32 v3, 3, v0
	s_mov_b32 s23, s35
	v_cmp_eq_u32_e32 vcc_lo, 31, v1
	v_and_b32_e32 v4, 7, v0
	v_lshlrev_b32_e32 v9, 4, v0
	v_lshlrev_b32_e32 v10, 5, v0
	v_and_b32_e32 v11, 0x7c, v3
	v_lshlrev_b32_e32 v13, 3, v0
	v_lshlrev_b32_e32 v12, 2, v4
	s_mov_b32 s34, s3
	s_waitcnt lgkmcnt(0)
	s_add_u32 s20, s12, s14
	s_addc_u32 s2, s13, s15
	s_abs_i32 s33, s6
	s_lshl_b32 s22, s11, 2
	v_cvt_f32_u32_e32 v2, s33
	s_and_b32 s21, s2, 0xffff
	s_load_b256 s[12:19], s[0:1], 0x0
	s_add_i32 s1, s3, 7
	v_cmp_eq_u32_e64 s0, 0, v0
	v_rcp_iflag_f32_e32 v2, v2
	v_lshlrev_b32_e32 v14, 2, v1
	s_ashr_i32 s2, s1, 31
	s_lshl_b32 s26, s3, 1
	s_lshr_b32 s2, s2, 29
	s_lshl_b32 s30, s3, 2
	s_add_i32 s1, s1, s2
	s_ashr_i32 s40, s6, 31
	s_ashr_i32 s1, s1, 3
	s_waitcnt_depctr 0xfff
	v_mul_f32_e32 v1, 0x4f7ffffe, v2
	buffer_load_b32 v8, v14, s[20:23], 0 offen
	s_add_i32 s23, s3, 3
	v_cmp_gt_u32_e64 s1, s1, v0
	s_ashr_i32 s2, s23, 31
	v_cvt_u32_f32_e32 v1, v1
	s_lshr_b32 s2, s2, 30
	s_waitcnt vmcnt(3) expcnt(0) lgkmcnt(55)
	s_add_i32 s23, s23, s2
	s_sub_i32 s2, 0, s33
	v_readfirstlane_b32 s41, v1
	s_and_b32 s38, s23, -4
	s_waitcnt vmcnt(0) lgkmcnt(0)
	s_barrier
	buffer_gl0_inv
	s_mul_i32 s23, s2, s41
	s_delay_alu instid0(SALU_CYCLE_1) | instskip(NEXT) | instid1(SALU_CYCLE_1)
	s_mul_hi_u32 s23, s41, s23
	s_add_i32 s41, s41, s23
	v_readlane_b32 s2, v8, 0
	s_delay_alu instid0(VALU_DEP_1)
	s_cmp_lt_i32 s2, 0
	s_cbranch_scc1 .LBB107_12
; %bb.9:
	s_abs_i32 s23, s4
	s_xor_b32 s5, s5, s40
	s_mul_hi_u32 s24, s23, s41
	s_mov_b32 s31, -1
	s_mul_i32 s25, s24, s33
	s_delay_alu instid0(SALU_CYCLE_1)
	s_sub_i32 s23, s23, s25
	s_add_i32 s25, s24, 1
	s_sub_i32 s27, s23, s33
	s_cmp_ge_u32 s23, s33
	s_cselect_b32 s24, s25, s24
	s_cselect_b32 s23, s27, s23
	s_add_i32 s25, s24, 1
	s_cmp_ge_u32 s23, s33
	s_cselect_b32 s23, s25, s24
	s_delay_alu instid0(SALU_CYCLE_1) | instskip(NEXT) | instid1(SALU_CYCLE_1)
	s_xor_b32 s23, s23, s5
	s_sub_i32 s5, s23, s5
	s_delay_alu instid0(SALU_CYCLE_1) | instskip(SKIP_2) | instid1(SALU_CYCLE_1)
	s_mul_i32 s23, s5, s6
	s_mul_i32 s25, s5, s7
	s_sub_i32 s23, s4, s23
	s_mul_i32 s24, s23, s8
	s_delay_alu instid0(SALU_CYCLE_1) | instskip(NEXT) | instid1(SALU_CYCLE_1)
	s_add_i32 s35, s24, s25
	s_cmp_eq_u32 s35, -1
	s_cbranch_scc1 .LBB107_13
; %bb.10:
	s_mul_hi_i32 s25, s35, s34
	s_mul_i32 s24, s35, s34
	s_mov_b32 s27, s31
	s_lshl_b64 s[24:25], s[24:25], 1
	s_delay_alu instid0(SALU_CYCLE_1) | instskip(SKIP_1) | instid1(SALU_CYCLE_1)
	s_add_u32 s24, s16, s24
	s_addc_u32 s25, s17, s25
	s_and_b32 s25, s25, 0xffff
	buffer_load_b128 v[0:3], v9, s[24:27], 0 offen
	s_waitcnt vmcnt(0)
	v_lshrrev_b32_e32 v4, 16, v0
	v_and_b32_e32 v0, 0xffff, v0
	v_lshrrev_b32_e32 v5, 16, v1
	v_and_b32_e32 v6, 0xffff, v1
	;; [unrolled: 2-line block ×4, first 2 shown]
	v_cvt_f32_u32_e32 v1, v4
	v_cvt_f32_u32_e32 v0, v0
	;; [unrolled: 1-line block ×8, first 2 shown]
	s_branch .LBB107_14
.LBB107_11:
                                        ; implicit-def: $sgpr4
	s_branch .LBB107_2
.LBB107_12:
                                        ; implicit-def: $vgpr0_vgpr1_vgpr2_vgpr3_vgpr4_vgpr5_vgpr6_vgpr7
	s_cmp_eq_u32 s11, 1
	s_mov_b32 s5, 1
	s_cbranch_scc0 .LBB107_21
	s_branch .LBB107_35
.LBB107_13:
                                        ; implicit-def: $vgpr0_vgpr1_vgpr2_vgpr3_vgpr4_vgpr5_vgpr6_vgpr7
.LBB107_14:
	s_mul_i32 s24, s2, s3
	s_delay_alu instid0(SALU_CYCLE_1) | instskip(NEXT) | instid1(SALU_CYCLE_1)
	s_ashr_i32 s25, s24, 31
	s_lshl_b64 s[24:25], s[24:25], 2
	s_delay_alu instid0(SALU_CYCLE_1) | instskip(SKIP_1) | instid1(SALU_CYCLE_1)
	s_add_u32 s28, s18, s24
	s_addc_u32 s2, s19, s25
	s_and_b32 s29, s2, 0xffff
	s_clause 0x1
	buffer_load_b128 v[15:18], v10, s[28:31], 0 offen
	buffer_load_b128 v[23:26], v10, s[28:31], 16 offen
	s_waitcnt vmcnt(1)
	v_dual_mul_f32 v21, v0, v15 :: v_dual_mul_f32 v22, v1, v16
	v_dual_mul_f32 v15, v2, v17 :: v_dual_mul_f32 v16, v3, v18
	s_waitcnt vmcnt(0)
	v_dual_mul_f32 v17, v4, v23 :: v_dual_mul_f32 v18, v5, v24
	s_delay_alu instid0(VALU_DEP_3) | instskip(SKIP_1) | instid1(VALU_DEP_2)
	v_max3_f32 v19, |v21|, 0x2edbe6ff, |v22|
	v_mul_f32_e32 v20, v7, v26
	v_max3_f32 v23, v19, |v15|, |v16|
	v_mul_f32_e32 v19, v6, v25
	s_delay_alu instid0(VALU_DEP_2) | instskip(NEXT) | instid1(VALU_DEP_1)
	v_max3_f32 v23, v23, |v17|, |v18|
	v_max3_f32 v23, v23, |v19|, |v20|
	s_delay_alu instid0(VALU_DEP_1) | instskip(NEXT) | instid1(VALU_DEP_1)
	v_mov_b32_dpp v24, v23 quad_perm:[1,0,3,2] row_mask:0xf bank_mask:0xf
	v_cmp_gt_f32_e64 s2, v23, v24
	s_delay_alu instid0(VALU_DEP_1) | instskip(NEXT) | instid1(VALU_DEP_1)
	v_cndmask_b32_e64 v23, v24, v23, s2
	v_mov_b32_dpp v24, v23 quad_perm:[2,3,0,1] row_mask:0xf bank_mask:0xf
	s_delay_alu instid0(VALU_DEP_1) | instskip(NEXT) | instid1(VALU_DEP_1)
	v_cmp_gt_f32_e64 s2, v23, v24
	v_cndmask_b32_e64 v23, v24, v23, s2
	s_delay_alu instid0(VALU_DEP_1) | instskip(NEXT) | instid1(VALU_DEP_1)
	v_mov_b32_dpp v24, v23 row_xmask:7 row_mask:0xf bank_mask:0xf
	v_cmp_gt_f32_e64 s2, v23, v24
	s_delay_alu instid0(VALU_DEP_1) | instskip(NEXT) | instid1(VALU_DEP_1)
	v_cndmask_b32_e64 v23, v24, v23, s2
	v_mov_b32_dpp v24, v23 row_xmask:15 row_mask:0xf bank_mask:0xf
	s_delay_alu instid0(VALU_DEP_1)
	v_cmp_gt_f32_e64 s2, v23, v24
	s_and_saveexec_b32 s24, vcc_lo
	s_cbranch_execz .LBB107_16
; %bb.15:
	s_delay_alu instid0(VALU_DEP_1)
	v_cndmask_b32_e64 v23, v24, v23, s2
	s_mov_b32 s2, 0x76543210
	s_delay_alu instid0(VALU_DEP_1) | instid1(SALU_CYCLE_1)
	v_permlanex16_b32 v24, v23, s2, 0xfedcba98 op_sel:[1,1]
	s_delay_alu instid0(VALU_DEP_1) | instskip(NEXT) | instid1(VALU_DEP_1)
	v_cmp_gt_f32_e64 s2, v23, v24
	v_cndmask_b32_e64 v23, v24, v23, s2
	ds_store_b32 v11, v23
.LBB107_16:
	s_or_b32 exec_lo, exec_lo, s24
	s_waitcnt lgkmcnt(0)
	s_barrier
	buffer_gl0_inv
	ds_load_b32 v23, v12
	s_mul_i32 s5, s5, s9
	s_waitcnt lgkmcnt(0)
	v_mov_b32_dpp v24, v23 quad_perm:[1,0,3,2] row_mask:0xf bank_mask:0xf
	s_delay_alu instid0(VALU_DEP_1) | instskip(NEXT) | instid1(VALU_DEP_1)
	v_cmp_gt_f32_e64 s2, v23, v24
	v_cndmask_b32_e64 v23, v24, v23, s2
	s_delay_alu instid0(VALU_DEP_1) | instskip(NEXT) | instid1(VALU_DEP_1)
	v_mov_b32_dpp v24, v23 quad_perm:[2,3,0,1] row_mask:0xf bank_mask:0xf
	v_cmp_gt_f32_e64 s2, v23, v24
	s_delay_alu instid0(VALU_DEP_1) | instskip(NEXT) | instid1(VALU_DEP_1)
	v_cndmask_b32_e64 v23, v24, v23, s2
	v_mov_b32_dpp v24, v23 row_xmask:7 row_mask:0xf bank_mask:0xf
	s_delay_alu instid0(VALU_DEP_1) | instskip(NEXT) | instid1(VALU_DEP_1)
	v_cmp_gt_f32_e64 s2, v23, v24
	v_cndmask_b32_e64 v23, v24, v23, s2
	s_mul_i32 s2, s23, s10
	s_delay_alu instid0(SALU_CYCLE_1) | instskip(NEXT) | instid1(VALU_DEP_1)
	s_add_i32 s24, s2, s5
	v_mul_f32_e32 v23, 0x3c010204, v23
	s_and_saveexec_b32 s2, s0
	s_cbranch_execz .LBB107_18
; %bb.17:
	s_ashr_i32 s25, s24, 31
	v_mov_b32_e32 v24, 0
	s_lshl_b64 s[28:29], s[24:25], 2
	s_delay_alu instid0(SALU_CYCLE_1)
	s_add_u32 s28, s14, s28
	s_addc_u32 s29, s15, s29
	global_store_b32 v24, v23, s[28:29]
.LBB107_18:
	s_or_b32 exec_lo, exec_lo, s2
	s_and_saveexec_b32 s2, s1
	s_cbranch_execz .LBB107_20
; %bb.19:
	v_rcp_f32_e32 v23, v23
	s_mul_i32 s5, s24, s34
	s_mul_hi_i32 s23, s24, s34
	s_add_u32 s36, s12, s5
	s_addc_u32 s5, s13, s23
	s_mov_b32 s39, -1
	s_and_b32 s37, s5, 0xffff
	s_waitcnt_depctr 0xfff
	v_mul_f32_e32 v17, v17, v23
	v_mul_f32_e32 v18, v18, v23
	;; [unrolled: 1-line block ×5, first 2 shown]
	v_cvt_i32_f32_e32 v17, v17
	v_cvt_i32_f32_e32 v18, v18
	v_mul_f32_e32 v22, v22, v23
	v_cvt_i32_f32_e32 v15, v15
	v_cvt_i32_f32_e32 v16, v16
	v_and_b32_e32 v17, 0xff, v17
	v_lshlrev_b16 v18, 8, v18
	v_mul_f32_e32 v20, v20, v23
	v_and_b32_e32 v15, 0xff, v15
	v_lshlrev_b16 v16, 8, v16
	v_cvt_i32_f32_e32 v22, v22
	v_or_b32_e32 v17, v17, v18
	v_mul_f32_e32 v21, v21, v23
	v_cvt_i32_f32_e32 v20, v20
	v_cvt_i32_f32_e32 v19, v19
	v_or_b32_e32 v15, v15, v16
	v_and_b32_e32 v16, 0xffff, v17
	v_cvt_i32_f32_e32 v21, v21
	v_lshlrev_b16 v20, 8, v20
	v_and_b32_e32 v19, 0xff, v19
	v_lshlrev_b16 v22, 8, v22
	v_lshlrev_b32_e32 v15, 16, v15
	v_and_b32_e32 v21, 0xff, v21
	s_delay_alu instid0(VALU_DEP_4) | instskip(NEXT) | instid1(VALU_DEP_2)
	v_or_b32_e32 v18, v19, v20
	v_or_b32_e32 v19, v21, v22
	s_delay_alu instid0(VALU_DEP_2) | instskip(NEXT) | instid1(VALU_DEP_2)
	v_lshlrev_b32_e32 v17, 16, v18
	v_and_b32_e32 v18, 0xffff, v19
	s_delay_alu instid0(VALU_DEP_2) | instskip(NEXT) | instid1(VALU_DEP_2)
	v_or_b32_e32 v16, v16, v17
	v_or_b32_e32 v15, v18, v15
	buffer_store_b64 v[15:16], v13, s[36:39], 0 offen
	;;#ASMSTART
	s_nop 0
	;;#ASMEND
.LBB107_20:
	s_or_b32 exec_lo, exec_lo, s2
	s_cmp_eq_u32 s11, 1
	s_mov_b32 s5, 1
	s_cbranch_scc1 .LBB107_35
.LBB107_21:
	v_dual_mov_b32 v15, 0 :: v_dual_add_nc_u32 v14, 4, v14
	s_mov_b32 s31, -1
	s_mov_b32 s42, 0x76543210
	s_branch .LBB107_24
.LBB107_22:                             ;   in Loop: Header=BB107_24 Depth=1
	s_or_b32 exec_lo, exec_lo, s2
.LBB107_23:                             ;   in Loop: Header=BB107_24 Depth=1
	v_add_nc_u32_e32 v14, 4, v14
	s_add_i32 s5, s5, 1
	s_delay_alu instid0(SALU_CYCLE_1)
	s_cmp_eq_u32 s11, s5
	s_cbranch_scc1 .LBB107_35
.LBB107_24:                             ; =>This Inner Loop Header: Depth=1
	s_and_b32 s2, s5, 31
	s_delay_alu instid0(SALU_CYCLE_1)
	s_cmp_lg_u32 s2, 0
	s_cbranch_scc1 .LBB107_26
; %bb.25:                               ;   in Loop: Header=BB107_24 Depth=1
	s_mov_b32 s23, s31
	buffer_load_b32 v8, v14, s[20:23], 0 offen
	s_waitcnt vmcnt(3) expcnt(0) lgkmcnt(55)
.LBB107_26:                             ;   in Loop: Header=BB107_24 Depth=1
	s_waitcnt vmcnt(0)
	v_readlane_b32 s2, v8, s2
	s_delay_alu instid0(VALU_DEP_1)
	s_cmp_lt_i32 s2, 0
	s_cbranch_scc1 .LBB107_23
; %bb.27:                               ;   in Loop: Header=BB107_24 Depth=1
	s_add_i32 s24, s4, s5
	s_delay_alu instid0(SALU_CYCLE_1) | instskip(SKIP_4) | instid1(SALU_CYCLE_1)
	s_abs_i32 s23, s24
	s_ashr_i32 s27, s24, 31
	s_mul_hi_u32 s25, s23, s41
	s_xor_b32 s27, s27, s40
	s_mul_i32 s28, s25, s33
	s_sub_i32 s23, s23, s28
	s_add_i32 s28, s25, 1
	s_sub_i32 s29, s23, s33
	s_cmp_ge_u32 s23, s33
	s_cselect_b32 s25, s28, s25
	s_cselect_b32 s23, s29, s23
	s_add_i32 s28, s25, 1
	s_cmp_ge_u32 s23, s33
	s_cselect_b32 s23, s28, s25
	s_delay_alu instid0(SALU_CYCLE_1) | instskip(NEXT) | instid1(SALU_CYCLE_1)
	s_xor_b32 s23, s23, s27
	s_sub_i32 s23, s23, s27
	s_delay_alu instid0(SALU_CYCLE_1) | instskip(NEXT) | instid1(SALU_CYCLE_1)
	s_mul_i32 s25, s23, s6
	s_sub_i32 s36, s24, s25
	s_mul_i32 s24, s23, s7
	s_mul_i32 s28, s36, s8
	s_delay_alu instid0(SALU_CYCLE_1) | instskip(NEXT) | instid1(SALU_CYCLE_1)
	s_add_i32 s28, s28, s24
	s_cmp_eq_u32 s28, s35
	s_cbranch_scc1 .LBB107_29
; %bb.28:                               ;   in Loop: Header=BB107_24 Depth=1
	s_mul_hi_i32 s25, s28, s34
	s_mul_i32 s24, s28, s34
	s_mov_b32 s27, s31
	s_lshl_b64 s[24:25], s[24:25], 1
	s_mov_b32 s35, s28
	s_add_u32 s24, s16, s24
	s_addc_u32 s25, s17, s25
	s_delay_alu instid0(SALU_CYCLE_1)
	s_and_b32 s25, s25, 0xffff
	buffer_load_b128 v[0:3], v9, s[24:27], 0 offen
	s_waitcnt vmcnt(0)
	v_lshrrev_b32_e32 v4, 16, v0
	v_and_b32_e32 v0, 0xffff, v0
	v_lshrrev_b32_e32 v5, 16, v1
	v_and_b32_e32 v6, 0xffff, v1
	;; [unrolled: 2-line block ×4, first 2 shown]
	v_cvt_f32_u32_e32 v1, v4
	v_cvt_f32_u32_e32 v0, v0
	;; [unrolled: 1-line block ×8, first 2 shown]
.LBB107_29:                             ;   in Loop: Header=BB107_24 Depth=1
	s_mul_i32 s24, s2, s3
	s_delay_alu instid0(SALU_CYCLE_1) | instskip(NEXT) | instid1(SALU_CYCLE_1)
	s_ashr_i32 s25, s24, 31
	s_lshl_b64 s[24:25], s[24:25], 2
	s_delay_alu instid0(SALU_CYCLE_1) | instskip(SKIP_1) | instid1(SALU_CYCLE_1)
	s_add_u32 s28, s18, s24
	s_addc_u32 s2, s19, s25
	s_and_b32 s29, s2, 0xffff
	s_clause 0x1
	buffer_load_b128 v[16:19], v10, s[28:31], 0 offen
	buffer_load_b128 v[24:27], v10, s[28:31], 16 offen
	s_waitcnt vmcnt(1)
	v_dual_mul_f32 v22, v0, v16 :: v_dual_mul_f32 v23, v1, v17
	v_dual_mul_f32 v16, v2, v18 :: v_dual_mul_f32 v17, v3, v19
	s_waitcnt vmcnt(0)
	v_dual_mul_f32 v18, v4, v24 :: v_dual_mul_f32 v19, v5, v25
	s_delay_alu instid0(VALU_DEP_3) | instskip(SKIP_1) | instid1(VALU_DEP_2)
	v_max3_f32 v20, |v22|, 0x2edbe6ff, |v23|
	v_mul_f32_e32 v21, v7, v27
	v_max3_f32 v24, v20, |v16|, |v17|
	v_mul_f32_e32 v20, v6, v26
	s_delay_alu instid0(VALU_DEP_2) | instskip(NEXT) | instid1(VALU_DEP_1)
	v_max3_f32 v24, v24, |v18|, |v19|
	v_max3_f32 v24, v24, |v20|, |v21|
	s_delay_alu instid0(VALU_DEP_1) | instskip(NEXT) | instid1(VALU_DEP_1)
	v_mov_b32_dpp v25, v24 quad_perm:[1,0,3,2] row_mask:0xf bank_mask:0xf
	v_cmp_gt_f32_e64 s2, v24, v25
	s_delay_alu instid0(VALU_DEP_1) | instskip(NEXT) | instid1(VALU_DEP_1)
	v_cndmask_b32_e64 v24, v25, v24, s2
	v_mov_b32_dpp v25, v24 quad_perm:[2,3,0,1] row_mask:0xf bank_mask:0xf
	s_delay_alu instid0(VALU_DEP_1) | instskip(NEXT) | instid1(VALU_DEP_1)
	v_cmp_gt_f32_e64 s2, v24, v25
	v_cndmask_b32_e64 v24, v25, v24, s2
	s_delay_alu instid0(VALU_DEP_1) | instskip(NEXT) | instid1(VALU_DEP_1)
	v_mov_b32_dpp v25, v24 row_xmask:7 row_mask:0xf bank_mask:0xf
	v_cmp_gt_f32_e64 s2, v24, v25
	s_delay_alu instid0(VALU_DEP_1) | instskip(NEXT) | instid1(VALU_DEP_1)
	v_cndmask_b32_e64 v24, v25, v24, s2
	v_mov_b32_dpp v25, v24 row_xmask:15 row_mask:0xf bank_mask:0xf
	s_delay_alu instid0(VALU_DEP_1)
	v_cmp_gt_f32_e64 s2, v24, v25
	s_and_saveexec_b32 s24, vcc_lo
	s_cbranch_execz .LBB107_31
; %bb.30:                               ;   in Loop: Header=BB107_24 Depth=1
	s_delay_alu instid0(VALU_DEP_1) | instskip(NEXT) | instid1(VALU_DEP_1)
	v_cndmask_b32_e64 v24, v25, v24, s2
	v_permlanex16_b32 v25, v24, s42, 0xfedcba98 op_sel:[1,1]
	s_delay_alu instid0(VALU_DEP_1) | instskip(NEXT) | instid1(VALU_DEP_1)
	v_cmp_gt_f32_e64 s2, v24, v25
	v_cndmask_b32_e64 v24, v25, v24, s2
	ds_store_b32 v11, v24
.LBB107_31:                             ;   in Loop: Header=BB107_24 Depth=1
	s_or_b32 exec_lo, exec_lo, s24
	s_waitcnt lgkmcnt(0)
	s_waitcnt_vscnt null, 0x0
	s_barrier
	buffer_gl0_inv
	ds_load_b32 v24, v12
	s_mul_i32 s23, s23, s9
	s_waitcnt lgkmcnt(0)
	v_mov_b32_dpp v25, v24 quad_perm:[1,0,3,2] row_mask:0xf bank_mask:0xf
	s_delay_alu instid0(VALU_DEP_1) | instskip(NEXT) | instid1(VALU_DEP_1)
	v_cmp_gt_f32_e64 s2, v24, v25
	v_cndmask_b32_e64 v24, v25, v24, s2
	s_delay_alu instid0(VALU_DEP_1) | instskip(NEXT) | instid1(VALU_DEP_1)
	v_mov_b32_dpp v25, v24 quad_perm:[2,3,0,1] row_mask:0xf bank_mask:0xf
	v_cmp_gt_f32_e64 s2, v24, v25
	s_delay_alu instid0(VALU_DEP_1) | instskip(NEXT) | instid1(VALU_DEP_1)
	v_cndmask_b32_e64 v24, v25, v24, s2
	v_mov_b32_dpp v25, v24 row_xmask:7 row_mask:0xf bank_mask:0xf
	s_delay_alu instid0(VALU_DEP_1) | instskip(NEXT) | instid1(VALU_DEP_1)
	v_cmp_gt_f32_e64 s2, v24, v25
	v_cndmask_b32_e64 v24, v25, v24, s2
	s_mul_i32 s2, s36, s10
	s_delay_alu instid0(SALU_CYCLE_1) | instskip(NEXT) | instid1(VALU_DEP_1)
	s_add_i32 s24, s2, s23
	v_mul_f32_e32 v24, 0x3c010204, v24
	s_and_saveexec_b32 s2, s0
	s_cbranch_execz .LBB107_33
; %bb.32:                               ;   in Loop: Header=BB107_24 Depth=1
	s_ashr_i32 s25, s24, 31
	s_delay_alu instid0(SALU_CYCLE_1) | instskip(NEXT) | instid1(SALU_CYCLE_1)
	s_lshl_b64 s[28:29], s[24:25], 2
	s_add_u32 s28, s14, s28
	s_addc_u32 s29, s15, s29
	global_store_b32 v15, v24, s[28:29]
.LBB107_33:                             ;   in Loop: Header=BB107_24 Depth=1
	s_or_b32 exec_lo, exec_lo, s2
	s_and_saveexec_b32 s2, s1
	s_cbranch_execz .LBB107_22
; %bb.34:                               ;   in Loop: Header=BB107_24 Depth=1
	v_rcp_f32_e32 v24, v24
	s_mul_i32 s23, s24, s34
	s_mul_hi_i32 s24, s24, s34
	s_add_u32 s36, s12, s23
	s_addc_u32 s23, s13, s24
	s_mov_b32 s39, s31
	s_and_b32 s37, s23, 0xffff
	s_waitcnt_depctr 0xfff
	v_mul_f32_e32 v18, v18, v24
	v_mul_f32_e32 v19, v19, v24
	;; [unrolled: 1-line block ×5, first 2 shown]
	v_cvt_i32_f32_e32 v18, v18
	v_cvt_i32_f32_e32 v19, v19
	v_mul_f32_e32 v23, v23, v24
	v_cvt_i32_f32_e32 v16, v16
	v_cvt_i32_f32_e32 v17, v17
	v_and_b32_e32 v18, 0xff, v18
	v_lshlrev_b16 v19, 8, v19
	v_mul_f32_e32 v21, v21, v24
	v_and_b32_e32 v16, 0xff, v16
	v_lshlrev_b16 v17, 8, v17
	v_cvt_i32_f32_e32 v23, v23
	v_or_b32_e32 v18, v18, v19
	v_mul_f32_e32 v22, v22, v24
	v_cvt_i32_f32_e32 v21, v21
	v_cvt_i32_f32_e32 v20, v20
	v_or_b32_e32 v16, v16, v17
	v_and_b32_e32 v17, 0xffff, v18
	v_cvt_i32_f32_e32 v22, v22
	v_lshlrev_b16 v21, 8, v21
	v_and_b32_e32 v20, 0xff, v20
	v_lshlrev_b16 v23, 8, v23
	v_lshlrev_b32_e32 v16, 16, v16
	v_and_b32_e32 v22, 0xff, v22
	s_delay_alu instid0(VALU_DEP_4) | instskip(NEXT) | instid1(VALU_DEP_2)
	v_or_b32_e32 v19, v20, v21
	v_or_b32_e32 v20, v22, v23
	s_delay_alu instid0(VALU_DEP_2) | instskip(NEXT) | instid1(VALU_DEP_2)
	v_lshlrev_b32_e32 v18, 16, v19
	v_and_b32_e32 v19, 0xffff, v20
	s_delay_alu instid0(VALU_DEP_2) | instskip(NEXT) | instid1(VALU_DEP_2)
	v_or_b32_e32 v17, v17, v18
	v_or_b32_e32 v16, v19, v16
	buffer_store_b64 v[16:17], v13, s[36:39], 0 offen
	;;#ASMSTART
	s_nop 0
	;;#ASMEND
	s_branch .LBB107_22
.LBB107_35:
	s_nop 0
	s_sendmsg sendmsg(MSG_DEALLOC_VGPRS)
	s_endpgm
	.section	.rodata,"a",@progbits
	.p2align	6, 0x0
	.amdhsa_kernel _ZN5aiter36smooth_per_token_scaled_quant_kernelItaLi256ELi8ELb0ELb1ELb0ELi1024EEEvPT0_PfPT_S3_PiS6_iiPKiiiiiiiii
		.amdhsa_group_segment_fixed_size 32
		.amdhsa_private_segment_fixed_size 0
		.amdhsa_kernarg_size 96
		.amdhsa_user_sgpr_count 15
		.amdhsa_user_sgpr_dispatch_ptr 0
		.amdhsa_user_sgpr_queue_ptr 0
		.amdhsa_user_sgpr_kernarg_segment_ptr 1
		.amdhsa_user_sgpr_dispatch_id 0
		.amdhsa_user_sgpr_private_segment_size 0
		.amdhsa_wavefront_size32 1
		.amdhsa_uses_dynamic_stack 0
		.amdhsa_enable_private_segment 0
		.amdhsa_system_sgpr_workgroup_id_x 1
		.amdhsa_system_sgpr_workgroup_id_y 0
		.amdhsa_system_sgpr_workgroup_id_z 0
		.amdhsa_system_sgpr_workgroup_info 0
		.amdhsa_system_vgpr_workitem_id 0
		.amdhsa_next_free_vgpr 28
		.amdhsa_next_free_sgpr 43
		.amdhsa_reserve_vcc 1
		.amdhsa_float_round_mode_32 0
		.amdhsa_float_round_mode_16_64 0
		.amdhsa_float_denorm_mode_32 3
		.amdhsa_float_denorm_mode_16_64 3
		.amdhsa_dx10_clamp 1
		.amdhsa_ieee_mode 1
		.amdhsa_fp16_overflow 0
		.amdhsa_workgroup_processor_mode 1
		.amdhsa_memory_ordered 1
		.amdhsa_forward_progress 0
		.amdhsa_shared_vgpr_count 0
		.amdhsa_exception_fp_ieee_invalid_op 0
		.amdhsa_exception_fp_denorm_src 0
		.amdhsa_exception_fp_ieee_div_zero 0
		.amdhsa_exception_fp_ieee_overflow 0
		.amdhsa_exception_fp_ieee_underflow 0
		.amdhsa_exception_fp_ieee_inexact 0
		.amdhsa_exception_int_div_zero 0
	.end_amdhsa_kernel
	.section	.text._ZN5aiter36smooth_per_token_scaled_quant_kernelItaLi256ELi8ELb0ELb1ELb0ELi1024EEEvPT0_PfPT_S3_PiS6_iiPKiiiiiiiii,"axG",@progbits,_ZN5aiter36smooth_per_token_scaled_quant_kernelItaLi256ELi8ELb0ELb1ELb0ELi1024EEEvPT0_PfPT_S3_PiS6_iiPKiiiiiiiii,comdat
.Lfunc_end107:
	.size	_ZN5aiter36smooth_per_token_scaled_quant_kernelItaLi256ELi8ELb0ELb1ELb0ELi1024EEEvPT0_PfPT_S3_PiS6_iiPKiiiiiiiii, .Lfunc_end107-_ZN5aiter36smooth_per_token_scaled_quant_kernelItaLi256ELi8ELb0ELb1ELb0ELi1024EEEvPT0_PfPT_S3_PiS6_iiPKiiiiiiiii
                                        ; -- End function
	.section	.AMDGPU.csdata,"",@progbits
; Kernel info:
; codeLenInByte = 2748
; NumSgprs: 45
; NumVgprs: 28
; ScratchSize: 0
; MemoryBound: 0
; FloatMode: 240
; IeeeMode: 1
; LDSByteSize: 32 bytes/workgroup (compile time only)
; SGPRBlocks: 5
; VGPRBlocks: 3
; NumSGPRsForWavesPerEU: 45
; NumVGPRsForWavesPerEU: 28
; Occupancy: 16
; WaveLimiterHint : 0
; COMPUTE_PGM_RSRC2:SCRATCH_EN: 0
; COMPUTE_PGM_RSRC2:USER_SGPR: 15
; COMPUTE_PGM_RSRC2:TRAP_HANDLER: 0
; COMPUTE_PGM_RSRC2:TGID_X_EN: 1
; COMPUTE_PGM_RSRC2:TGID_Y_EN: 0
; COMPUTE_PGM_RSRC2:TGID_Z_EN: 0
; COMPUTE_PGM_RSRC2:TIDIG_COMP_CNT: 0
	.section	.text._ZN5aiter36smooth_per_token_scaled_quant_kernelIDF16_aLi256ELi8ELb0ELb0ELb0ELi1024EEEvPT0_PfPT_S3_PiS6_iiPKiiiiiiiii,"axG",@progbits,_ZN5aiter36smooth_per_token_scaled_quant_kernelIDF16_aLi256ELi8ELb0ELb0ELb0ELi1024EEEvPT0_PfPT_S3_PiS6_iiPKiiiiiiiii,comdat
	.protected	_ZN5aiter36smooth_per_token_scaled_quant_kernelIDF16_aLi256ELi8ELb0ELb0ELb0ELi1024EEEvPT0_PfPT_S3_PiS6_iiPKiiiiiiiii ; -- Begin function _ZN5aiter36smooth_per_token_scaled_quant_kernelIDF16_aLi256ELi8ELb0ELb0ELb0ELi1024EEEvPT0_PfPT_S3_PiS6_iiPKiiiiiiiii
	.globl	_ZN5aiter36smooth_per_token_scaled_quant_kernelIDF16_aLi256ELi8ELb0ELb0ELb0ELi1024EEEvPT0_PfPT_S3_PiS6_iiPKiiiiiiiii
	.p2align	8
	.type	_ZN5aiter36smooth_per_token_scaled_quant_kernelIDF16_aLi256ELi8ELb0ELb0ELb0ELi1024EEEvPT0_PfPT_S3_PiS6_iiPKiiiiiiiii,@function
_ZN5aiter36smooth_per_token_scaled_quant_kernelIDF16_aLi256ELi8ELb0ELb0ELb0ELi1024EEEvPT0_PfPT_S3_PiS6_iiPKiiiiiiiii: ; @_ZN5aiter36smooth_per_token_scaled_quant_kernelIDF16_aLi256ELi8ELb0ELb0ELb0ELi1024EEEvPT0_PfPT_S3_PiS6_iiPKiiiiiiiii
; %bb.0:
	s_clause 0x1
	s_load_b64 s[2:3], s[0:1], 0x38
	s_load_b256 s[4:11], s[0:1], 0x40
	s_waitcnt lgkmcnt(0)
	s_cmp_lg_u64 s[2:3], 0
	s_cbranch_scc0 .LBB108_19
; %bb.1:
	s_load_b32 s2, s[2:3], 0x0
	s_waitcnt lgkmcnt(0)
	s_mul_i32 s4, s2, s4
	s_cbranch_execnz .LBB108_3
.LBB108_2:
	s_mul_i32 s4, s6, s5
.LBB108_3:
	s_load_b64 s[2:3], s[0:1], 0x30
	s_abs_i32 s13, s4
	s_waitcnt lgkmcnt(0)
	s_abs_i32 s5, s2
	s_delay_alu instid0(SALU_CYCLE_1) | instskip(SKIP_1) | instid1(VALU_DEP_1)
	v_cvt_f32_u32_e32 v1, s5
	s_sub_i32 s12, 0, s5
	v_rcp_iflag_f32_e32 v1, v1
	s_waitcnt_depctr 0xfff
	v_mul_f32_e32 v1, 0x4f7ffffe, v1
	s_delay_alu instid0(VALU_DEP_1) | instskip(NEXT) | instid1(VALU_DEP_1)
	v_cvt_u32_f32_e32 v1, v1
	v_readfirstlane_b32 s11, v1
	s_delay_alu instid0(VALU_DEP_1) | instskip(NEXT) | instid1(SALU_CYCLE_1)
	s_mul_i32 s12, s12, s11
	s_mul_hi_u32 s12, s11, s12
	s_delay_alu instid0(SALU_CYCLE_1) | instskip(SKIP_4) | instid1(SALU_CYCLE_1)
	s_add_i32 s11, s11, s12
	s_xor_b32 s12, s4, s2
	s_mul_hi_u32 s11, s13, s11
	s_ashr_i32 s12, s12, 31
	s_mul_i32 s14, s11, s5
	s_sub_i32 s13, s13, s14
	s_add_i32 s14, s11, 1
	s_sub_i32 s16, s13, s5
	s_cmp_ge_u32 s13, s5
	s_cselect_b32 s11, s14, s11
	s_cselect_b32 s13, s16, s13
	s_add_i32 s14, s11, 1
	s_cmp_ge_u32 s13, s5
	s_cselect_b32 s5, s14, s11
	s_delay_alu instid0(SALU_CYCLE_1) | instskip(NEXT) | instid1(SALU_CYCLE_1)
	s_xor_b32 s5, s5, s12
	s_sub_i32 s5, s5, s12
	s_mov_b32 s12, 0
	s_mul_i32 s2, s5, s2
	s_delay_alu instid0(SALU_CYCLE_1) | instskip(NEXT) | instid1(SALU_CYCLE_1)
	s_sub_i32 s4, s4, s2
	s_cmp_lt_u32 s15, s4
	s_cselect_b32 s2, -1, 0
	s_add_i32 s11, s5, 1
	s_cmp_ge_u32 s15, s4
	s_cbranch_scc0 .LBB108_5
; %bb.4:
	s_sub_i32 s13, s15, s4
	s_mul_i32 s4, s4, s11
	s_mul_i32 s13, s13, s5
	s_delay_alu instid0(SALU_CYCLE_1)
	s_add_i32 s4, s13, s4
	s_and_not1_b32 vcc_lo, exec_lo, s12
	s_cbranch_vccz .LBB108_6
	s_branch .LBB108_7
.LBB108_5:
                                        ; implicit-def: $sgpr4
.LBB108_6:
	s_mul_i32 s4, s11, s15
.LBB108_7:
	v_cndmask_b32_e64 v1, 0, 1, s2
	s_delay_alu instid0(VALU_DEP_1) | instskip(NEXT) | instid1(VALU_DEP_1)
	v_readfirstlane_b32 s2, v1
	s_add_i32 s5, s5, s2
	s_delay_alu instid0(SALU_CYCLE_1)
	s_cmp_lt_i32 s5, 1
	s_cbranch_scc1 .LBB108_18
; %bb.8:
	s_abs_i32 s33, s6
	s_load_b256 s[12:19], s[0:1], 0x0
	v_cvt_f32_u32_e32 v3, s33
	s_add_i32 s1, s3, 7
	s_mov_b32 s11, s3
	s_ashr_i32 s2, s1, 31
	s_lshl_b32 s22, s3, 1
	v_rcp_iflag_f32_e32 v5, v3
	v_lshlrev_b32_e32 v2, 5, v0
	s_lshl_b32 s26, s3, 2
	s_lshr_b32 s2, s2, 29
	s_add_i32 s3, s3, 3
	s_add_i32 s1, s1, s2
	s_ashr_i32 s2, s3, 31
	v_and_b32_e32 v3, 31, v0
	v_lshrrev_b32_e32 v4, 3, v0
	s_waitcnt_depctr 0xfff
	v_dual_mul_f32 v5, 0x4f7ffffe, v5 :: v_dual_and_b32 v6, 7, v0
	s_lshr_b32 s2, s2, 30
	s_ashr_i32 s1, s1, 3
	s_add_i32 s3, s3, s2
	s_sub_i32 s2, 0, s33
	v_cvt_u32_f32_e32 v5, v5
	v_lshlrev_b32_e32 v1, 4, v0
	v_cmp_eq_u32_e32 vcc_lo, 31, v3
	v_and_b32_e32 v3, 0x7c, v4
	v_cmp_eq_u32_e64 s0, 0, v0
	v_readfirstlane_b32 s20, v5
	v_dual_mov_b32 v5, 0 :: v_dual_lshlrev_b32 v4, 2, v6
	v_cmp_gt_u32_e64 s1, s1, v0
	v_lshlrev_b32_e32 v0, 3, v0
	s_delay_alu instid0(VALU_DEP_4)
	s_mul_i32 s2, s2, s20
	s_mov_b32 s23, -1
	s_waitcnt lgkmcnt(0)
	s_and_b32 s19, s19, 0xffff
	s_mul_hi_u32 s2, s20, s2
	s_mov_b32 s27, s23
	s_and_b32 s30, s3, -4
	s_ashr_i32 s34, s6, 31
	s_add_i32 s35, s20, s2
	s_mov_b32 s24, s18
	s_mov_b32 s25, s19
	;; [unrolled: 1-line block ×4, first 2 shown]
                                        ; implicit-def: $vgpr6
                                        ; implicit-def: $vgpr9
                                        ; implicit-def: $vgpr7
                                        ; implicit-def: $vgpr10
                                        ; implicit-def: $vgpr8
                                        ; implicit-def: $vgpr12
                                        ; implicit-def: $vgpr11
                                        ; implicit-def: $vgpr13
	s_branch .LBB108_10
.LBB108_9:                              ;   in Loop: Header=BB108_10 Depth=1
	s_or_b32 exec_lo, exec_lo, s3
	s_add_i32 s5, s5, -1
	s_add_i32 s4, s4, 1
	s_cmp_eq_u32 s5, 0
	s_cbranch_scc1 .LBB108_18
.LBB108_10:                             ; =>This Inner Loop Header: Depth=1
	s_abs_i32 s2, s4
	s_ashr_i32 s20, s4, 31
	s_mul_hi_u32 s3, s2, s35
	s_xor_b32 s20, s20, s34
	s_mul_i32 s21, s3, s33
	s_delay_alu instid0(SALU_CYCLE_1)
	s_sub_i32 s2, s2, s21
	s_add_i32 s21, s3, 1
	s_sub_i32 s28, s2, s33
	s_cmp_ge_u32 s2, s33
	s_cselect_b32 s3, s21, s3
	s_cselect_b32 s2, s28, s2
	s_add_i32 s21, s3, 1
	s_cmp_ge_u32 s2, s33
	s_cselect_b32 s2, s21, s3
	s_delay_alu instid0(SALU_CYCLE_1) | instskip(NEXT) | instid1(SALU_CYCLE_1)
	s_xor_b32 s2, s2, s20
	s_sub_i32 s3, s2, s20
	s_delay_alu instid0(SALU_CYCLE_1) | instskip(SKIP_2) | instid1(SALU_CYCLE_1)
	s_mul_i32 s2, s3, s6
	s_mul_i32 s20, s3, s7
	s_sub_i32 s28, s4, s2
	s_mul_i32 s2, s28, s8
	s_delay_alu instid0(SALU_CYCLE_1) | instskip(NEXT) | instid1(SALU_CYCLE_1)
	s_add_i32 s2, s2, s20
	s_cmp_eq_u32 s2, s19
	s_cbranch_scc1 .LBB108_12
; %bb.11:                               ;   in Loop: Header=BB108_10 Depth=1
	s_mul_hi_i32 s21, s2, s11
	s_mul_i32 s20, s2, s11
	s_delay_alu instid0(SALU_CYCLE_1) | instskip(NEXT) | instid1(SALU_CYCLE_1)
	s_lshl_b64 s[20:21], s[20:21], 1
	s_add_u32 s20, s16, s20
	s_addc_u32 s19, s17, s21
	s_delay_alu instid0(SALU_CYCLE_1)
	s_and_b32 s21, s19, 0xffff
	s_mov_b32 s19, s2
	buffer_load_b128 v[7:10], v1, s[20:23], 0 offen
	s_waitcnt vmcnt(0)
	v_lshrrev_b32_e32 v12, 16, v7
	v_lshrrev_b32_e32 v13, 16, v8
	;; [unrolled: 1-line block ×4, first 2 shown]
	v_cvt_f32_f16_e32 v6, v7
	v_cvt_f32_f16_e32 v7, v8
	;; [unrolled: 1-line block ×8, first 2 shown]
.LBB108_12:                             ;   in Loop: Header=BB108_10 Depth=1
	s_clause 0x1
	buffer_load_b128 v[14:17], v2, s[24:27], 0 offen
	buffer_load_b128 v[21:24], v2, s[24:27], 16 offen
	s_waitcnt vmcnt(1)
	v_dual_mul_f32 v19, v6, v14 :: v_dual_mul_f32 v20, v9, v15
	v_dual_mul_f32 v14, v7, v16 :: v_dual_mul_f32 v15, v10, v17
	s_waitcnt vmcnt(0)
	v_dual_mul_f32 v16, v8, v21 :: v_dual_mul_f32 v21, v13, v24
	s_delay_alu instid0(VALU_DEP_3) | instskip(SKIP_1) | instid1(VALU_DEP_2)
	v_max3_f32 v18, |v19|, 0x2edbe6ff, |v20|
	v_mul_f32_e32 v17, v12, v22
	v_max3_f32 v22, v18, |v14|, |v15|
	v_mul_f32_e32 v18, v11, v23
	s_delay_alu instid0(VALU_DEP_2) | instskip(NEXT) | instid1(VALU_DEP_1)
	v_max3_f32 v22, v22, |v16|, |v17|
	v_max3_f32 v22, v22, |v18|, |v21|
	s_delay_alu instid0(VALU_DEP_1) | instskip(NEXT) | instid1(VALU_DEP_1)
	v_mov_b32_dpp v23, v22 quad_perm:[1,0,3,2] row_mask:0xf bank_mask:0xf
	v_cmp_gt_f32_e64 s2, v22, v23
	s_delay_alu instid0(VALU_DEP_1) | instskip(NEXT) | instid1(VALU_DEP_1)
	v_cndmask_b32_e64 v22, v23, v22, s2
	v_mov_b32_dpp v23, v22 quad_perm:[2,3,0,1] row_mask:0xf bank_mask:0xf
	s_delay_alu instid0(VALU_DEP_1) | instskip(NEXT) | instid1(VALU_DEP_1)
	v_cmp_gt_f32_e64 s2, v22, v23
	v_cndmask_b32_e64 v22, v23, v22, s2
	s_delay_alu instid0(VALU_DEP_1) | instskip(NEXT) | instid1(VALU_DEP_1)
	v_mov_b32_dpp v23, v22 row_xmask:7 row_mask:0xf bank_mask:0xf
	v_cmp_gt_f32_e64 s2, v22, v23
	s_delay_alu instid0(VALU_DEP_1) | instskip(NEXT) | instid1(VALU_DEP_1)
	v_cndmask_b32_e64 v22, v23, v22, s2
	v_mov_b32_dpp v23, v22 row_xmask:15 row_mask:0xf bank_mask:0xf
	s_delay_alu instid0(VALU_DEP_1)
	v_cmp_gt_f32_e64 s2, v22, v23
	s_and_saveexec_b32 s20, vcc_lo
	s_cbranch_execz .LBB108_14
; %bb.13:                               ;   in Loop: Header=BB108_10 Depth=1
	s_delay_alu instid0(VALU_DEP_1) | instskip(NEXT) | instid1(VALU_DEP_1)
	v_cndmask_b32_e64 v22, v23, v22, s2
	v_permlanex16_b32 v23, v22, s18, 0xfedcba98 op_sel:[1,1]
	s_delay_alu instid0(VALU_DEP_1) | instskip(NEXT) | instid1(VALU_DEP_1)
	v_cmp_gt_f32_e64 s2, v22, v23
	v_cndmask_b32_e64 v22, v23, v22, s2
	ds_store_b32 v3, v22
.LBB108_14:                             ;   in Loop: Header=BB108_10 Depth=1
	s_or_b32 exec_lo, exec_lo, s20
	s_waitcnt lgkmcnt(0)
	s_waitcnt_vscnt null, 0x0
	s_barrier
	buffer_gl0_inv
	ds_load_b32 v22, v4
	s_mul_i32 s3, s3, s9
	s_waitcnt lgkmcnt(0)
	v_mov_b32_dpp v23, v22 quad_perm:[1,0,3,2] row_mask:0xf bank_mask:0xf
	s_delay_alu instid0(VALU_DEP_1) | instskip(NEXT) | instid1(VALU_DEP_1)
	v_cmp_gt_f32_e64 s2, v22, v23
	v_cndmask_b32_e64 v22, v23, v22, s2
	s_delay_alu instid0(VALU_DEP_1) | instskip(NEXT) | instid1(VALU_DEP_1)
	v_mov_b32_dpp v23, v22 quad_perm:[2,3,0,1] row_mask:0xf bank_mask:0xf
	v_cmp_gt_f32_e64 s2, v22, v23
	s_delay_alu instid0(VALU_DEP_1) | instskip(NEXT) | instid1(VALU_DEP_1)
	v_cndmask_b32_e64 v22, v23, v22, s2
	v_mov_b32_dpp v23, v22 row_xmask:7 row_mask:0xf bank_mask:0xf
	s_delay_alu instid0(VALU_DEP_1) | instskip(NEXT) | instid1(VALU_DEP_1)
	v_cmp_gt_f32_e64 s2, v22, v23
	v_cndmask_b32_e64 v22, v23, v22, s2
	s_mul_i32 s2, s28, s10
	s_delay_alu instid0(SALU_CYCLE_1) | instskip(NEXT) | instid1(VALU_DEP_1)
	s_add_i32 s2, s2, s3
	v_mul_f32_e32 v22, 0x3c010204, v22
	s_and_saveexec_b32 s20, s0
	s_cbranch_execz .LBB108_16
; %bb.15:                               ;   in Loop: Header=BB108_10 Depth=1
	s_ashr_i32 s3, s2, 31
	s_delay_alu instid0(SALU_CYCLE_1) | instskip(NEXT) | instid1(SALU_CYCLE_1)
	s_lshl_b64 s[28:29], s[2:3], 2
	s_add_u32 s28, s14, s28
	s_addc_u32 s29, s15, s29
	global_store_b32 v5, v22, s[28:29]
.LBB108_16:                             ;   in Loop: Header=BB108_10 Depth=1
	s_or_b32 exec_lo, exec_lo, s20
	s_and_saveexec_b32 s3, s1
	s_cbranch_execz .LBB108_9
; %bb.17:                               ;   in Loop: Header=BB108_10 Depth=1
	v_rcp_f32_e32 v22, v22
	s_mul_i32 s20, s2, s11
	s_mul_hi_i32 s2, s2, s11
	s_add_u32 s28, s12, s20
	s_addc_u32 s2, s13, s2
	s_mov_b32 s31, s23
	s_and_b32 s29, s2, 0xffff
	s_waitcnt_depctr 0xfff
	v_mul_f32_e32 v16, v16, v22
	v_mul_f32_e32 v17, v17, v22
	;; [unrolled: 1-line block ×4, first 2 shown]
	s_delay_alu instid0(VALU_DEP_4) | instskip(NEXT) | instid1(VALU_DEP_4)
	v_cvt_i32_f32_e32 v16, v16
	v_cvt_i32_f32_e32 v17, v17
	s_delay_alu instid0(VALU_DEP_4) | instskip(NEXT) | instid1(VALU_DEP_4)
	v_cvt_i32_f32_e32 v18, v18
	v_cvt_i32_f32_e32 v21, v21
	s_delay_alu instid0(VALU_DEP_4) | instskip(NEXT) | instid1(VALU_DEP_4)
	v_dual_mul_f32 v19, v19, v22 :: v_dual_and_b32 v16, 0xff, v16
	v_lshlrev_b16 v17, 8, v17
	s_delay_alu instid0(VALU_DEP_4) | instskip(NEXT) | instid1(VALU_DEP_4)
	v_and_b32_e32 v18, 0xff, v18
	v_lshlrev_b16 v21, 8, v21
	s_delay_alu instid0(VALU_DEP_4)
	v_cvt_i32_f32_e32 v19, v19
	v_mul_f32_e32 v20, v20, v22
	v_or_b32_e32 v16, v16, v17
	v_mul_f32_e32 v14, v14, v22
	v_or_b32_e32 v17, v18, v21
	v_mul_f32_e32 v15, v15, v22
	v_and_b32_e32 v19, 0xff, v19
	v_cvt_i32_f32_e32 v20, v20
	v_cvt_i32_f32_e32 v14, v14
	s_delay_alu instid0(VALU_DEP_4) | instskip(NEXT) | instid1(VALU_DEP_3)
	v_cvt_i32_f32_e32 v15, v15
	v_lshlrev_b16 v20, 8, v20
	s_delay_alu instid0(VALU_DEP_3) | instskip(NEXT) | instid1(VALU_DEP_3)
	v_and_b32_e32 v14, 0xff, v14
	v_lshlrev_b16 v15, 8, v15
	s_delay_alu instid0(VALU_DEP_3) | instskip(NEXT) | instid1(VALU_DEP_2)
	v_or_b32_e32 v18, v19, v20
	v_or_b32_e32 v14, v14, v15
	v_and_b32_e32 v15, 0xffff, v16
	v_lshlrev_b32_e32 v16, 16, v17
	s_delay_alu instid0(VALU_DEP_4) | instskip(NEXT) | instid1(VALU_DEP_4)
	v_and_b32_e32 v17, 0xffff, v18
	v_lshlrev_b32_e32 v14, 16, v14
	s_delay_alu instid0(VALU_DEP_3) | instskip(NEXT) | instid1(VALU_DEP_2)
	v_or_b32_e32 v15, v15, v16
	v_or_b32_e32 v14, v17, v14
	buffer_store_b64 v[14:15], v0, s[28:31], 0 offen
	;;#ASMSTART
	s_nop 0
	;;#ASMEND
	s_branch .LBB108_9
.LBB108_18:
	s_nop 0
	s_sendmsg sendmsg(MSG_DEALLOC_VGPRS)
	s_endpgm
.LBB108_19:
                                        ; implicit-def: $sgpr4
	s_branch .LBB108_2
	.section	.rodata,"a",@progbits
	.p2align	6, 0x0
	.amdhsa_kernel _ZN5aiter36smooth_per_token_scaled_quant_kernelIDF16_aLi256ELi8ELb0ELb0ELb0ELi1024EEEvPT0_PfPT_S3_PiS6_iiPKiiiiiiiii
		.amdhsa_group_segment_fixed_size 32
		.amdhsa_private_segment_fixed_size 0
		.amdhsa_kernarg_size 96
		.amdhsa_user_sgpr_count 15
		.amdhsa_user_sgpr_dispatch_ptr 0
		.amdhsa_user_sgpr_queue_ptr 0
		.amdhsa_user_sgpr_kernarg_segment_ptr 1
		.amdhsa_user_sgpr_dispatch_id 0
		.amdhsa_user_sgpr_private_segment_size 0
		.amdhsa_wavefront_size32 1
		.amdhsa_uses_dynamic_stack 0
		.amdhsa_enable_private_segment 0
		.amdhsa_system_sgpr_workgroup_id_x 1
		.amdhsa_system_sgpr_workgroup_id_y 0
		.amdhsa_system_sgpr_workgroup_id_z 0
		.amdhsa_system_sgpr_workgroup_info 0
		.amdhsa_system_vgpr_workitem_id 0
		.amdhsa_next_free_vgpr 25
		.amdhsa_next_free_sgpr 36
		.amdhsa_reserve_vcc 1
		.amdhsa_float_round_mode_32 0
		.amdhsa_float_round_mode_16_64 0
		.amdhsa_float_denorm_mode_32 3
		.amdhsa_float_denorm_mode_16_64 3
		.amdhsa_dx10_clamp 1
		.amdhsa_ieee_mode 1
		.amdhsa_fp16_overflow 0
		.amdhsa_workgroup_processor_mode 1
		.amdhsa_memory_ordered 1
		.amdhsa_forward_progress 0
		.amdhsa_shared_vgpr_count 0
		.amdhsa_exception_fp_ieee_invalid_op 0
		.amdhsa_exception_fp_denorm_src 0
		.amdhsa_exception_fp_ieee_div_zero 0
		.amdhsa_exception_fp_ieee_overflow 0
		.amdhsa_exception_fp_ieee_underflow 0
		.amdhsa_exception_fp_ieee_inexact 0
		.amdhsa_exception_int_div_zero 0
	.end_amdhsa_kernel
	.section	.text._ZN5aiter36smooth_per_token_scaled_quant_kernelIDF16_aLi256ELi8ELb0ELb0ELb0ELi1024EEEvPT0_PfPT_S3_PiS6_iiPKiiiiiiiii,"axG",@progbits,_ZN5aiter36smooth_per_token_scaled_quant_kernelIDF16_aLi256ELi8ELb0ELb0ELb0ELi1024EEEvPT0_PfPT_S3_PiS6_iiPKiiiiiiiii,comdat
.Lfunc_end108:
	.size	_ZN5aiter36smooth_per_token_scaled_quant_kernelIDF16_aLi256ELi8ELb0ELb0ELb0ELi1024EEEvPT0_PfPT_S3_PiS6_iiPKiiiiiiiii, .Lfunc_end108-_ZN5aiter36smooth_per_token_scaled_quant_kernelIDF16_aLi256ELi8ELb0ELb0ELb0ELi1024EEEvPT0_PfPT_S3_PiS6_iiPKiiiiiiiii
                                        ; -- End function
	.section	.AMDGPU.csdata,"",@progbits
; Kernel info:
; codeLenInByte = 1524
; NumSgprs: 38
; NumVgprs: 25
; ScratchSize: 0
; MemoryBound: 0
; FloatMode: 240
; IeeeMode: 1
; LDSByteSize: 32 bytes/workgroup (compile time only)
; SGPRBlocks: 4
; VGPRBlocks: 3
; NumSGPRsForWavesPerEU: 38
; NumVGPRsForWavesPerEU: 25
; Occupancy: 16
; WaveLimiterHint : 0
; COMPUTE_PGM_RSRC2:SCRATCH_EN: 0
; COMPUTE_PGM_RSRC2:USER_SGPR: 15
; COMPUTE_PGM_RSRC2:TRAP_HANDLER: 0
; COMPUTE_PGM_RSRC2:TGID_X_EN: 1
; COMPUTE_PGM_RSRC2:TGID_Y_EN: 0
; COMPUTE_PGM_RSRC2:TGID_Z_EN: 0
; COMPUTE_PGM_RSRC2:TIDIG_COMP_CNT: 0
	.section	.text._ZN5aiter36smooth_per_token_scaled_quant_kernelItaLi256ELi8ELb0ELb0ELb0ELi1024EEEvPT0_PfPT_S3_PiS6_iiPKiiiiiiiii,"axG",@progbits,_ZN5aiter36smooth_per_token_scaled_quant_kernelItaLi256ELi8ELb0ELb0ELb0ELi1024EEEvPT0_PfPT_S3_PiS6_iiPKiiiiiiiii,comdat
	.protected	_ZN5aiter36smooth_per_token_scaled_quant_kernelItaLi256ELi8ELb0ELb0ELb0ELi1024EEEvPT0_PfPT_S3_PiS6_iiPKiiiiiiiii ; -- Begin function _ZN5aiter36smooth_per_token_scaled_quant_kernelItaLi256ELi8ELb0ELb0ELb0ELi1024EEEvPT0_PfPT_S3_PiS6_iiPKiiiiiiiii
	.globl	_ZN5aiter36smooth_per_token_scaled_quant_kernelItaLi256ELi8ELb0ELb0ELb0ELi1024EEEvPT0_PfPT_S3_PiS6_iiPKiiiiiiiii
	.p2align	8
	.type	_ZN5aiter36smooth_per_token_scaled_quant_kernelItaLi256ELi8ELb0ELb0ELb0ELi1024EEEvPT0_PfPT_S3_PiS6_iiPKiiiiiiiii,@function
_ZN5aiter36smooth_per_token_scaled_quant_kernelItaLi256ELi8ELb0ELb0ELb0ELi1024EEEvPT0_PfPT_S3_PiS6_iiPKiiiiiiiii: ; @_ZN5aiter36smooth_per_token_scaled_quant_kernelItaLi256ELi8ELb0ELb0ELb0ELi1024EEEvPT0_PfPT_S3_PiS6_iiPKiiiiiiiii
; %bb.0:
	s_clause 0x1
	s_load_b64 s[2:3], s[0:1], 0x38
	s_load_b256 s[4:11], s[0:1], 0x40
	s_waitcnt lgkmcnt(0)
	s_cmp_lg_u64 s[2:3], 0
	s_cbranch_scc0 .LBB109_19
; %bb.1:
	s_load_b32 s2, s[2:3], 0x0
	s_waitcnt lgkmcnt(0)
	s_mul_i32 s4, s2, s4
	s_cbranch_execnz .LBB109_3
.LBB109_2:
	s_mul_i32 s4, s6, s5
.LBB109_3:
	s_load_b64 s[2:3], s[0:1], 0x30
	s_abs_i32 s13, s4
	s_waitcnt lgkmcnt(0)
	s_abs_i32 s5, s2
	s_delay_alu instid0(SALU_CYCLE_1) | instskip(SKIP_1) | instid1(VALU_DEP_1)
	v_cvt_f32_u32_e32 v1, s5
	s_sub_i32 s12, 0, s5
	v_rcp_iflag_f32_e32 v1, v1
	s_waitcnt_depctr 0xfff
	v_mul_f32_e32 v1, 0x4f7ffffe, v1
	s_delay_alu instid0(VALU_DEP_1) | instskip(NEXT) | instid1(VALU_DEP_1)
	v_cvt_u32_f32_e32 v1, v1
	v_readfirstlane_b32 s11, v1
	s_delay_alu instid0(VALU_DEP_1) | instskip(NEXT) | instid1(SALU_CYCLE_1)
	s_mul_i32 s12, s12, s11
	s_mul_hi_u32 s12, s11, s12
	s_delay_alu instid0(SALU_CYCLE_1) | instskip(SKIP_4) | instid1(SALU_CYCLE_1)
	s_add_i32 s11, s11, s12
	s_xor_b32 s12, s4, s2
	s_mul_hi_u32 s11, s13, s11
	s_ashr_i32 s12, s12, 31
	s_mul_i32 s14, s11, s5
	s_sub_i32 s13, s13, s14
	s_add_i32 s14, s11, 1
	s_sub_i32 s16, s13, s5
	s_cmp_ge_u32 s13, s5
	s_cselect_b32 s11, s14, s11
	s_cselect_b32 s13, s16, s13
	s_add_i32 s14, s11, 1
	s_cmp_ge_u32 s13, s5
	s_cselect_b32 s5, s14, s11
	s_delay_alu instid0(SALU_CYCLE_1) | instskip(NEXT) | instid1(SALU_CYCLE_1)
	s_xor_b32 s5, s5, s12
	s_sub_i32 s5, s5, s12
	s_mov_b32 s12, 0
	s_mul_i32 s2, s5, s2
	s_delay_alu instid0(SALU_CYCLE_1) | instskip(NEXT) | instid1(SALU_CYCLE_1)
	s_sub_i32 s4, s4, s2
	s_cmp_lt_u32 s15, s4
	s_cselect_b32 s2, -1, 0
	s_add_i32 s11, s5, 1
	s_cmp_ge_u32 s15, s4
	s_cbranch_scc0 .LBB109_5
; %bb.4:
	s_sub_i32 s13, s15, s4
	s_mul_i32 s4, s4, s11
	s_mul_i32 s13, s13, s5
	s_delay_alu instid0(SALU_CYCLE_1)
	s_add_i32 s4, s13, s4
	s_and_not1_b32 vcc_lo, exec_lo, s12
	s_cbranch_vccz .LBB109_6
	s_branch .LBB109_7
.LBB109_5:
                                        ; implicit-def: $sgpr4
.LBB109_6:
	s_mul_i32 s4, s11, s15
.LBB109_7:
	v_cndmask_b32_e64 v1, 0, 1, s2
	s_delay_alu instid0(VALU_DEP_1) | instskip(NEXT) | instid1(VALU_DEP_1)
	v_readfirstlane_b32 s2, v1
	s_add_i32 s5, s5, s2
	s_delay_alu instid0(SALU_CYCLE_1)
	s_cmp_lt_i32 s5, 1
	s_cbranch_scc1 .LBB109_18
; %bb.8:
	s_abs_i32 s33, s6
	s_load_b256 s[12:19], s[0:1], 0x0
	v_cvt_f32_u32_e32 v3, s33
	s_add_i32 s1, s3, 7
	s_mov_b32 s11, s3
	s_ashr_i32 s2, s1, 31
	s_lshl_b32 s22, s3, 1
	v_rcp_iflag_f32_e32 v5, v3
	v_lshlrev_b32_e32 v2, 5, v0
	s_lshl_b32 s26, s3, 2
	s_lshr_b32 s2, s2, 29
	s_add_i32 s3, s3, 3
	s_add_i32 s1, s1, s2
	s_ashr_i32 s2, s3, 31
	v_and_b32_e32 v3, 31, v0
	v_lshrrev_b32_e32 v4, 3, v0
	s_waitcnt_depctr 0xfff
	v_dual_mul_f32 v5, 0x4f7ffffe, v5 :: v_dual_and_b32 v6, 7, v0
	s_lshr_b32 s2, s2, 30
	s_ashr_i32 s1, s1, 3
	s_add_i32 s3, s3, s2
	s_sub_i32 s2, 0, s33
	v_cvt_u32_f32_e32 v5, v5
	v_lshlrev_b32_e32 v1, 4, v0
	v_cmp_eq_u32_e32 vcc_lo, 31, v3
	v_and_b32_e32 v3, 0x7c, v4
	v_cmp_eq_u32_e64 s0, 0, v0
	v_readfirstlane_b32 s20, v5
	v_dual_mov_b32 v5, 0 :: v_dual_lshlrev_b32 v4, 2, v6
	v_cmp_gt_u32_e64 s1, s1, v0
	v_lshlrev_b32_e32 v0, 3, v0
	s_delay_alu instid0(VALU_DEP_4)
	s_mul_i32 s2, s2, s20
	s_mov_b32 s23, -1
	s_waitcnt lgkmcnt(0)
	s_and_b32 s19, s19, 0xffff
	s_mul_hi_u32 s2, s20, s2
	s_mov_b32 s27, s23
	s_and_b32 s30, s3, -4
	s_ashr_i32 s34, s6, 31
	s_add_i32 s35, s20, s2
	s_mov_b32 s24, s18
	s_mov_b32 s25, s19
	s_mov_b32 s18, 0x76543210
	s_mov_b32 s19, s23
                                        ; implicit-def: $vgpr6
                                        ; implicit-def: $vgpr7
                                        ; implicit-def: $vgpr8
                                        ; implicit-def: $vgpr9
                                        ; implicit-def: $vgpr10
                                        ; implicit-def: $vgpr11
                                        ; implicit-def: $vgpr12
                                        ; implicit-def: $vgpr13
	s_branch .LBB109_10
.LBB109_9:                              ;   in Loop: Header=BB109_10 Depth=1
	s_or_b32 exec_lo, exec_lo, s3
	s_add_i32 s5, s5, -1
	s_add_i32 s4, s4, 1
	s_cmp_eq_u32 s5, 0
	s_cbranch_scc1 .LBB109_18
.LBB109_10:                             ; =>This Inner Loop Header: Depth=1
	s_abs_i32 s2, s4
	s_ashr_i32 s20, s4, 31
	s_mul_hi_u32 s3, s2, s35
	s_xor_b32 s20, s20, s34
	s_mul_i32 s21, s3, s33
	s_delay_alu instid0(SALU_CYCLE_1)
	s_sub_i32 s2, s2, s21
	s_add_i32 s21, s3, 1
	s_sub_i32 s28, s2, s33
	s_cmp_ge_u32 s2, s33
	s_cselect_b32 s3, s21, s3
	s_cselect_b32 s2, s28, s2
	s_add_i32 s21, s3, 1
	s_cmp_ge_u32 s2, s33
	s_cselect_b32 s2, s21, s3
	s_delay_alu instid0(SALU_CYCLE_1) | instskip(NEXT) | instid1(SALU_CYCLE_1)
	s_xor_b32 s2, s2, s20
	s_sub_i32 s3, s2, s20
	s_delay_alu instid0(SALU_CYCLE_1) | instskip(SKIP_2) | instid1(SALU_CYCLE_1)
	s_mul_i32 s2, s3, s6
	s_mul_i32 s20, s3, s7
	s_sub_i32 s28, s4, s2
	s_mul_i32 s2, s28, s8
	s_delay_alu instid0(SALU_CYCLE_1) | instskip(NEXT) | instid1(SALU_CYCLE_1)
	s_add_i32 s2, s2, s20
	s_cmp_eq_u32 s2, s19
	s_cbranch_scc1 .LBB109_12
; %bb.11:                               ;   in Loop: Header=BB109_10 Depth=1
	s_mul_hi_i32 s21, s2, s11
	s_mul_i32 s20, s2, s11
	s_delay_alu instid0(SALU_CYCLE_1) | instskip(NEXT) | instid1(SALU_CYCLE_1)
	s_lshl_b64 s[20:21], s[20:21], 1
	s_add_u32 s20, s16, s20
	s_addc_u32 s19, s17, s21
	s_delay_alu instid0(SALU_CYCLE_1)
	s_and_b32 s21, s19, 0xffff
	s_mov_b32 s19, s2
	buffer_load_b128 v[6:9], v1, s[20:23], 0 offen
	s_waitcnt vmcnt(0)
	v_and_b32_e32 v10, 0xffff, v6
	v_lshrrev_b32_e32 v11, 16, v6
	v_and_b32_e32 v12, 0xffff, v7
	v_lshrrev_b32_e32 v13, 16, v7
	;; [unrolled: 2-line block ×4, first 2 shown]
	v_cvt_f32_u32_e32 v6, v10
	v_cvt_f32_u32_e32 v7, v11
	;; [unrolled: 1-line block ×8, first 2 shown]
.LBB109_12:                             ;   in Loop: Header=BB109_10 Depth=1
	s_clause 0x1
	buffer_load_b128 v[14:17], v2, s[24:27], 0 offen
	buffer_load_b128 v[21:24], v2, s[24:27], 16 offen
	s_waitcnt vmcnt(1)
	v_dual_mul_f32 v19, v6, v14 :: v_dual_mul_f32 v20, v7, v15
	v_dual_mul_f32 v14, v8, v16 :: v_dual_mul_f32 v15, v9, v17
	s_waitcnt vmcnt(0)
	v_dual_mul_f32 v16, v10, v21 :: v_dual_mul_f32 v17, v11, v22
	s_delay_alu instid0(VALU_DEP_3) | instskip(SKIP_1) | instid1(VALU_DEP_2)
	v_max3_f32 v18, |v19|, 0x2edbe6ff, |v20|
	v_mul_f32_e32 v21, v13, v24
	v_max3_f32 v22, v18, |v14|, |v15|
	v_mul_f32_e32 v18, v12, v23
	s_delay_alu instid0(VALU_DEP_2) | instskip(NEXT) | instid1(VALU_DEP_1)
	v_max3_f32 v22, v22, |v16|, |v17|
	v_max3_f32 v22, v22, |v18|, |v21|
	s_delay_alu instid0(VALU_DEP_1) | instskip(NEXT) | instid1(VALU_DEP_1)
	v_mov_b32_dpp v23, v22 quad_perm:[1,0,3,2] row_mask:0xf bank_mask:0xf
	v_cmp_gt_f32_e64 s2, v22, v23
	s_delay_alu instid0(VALU_DEP_1) | instskip(NEXT) | instid1(VALU_DEP_1)
	v_cndmask_b32_e64 v22, v23, v22, s2
	v_mov_b32_dpp v23, v22 quad_perm:[2,3,0,1] row_mask:0xf bank_mask:0xf
	s_delay_alu instid0(VALU_DEP_1) | instskip(NEXT) | instid1(VALU_DEP_1)
	v_cmp_gt_f32_e64 s2, v22, v23
	v_cndmask_b32_e64 v22, v23, v22, s2
	s_delay_alu instid0(VALU_DEP_1) | instskip(NEXT) | instid1(VALU_DEP_1)
	v_mov_b32_dpp v23, v22 row_xmask:7 row_mask:0xf bank_mask:0xf
	v_cmp_gt_f32_e64 s2, v22, v23
	s_delay_alu instid0(VALU_DEP_1) | instskip(NEXT) | instid1(VALU_DEP_1)
	v_cndmask_b32_e64 v22, v23, v22, s2
	v_mov_b32_dpp v23, v22 row_xmask:15 row_mask:0xf bank_mask:0xf
	s_delay_alu instid0(VALU_DEP_1)
	v_cmp_gt_f32_e64 s2, v22, v23
	s_and_saveexec_b32 s20, vcc_lo
	s_cbranch_execz .LBB109_14
; %bb.13:                               ;   in Loop: Header=BB109_10 Depth=1
	s_delay_alu instid0(VALU_DEP_1) | instskip(NEXT) | instid1(VALU_DEP_1)
	v_cndmask_b32_e64 v22, v23, v22, s2
	v_permlanex16_b32 v23, v22, s18, 0xfedcba98 op_sel:[1,1]
	s_delay_alu instid0(VALU_DEP_1) | instskip(NEXT) | instid1(VALU_DEP_1)
	v_cmp_gt_f32_e64 s2, v22, v23
	v_cndmask_b32_e64 v22, v23, v22, s2
	ds_store_b32 v3, v22
.LBB109_14:                             ;   in Loop: Header=BB109_10 Depth=1
	s_or_b32 exec_lo, exec_lo, s20
	s_waitcnt lgkmcnt(0)
	s_waitcnt_vscnt null, 0x0
	s_barrier
	buffer_gl0_inv
	ds_load_b32 v22, v4
	s_mul_i32 s3, s3, s9
	s_waitcnt lgkmcnt(0)
	v_mov_b32_dpp v23, v22 quad_perm:[1,0,3,2] row_mask:0xf bank_mask:0xf
	s_delay_alu instid0(VALU_DEP_1) | instskip(NEXT) | instid1(VALU_DEP_1)
	v_cmp_gt_f32_e64 s2, v22, v23
	v_cndmask_b32_e64 v22, v23, v22, s2
	s_delay_alu instid0(VALU_DEP_1) | instskip(NEXT) | instid1(VALU_DEP_1)
	v_mov_b32_dpp v23, v22 quad_perm:[2,3,0,1] row_mask:0xf bank_mask:0xf
	v_cmp_gt_f32_e64 s2, v22, v23
	s_delay_alu instid0(VALU_DEP_1) | instskip(NEXT) | instid1(VALU_DEP_1)
	v_cndmask_b32_e64 v22, v23, v22, s2
	v_mov_b32_dpp v23, v22 row_xmask:7 row_mask:0xf bank_mask:0xf
	s_delay_alu instid0(VALU_DEP_1) | instskip(NEXT) | instid1(VALU_DEP_1)
	v_cmp_gt_f32_e64 s2, v22, v23
	v_cndmask_b32_e64 v22, v23, v22, s2
	s_mul_i32 s2, s28, s10
	s_delay_alu instid0(SALU_CYCLE_1) | instskip(NEXT) | instid1(VALU_DEP_1)
	s_add_i32 s2, s2, s3
	v_mul_f32_e32 v22, 0x3c010204, v22
	s_and_saveexec_b32 s20, s0
	s_cbranch_execz .LBB109_16
; %bb.15:                               ;   in Loop: Header=BB109_10 Depth=1
	s_ashr_i32 s3, s2, 31
	s_delay_alu instid0(SALU_CYCLE_1) | instskip(NEXT) | instid1(SALU_CYCLE_1)
	s_lshl_b64 s[28:29], s[2:3], 2
	s_add_u32 s28, s14, s28
	s_addc_u32 s29, s15, s29
	global_store_b32 v5, v22, s[28:29]
.LBB109_16:                             ;   in Loop: Header=BB109_10 Depth=1
	s_or_b32 exec_lo, exec_lo, s20
	s_and_saveexec_b32 s3, s1
	s_cbranch_execz .LBB109_9
; %bb.17:                               ;   in Loop: Header=BB109_10 Depth=1
	v_rcp_f32_e32 v22, v22
	s_mul_i32 s20, s2, s11
	s_mul_hi_i32 s2, s2, s11
	s_add_u32 s28, s12, s20
	s_addc_u32 s2, s13, s2
	s_mov_b32 s31, s23
	s_and_b32 s29, s2, 0xffff
	s_waitcnt_depctr 0xfff
	v_mul_f32_e32 v16, v16, v22
	v_mul_f32_e32 v17, v17, v22
	;; [unrolled: 1-line block ×4, first 2 shown]
	s_delay_alu instid0(VALU_DEP_4) | instskip(NEXT) | instid1(VALU_DEP_4)
	v_cvt_i32_f32_e32 v16, v16
	v_cvt_i32_f32_e32 v17, v17
	s_delay_alu instid0(VALU_DEP_4) | instskip(NEXT) | instid1(VALU_DEP_4)
	v_cvt_i32_f32_e32 v18, v18
	v_cvt_i32_f32_e32 v21, v21
	s_delay_alu instid0(VALU_DEP_4) | instskip(NEXT) | instid1(VALU_DEP_4)
	v_dual_mul_f32 v19, v19, v22 :: v_dual_and_b32 v16, 0xff, v16
	v_lshlrev_b16 v17, 8, v17
	s_delay_alu instid0(VALU_DEP_4) | instskip(NEXT) | instid1(VALU_DEP_4)
	v_and_b32_e32 v18, 0xff, v18
	v_lshlrev_b16 v21, 8, v21
	s_delay_alu instid0(VALU_DEP_4)
	v_cvt_i32_f32_e32 v19, v19
	v_mul_f32_e32 v20, v20, v22
	v_or_b32_e32 v16, v16, v17
	v_mul_f32_e32 v14, v14, v22
	v_or_b32_e32 v17, v18, v21
	v_mul_f32_e32 v15, v15, v22
	v_and_b32_e32 v19, 0xff, v19
	v_cvt_i32_f32_e32 v20, v20
	v_cvt_i32_f32_e32 v14, v14
	s_delay_alu instid0(VALU_DEP_4) | instskip(NEXT) | instid1(VALU_DEP_3)
	v_cvt_i32_f32_e32 v15, v15
	v_lshlrev_b16 v20, 8, v20
	s_delay_alu instid0(VALU_DEP_3) | instskip(NEXT) | instid1(VALU_DEP_3)
	v_and_b32_e32 v14, 0xff, v14
	v_lshlrev_b16 v15, 8, v15
	s_delay_alu instid0(VALU_DEP_3) | instskip(NEXT) | instid1(VALU_DEP_2)
	v_or_b32_e32 v18, v19, v20
	v_or_b32_e32 v14, v14, v15
	v_and_b32_e32 v15, 0xffff, v16
	v_lshlrev_b32_e32 v16, 16, v17
	s_delay_alu instid0(VALU_DEP_4) | instskip(NEXT) | instid1(VALU_DEP_4)
	v_and_b32_e32 v17, 0xffff, v18
	v_lshlrev_b32_e32 v14, 16, v14
	s_delay_alu instid0(VALU_DEP_3) | instskip(NEXT) | instid1(VALU_DEP_2)
	v_or_b32_e32 v15, v15, v16
	v_or_b32_e32 v14, v17, v14
	buffer_store_b64 v[14:15], v0, s[28:31], 0 offen
	;;#ASMSTART
	s_nop 0
	;;#ASMEND
	s_branch .LBB109_9
.LBB109_18:
	s_nop 0
	s_sendmsg sendmsg(MSG_DEALLOC_VGPRS)
	s_endpgm
.LBB109_19:
                                        ; implicit-def: $sgpr4
	s_branch .LBB109_2
	.section	.rodata,"a",@progbits
	.p2align	6, 0x0
	.amdhsa_kernel _ZN5aiter36smooth_per_token_scaled_quant_kernelItaLi256ELi8ELb0ELb0ELb0ELi1024EEEvPT0_PfPT_S3_PiS6_iiPKiiiiiiiii
		.amdhsa_group_segment_fixed_size 32
		.amdhsa_private_segment_fixed_size 0
		.amdhsa_kernarg_size 96
		.amdhsa_user_sgpr_count 15
		.amdhsa_user_sgpr_dispatch_ptr 0
		.amdhsa_user_sgpr_queue_ptr 0
		.amdhsa_user_sgpr_kernarg_segment_ptr 1
		.amdhsa_user_sgpr_dispatch_id 0
		.amdhsa_user_sgpr_private_segment_size 0
		.amdhsa_wavefront_size32 1
		.amdhsa_uses_dynamic_stack 0
		.amdhsa_enable_private_segment 0
		.amdhsa_system_sgpr_workgroup_id_x 1
		.amdhsa_system_sgpr_workgroup_id_y 0
		.amdhsa_system_sgpr_workgroup_id_z 0
		.amdhsa_system_sgpr_workgroup_info 0
		.amdhsa_system_vgpr_workitem_id 0
		.amdhsa_next_free_vgpr 25
		.amdhsa_next_free_sgpr 36
		.amdhsa_reserve_vcc 1
		.amdhsa_float_round_mode_32 0
		.amdhsa_float_round_mode_16_64 0
		.amdhsa_float_denorm_mode_32 3
		.amdhsa_float_denorm_mode_16_64 3
		.amdhsa_dx10_clamp 1
		.amdhsa_ieee_mode 1
		.amdhsa_fp16_overflow 0
		.amdhsa_workgroup_processor_mode 1
		.amdhsa_memory_ordered 1
		.amdhsa_forward_progress 0
		.amdhsa_shared_vgpr_count 0
		.amdhsa_exception_fp_ieee_invalid_op 0
		.amdhsa_exception_fp_denorm_src 0
		.amdhsa_exception_fp_ieee_div_zero 0
		.amdhsa_exception_fp_ieee_overflow 0
		.amdhsa_exception_fp_ieee_underflow 0
		.amdhsa_exception_fp_ieee_inexact 0
		.amdhsa_exception_int_div_zero 0
	.end_amdhsa_kernel
	.section	.text._ZN5aiter36smooth_per_token_scaled_quant_kernelItaLi256ELi8ELb0ELb0ELb0ELi1024EEEvPT0_PfPT_S3_PiS6_iiPKiiiiiiiii,"axG",@progbits,_ZN5aiter36smooth_per_token_scaled_quant_kernelItaLi256ELi8ELb0ELb0ELb0ELi1024EEEvPT0_PfPT_S3_PiS6_iiPKiiiiiiiii,comdat
.Lfunc_end109:
	.size	_ZN5aiter36smooth_per_token_scaled_quant_kernelItaLi256ELi8ELb0ELb0ELb0ELi1024EEEvPT0_PfPT_S3_PiS6_iiPKiiiiiiiii, .Lfunc_end109-_ZN5aiter36smooth_per_token_scaled_quant_kernelItaLi256ELi8ELb0ELb0ELb0ELi1024EEEvPT0_PfPT_S3_PiS6_iiPKiiiiiiiii
                                        ; -- End function
	.section	.AMDGPU.csdata,"",@progbits
; Kernel info:
; codeLenInByte = 1556
; NumSgprs: 38
; NumVgprs: 25
; ScratchSize: 0
; MemoryBound: 0
; FloatMode: 240
; IeeeMode: 1
; LDSByteSize: 32 bytes/workgroup (compile time only)
; SGPRBlocks: 4
; VGPRBlocks: 3
; NumSGPRsForWavesPerEU: 38
; NumVGPRsForWavesPerEU: 25
; Occupancy: 16
; WaveLimiterHint : 0
; COMPUTE_PGM_RSRC2:SCRATCH_EN: 0
; COMPUTE_PGM_RSRC2:USER_SGPR: 15
; COMPUTE_PGM_RSRC2:TRAP_HANDLER: 0
; COMPUTE_PGM_RSRC2:TGID_X_EN: 1
; COMPUTE_PGM_RSRC2:TGID_Y_EN: 0
; COMPUTE_PGM_RSRC2:TGID_Z_EN: 0
; COMPUTE_PGM_RSRC2:TIDIG_COMP_CNT: 0
	.section	.text._ZN5aiter36smooth_per_token_scaled_quant_kernelIDF16_aLi256ELi16ELb1ELb1ELb1ELi1024EEEvPT0_PfPT_S3_PiS6_iiPKiiiiiiiii,"axG",@progbits,_ZN5aiter36smooth_per_token_scaled_quant_kernelIDF16_aLi256ELi16ELb1ELb1ELb1ELi1024EEEvPT0_PfPT_S3_PiS6_iiPKiiiiiiiii,comdat
	.protected	_ZN5aiter36smooth_per_token_scaled_quant_kernelIDF16_aLi256ELi16ELb1ELb1ELb1ELi1024EEEvPT0_PfPT_S3_PiS6_iiPKiiiiiiiii ; -- Begin function _ZN5aiter36smooth_per_token_scaled_quant_kernelIDF16_aLi256ELi16ELb1ELb1ELb1ELi1024EEEvPT0_PfPT_S3_PiS6_iiPKiiiiiiiii
	.globl	_ZN5aiter36smooth_per_token_scaled_quant_kernelIDF16_aLi256ELi16ELb1ELb1ELb1ELi1024EEEvPT0_PfPT_S3_PiS6_iiPKiiiiiiiii
	.p2align	8
	.type	_ZN5aiter36smooth_per_token_scaled_quant_kernelIDF16_aLi256ELi16ELb1ELb1ELb1ELi1024EEEvPT0_PfPT_S3_PiS6_iiPKiiiiiiiii,@function
_ZN5aiter36smooth_per_token_scaled_quant_kernelIDF16_aLi256ELi16ELb1ELb1ELb1ELi1024EEEvPT0_PfPT_S3_PiS6_iiPKiiiiiiiii: ; @_ZN5aiter36smooth_per_token_scaled_quant_kernelIDF16_aLi256ELi16ELb1ELb1ELb1ELi1024EEEvPT0_PfPT_S3_PiS6_iiPKiiiiiiiii
; %bb.0:
	s_clause 0x2
	s_load_b64 s[2:3], s[0:1], 0x38
	s_load_b64 s[16:17], s[0:1], 0x28
	s_load_b256 s[4:11], s[0:1], 0x40
	s_waitcnt lgkmcnt(0)
	s_cmp_lg_u64 s[2:3], 0
	s_cbranch_scc0 .LBB110_11
; %bb.1:
	s_load_b32 s2, s[2:3], 0x0
	s_waitcnt lgkmcnt(0)
	s_mul_i32 s4, s2, s4
	s_cbranch_execnz .LBB110_3
.LBB110_2:
	s_mul_i32 s4, s6, s5
.LBB110_3:
	s_load_b64 s[2:3], s[0:1], 0x30
	s_lshl_b32 s18, s11, 2
	s_and_b32 s17, s17, 0xffff
	s_mov_b32 s19, -1
	s_abs_i32 s14, s4
                                        ; implicit-def: $sgpr34
	s_waitcnt lgkmcnt(0)
	s_abs_i32 s11, s2
	s_delay_alu instid0(SALU_CYCLE_1) | instskip(SKIP_1) | instid1(VALU_DEP_1)
	v_cvt_f32_u32_e32 v6, s11
	s_sub_i32 s13, 0, s11
	v_rcp_iflag_f32_e32 v6, v6
	s_waitcnt_depctr 0xfff
	v_dual_mul_f32 v6, 0x4f7ffffe, v6 :: v_dual_lshlrev_b32 v1, 2, v0
	s_clause 0x3
	buffer_load_b32 v2, v1, s[16:19], 0 offen
	buffer_load_b32 v3, v1, s[16:19], 0 offen offset:1024
	buffer_load_b32 v4, v1, s[16:19], 0 offen offset:2048
	;; [unrolled: 1-line block ×3, first 2 shown]
	s_waitcnt vmcnt(2)
	ds_store_2addr_stride64_b32 v1, v2, v3 offset1:4
	s_waitcnt vmcnt(0)
	ds_store_2addr_stride64_b32 v1, v4, v5 offset0:8 offset1:12
	v_cvt_u32_f32_e32 v6, v6
	s_delay_alu instid0(VALU_DEP_1) | instskip(NEXT) | instid1(VALU_DEP_1)
	v_readfirstlane_b32 s12, v6
	s_mul_i32 s13, s13, s12
	s_delay_alu instid0(SALU_CYCLE_1) | instskip(NEXT) | instid1(SALU_CYCLE_1)
	s_mul_hi_u32 s13, s12, s13
	s_add_i32 s12, s12, s13
	s_xor_b32 s13, s4, s2
	s_mul_hi_u32 s12, s14, s12
	s_ashr_i32 s13, s13, 31
	s_mul_i32 s16, s12, s11
	s_delay_alu instid0(SALU_CYCLE_1)
	s_sub_i32 s14, s14, s16
	s_add_i32 s16, s12, 1
	s_sub_i32 s17, s14, s11
	s_cmp_ge_u32 s14, s11
	s_cselect_b32 s12, s16, s12
	s_cselect_b32 s14, s17, s14
	s_add_i32 s16, s12, 1
	s_cmp_ge_u32 s14, s11
	s_cselect_b32 s11, s16, s12
	s_delay_alu instid0(SALU_CYCLE_1) | instskip(NEXT) | instid1(SALU_CYCLE_1)
	s_xor_b32 s11, s11, s13
	s_sub_i32 s11, s11, s13
	s_delay_alu instid0(SALU_CYCLE_1) | instskip(NEXT) | instid1(SALU_CYCLE_1)
	s_mul_i32 s2, s11, s2
	s_sub_i32 s12, s4, s2
	s_delay_alu instid0(SALU_CYCLE_1)
	s_cmp_lt_u32 s15, s12
	s_cselect_b32 s2, -1, 0
	s_add_i32 s4, s11, 1
	s_cmp_ge_u32 s15, s12
	s_cbranch_scc0 .LBB110_5
; %bb.4:
	s_sub_i32 s13, s15, s12
	s_mul_i32 s12, s12, s4
	s_mul_i32 s13, s13, s11
	s_mov_b32 s19, 0
	s_add_i32 s34, s13, s12
.LBB110_5:
	s_and_not1_b32 vcc_lo, exec_lo, s19
	s_cbranch_vccnz .LBB110_7
; %bb.6:
	s_mul_i32 s34, s4, s15
.LBB110_7:
	v_cndmask_b32_e64 v1, 0, 1, s2
	s_delay_alu instid0(VALU_DEP_1) | instskip(NEXT) | instid1(VALU_DEP_1)
	v_readfirstlane_b32 s2, v1
	s_add_i32 s4, s11, s2
	s_delay_alu instid0(SALU_CYCLE_1)
	s_cmp_lt_i32 s4, 1
	s_cbranch_scc1 .LBB110_35
; %bb.8:
	s_load_b64 s[12:13], s[0:1], 0x20
	s_ashr_i32 s35, s34, 31
	v_and_b32_e32 v1, 31, v0
	s_lshl_b64 s[14:15], s[34:35], 2
	s_mov_b32 s33, -1
	v_and_b32_e32 v4, 7, v0
	s_mov_b32 s23, s33
	v_cmp_eq_u32_e32 vcc_lo, 31, v1
	v_lshlrev_b32_e32 v16, 5, v0
	v_lshlrev_b32_e32 v17, 6, v0
	v_lshl_or_b32 v19, v4, 2, 0x1000
	v_lshlrev_b32_e32 v21, 4, v0
	s_mov_b32 s42, s3
	s_waitcnt lgkmcnt(0)
	s_add_u32 s20, s12, s14
	s_addc_u32 s2, s13, s15
	s_abs_i32 s11, s6
	s_lshl_b32 s22, s4, 2
	v_cvt_f32_u32_e32 v3, s11
	s_and_b32 s21, s2, 0xffff
	s_load_b256 s[12:19], s[0:1], 0x0
	s_movk_i32 s0, 0x7c
	s_add_i32 s1, s3, 15
	v_rcp_iflag_f32_e32 v3, v3
	v_lshlrev_b32_e32 v22, 2, v1
	v_lshrrev_b32_e32 v1, 3, v0
	s_ashr_i32 s2, s1, 31
	s_lshl_b32 s26, s3, 1
	s_lshr_b32 s2, s2, 28
	s_lshl_b32 s30, s3, 2
	v_and_or_b32 v18, v1, s0, 0x1000
	s_add_i32 s1, s1, s2
	v_cmp_eq_u32_e64 s0, 0, v0
	s_waitcnt_depctr 0xfff
	v_mul_f32_e32 v1, 0x4f7ffffe, v3
	buffer_load_b32 v2, v22, s[20:23], 0 offen
	s_waitcnt vmcnt(0) expcnt(0) lgkmcnt(0)
	s_barrier
	buffer_gl0_inv
	v_cvt_u32_f32_e32 v1, v1
	s_add_i32 s23, s3, 3
	s_ashr_i32 s1, s1, 4
	s_ashr_i32 s2, s23, 31
	v_cmp_gt_u32_e64 s1, s1, v0
	v_readfirstlane_b32 s41, v1
	s_lshr_b32 s2, s2, 30
	s_ashr_i32 s40, s6, 31
	s_add_i32 s23, s23, s2
	s_sub_i32 s2, 0, s11
	s_and_b32 s38, s23, -4
	s_mul_i32 s23, s2, s41
	s_delay_alu instid0(SALU_CYCLE_1) | instskip(NEXT) | instid1(SALU_CYCLE_1)
	s_mul_hi_u32 s23, s41, s23
	s_add_i32 s41, s41, s23
	v_lshlrev_b32_e32 v2, 2, v2
	ds_load_b32 v20, v2
	s_waitcnt lgkmcnt(0)
	v_readlane_b32 s2, v20, 0
	s_delay_alu instid0(VALU_DEP_1)
	s_cmp_lt_i32 s2, 0
	s_cbranch_scc1 .LBB110_12
; %bb.9:
	s_abs_i32 s23, s34
	s_xor_b32 s27, s35, s40
	s_mul_hi_u32 s24, s23, s41
	s_mov_b32 s31, -1
	s_mul_i32 s25, s24, s11
	s_add_i32 s28, s24, 1
	s_sub_i32 s25, s23, s25
	s_delay_alu instid0(SALU_CYCLE_1)
	s_sub_i32 s29, s25, s11
	s_cmp_ge_u32 s25, s11
	s_cselect_b32 s24, s28, s24
	s_cselect_b32 s25, s29, s25
	s_add_i32 s28, s24, 1
	s_cmp_ge_u32 s25, s11
	s_cselect_b32 s24, s28, s24
	s_delay_alu instid0(SALU_CYCLE_1) | instskip(NEXT) | instid1(SALU_CYCLE_1)
	s_xor_b32 s24, s24, s27
	s_sub_i32 s24, s24, s27
	s_delay_alu instid0(SALU_CYCLE_1) | instskip(SKIP_2) | instid1(SALU_CYCLE_1)
	s_mul_i32 s25, s24, s6
	s_mul_i32 s24, s24, s7
	s_sub_i32 s25, s34, s25
	s_mul_i32 s25, s25, s8
	s_delay_alu instid0(SALU_CYCLE_1) | instskip(NEXT) | instid1(SALU_CYCLE_1)
	s_add_i32 s33, s25, s24
	s_cmp_eq_u32 s33, -1
	s_cbranch_scc1 .LBB110_13
; %bb.10:
	s_mul_hi_i32 s25, s33, s42
	s_mul_i32 s24, s33, s42
	s_mov_b32 s27, s31
	s_lshl_b64 s[24:25], s[24:25], 1
	s_delay_alu instid0(SALU_CYCLE_1) | instskip(SKIP_1) | instid1(SALU_CYCLE_1)
	s_add_u32 s24, s16, s24
	s_addc_u32 s25, s17, s25
	s_and_b32 s25, s25, 0xffff
	s_clause 0x1
	buffer_load_b128 v[4:7], v16, s[24:27], 0 offen
	buffer_load_b128 v[12:15], v16, s[24:27], 16 offen
	s_waitcnt vmcnt(1)
	v_cvt_f32_f16_e32 v0, v4
	v_lshrrev_b32_e32 v1, 16, v4
	v_cvt_f32_f16_e32 v2, v5
	v_lshrrev_b32_e32 v3, 16, v5
	v_cvt_f32_f16_e32 v4, v6
	v_lshrrev_b32_e32 v5, 16, v6
	v_cvt_f32_f16_e32 v6, v7
	v_lshrrev_b32_e32 v7, 16, v7
	s_waitcnt vmcnt(0)
	v_cvt_f32_f16_e32 v8, v12
	v_lshrrev_b32_e32 v9, 16, v12
	v_cvt_f32_f16_e32 v10, v13
	v_lshrrev_b32_e32 v11, 16, v13
	;; [unrolled: 2-line block ×4, first 2 shown]
	v_cvt_f32_f16_e32 v1, v1
	v_cvt_f32_f16_e32 v3, v3
	;; [unrolled: 1-line block ×8, first 2 shown]
	s_branch .LBB110_14
.LBB110_11:
                                        ; implicit-def: $sgpr4
	s_branch .LBB110_2
.LBB110_12:
                                        ; implicit-def: $vgpr0_vgpr1_vgpr2_vgpr3_vgpr4_vgpr5_vgpr6_vgpr7_vgpr8_vgpr9_vgpr10_vgpr11_vgpr12_vgpr13_vgpr14_vgpr15
	s_cmp_eq_u32 s4, 1
	s_mov_b32 s35, 1
	s_cbranch_scc0 .LBB110_21
	s_branch .LBB110_35
.LBB110_13:
                                        ; implicit-def: $vgpr0_vgpr1_vgpr2_vgpr3_vgpr4_vgpr5_vgpr6_vgpr7_vgpr8_vgpr9_vgpr10_vgpr11_vgpr12_vgpr13_vgpr14_vgpr15
.LBB110_14:
	s_mul_i32 s24, s2, s3
	s_delay_alu instid0(SALU_CYCLE_1) | instskip(NEXT) | instid1(SALU_CYCLE_1)
	s_ashr_i32 s25, s24, 31
	s_lshl_b64 s[24:25], s[24:25], 2
	s_delay_alu instid0(SALU_CYCLE_1) | instskip(SKIP_1) | instid1(SALU_CYCLE_1)
	s_add_u32 s28, s18, s24
	s_addc_u32 s2, s19, s25
	s_and_b32 s29, s2, 0xffff
	s_clause 0x3
	buffer_load_b128 v[23:26], v17, s[28:31], 0 offen
	buffer_load_b128 v[27:30], v17, s[28:31], 16 offen
	;; [unrolled: 1-line block ×4, first 2 shown]
	s_waitcnt vmcnt(3)
	v_dual_mul_f32 v37, v0, v23 :: v_dual_mul_f32 v38, v1, v24
	v_dual_mul_f32 v31, v2, v25 :: v_dual_mul_f32 v32, v3, v26
	s_waitcnt vmcnt(2)
	v_dual_mul_f32 v33, v4, v27 :: v_dual_mul_f32 v34, v5, v28
	s_delay_alu instid0(VALU_DEP_3) | instskip(SKIP_3) | instid1(VALU_DEP_3)
	v_max3_f32 v23, |v37|, 0x2edbe6ff, |v38|
	v_dual_mul_f32 v35, v6, v29 :: v_dual_mul_f32 v36, v7, v30
	s_waitcnt vmcnt(1)
	v_dual_mul_f32 v28, v8, v39 :: v_dual_mul_f32 v29, v9, v40
	v_max3_f32 v23, v23, |v31|, |v32|
	s_waitcnt vmcnt(0)
	v_mul_f32_e32 v26, v12, v43
	v_dual_mul_f32 v30, v13, v44 :: v_dual_mul_f32 v27, v15, v46
	v_mul_f32_e32 v24, v11, v42
	v_max3_f32 v23, v23, |v33|, |v34|
	s_delay_alu instid0(VALU_DEP_1) | instskip(SKIP_1) | instid1(VALU_DEP_2)
	v_max3_f32 v25, v23, |v35|, |v36|
	v_mul_f32_e32 v23, v10, v41
	v_max3_f32 v25, v25, |v28|, |v29|
	s_delay_alu instid0(VALU_DEP_1) | instskip(SKIP_1) | instid1(VALU_DEP_2)
	v_max3_f32 v39, v25, |v23|, |v24|
	v_mul_f32_e32 v25, v14, v45
	v_max3_f32 v39, v39, |v26|, |v30|
	s_delay_alu instid0(VALU_DEP_1) | instskip(NEXT) | instid1(VALU_DEP_1)
	v_max3_f32 v39, v39, |v25|, |v27|
	v_mov_b32_dpp v40, v39 quad_perm:[1,0,3,2] row_mask:0xf bank_mask:0xf
	s_delay_alu instid0(VALU_DEP_1) | instskip(NEXT) | instid1(VALU_DEP_1)
	v_cmp_gt_f32_e64 s2, v39, v40
	v_cndmask_b32_e64 v39, v40, v39, s2
	s_delay_alu instid0(VALU_DEP_1) | instskip(NEXT) | instid1(VALU_DEP_1)
	v_mov_b32_dpp v40, v39 quad_perm:[2,3,0,1] row_mask:0xf bank_mask:0xf
	v_cmp_gt_f32_e64 s2, v39, v40
	s_delay_alu instid0(VALU_DEP_1) | instskip(NEXT) | instid1(VALU_DEP_1)
	v_cndmask_b32_e64 v39, v40, v39, s2
	v_mov_b32_dpp v40, v39 row_xmask:7 row_mask:0xf bank_mask:0xf
	s_delay_alu instid0(VALU_DEP_1) | instskip(NEXT) | instid1(VALU_DEP_1)
	v_cmp_gt_f32_e64 s2, v39, v40
	v_cndmask_b32_e64 v39, v40, v39, s2
	s_delay_alu instid0(VALU_DEP_1) | instskip(NEXT) | instid1(VALU_DEP_1)
	v_mov_b32_dpp v40, v39 row_xmask:15 row_mask:0xf bank_mask:0xf
	v_cmp_gt_f32_e64 s2, v39, v40
	s_and_saveexec_b32 s24, vcc_lo
	s_cbranch_execz .LBB110_16
; %bb.15:
	s_delay_alu instid0(VALU_DEP_1)
	v_cndmask_b32_e64 v39, v40, v39, s2
	s_mov_b32 s2, 0x76543210
	s_delay_alu instid0(VALU_DEP_1) | instid1(SALU_CYCLE_1)
	v_permlanex16_b32 v40, v39, s2, 0xfedcba98 op_sel:[1,1]
	s_delay_alu instid0(VALU_DEP_1) | instskip(NEXT) | instid1(VALU_DEP_1)
	v_cmp_gt_f32_e64 s2, v39, v40
	v_cndmask_b32_e64 v39, v40, v39, s2
	ds_store_b32 v18, v39
.LBB110_16:
	s_or_b32 exec_lo, exec_lo, s24
	s_waitcnt lgkmcnt(0)
	s_barrier
	buffer_gl0_inv
	ds_load_b32 v40, v19
	s_abs_i32 s24, s5
	s_delay_alu instid0(SALU_CYCLE_1) | instskip(SKIP_1) | instid1(VALU_DEP_1)
	v_cvt_f32_u32_e32 v39, s24
	s_sub_i32 s27, 0, s24
	v_rcp_iflag_f32_e32 v39, v39
	s_waitcnt_depctr 0xfff
	v_mul_f32_e32 v39, 0x4f7ffffe, v39
	s_waitcnt lgkmcnt(0)
	v_mov_b32_dpp v41, v40 quad_perm:[1,0,3,2] row_mask:0xf bank_mask:0xf
	s_delay_alu instid0(VALU_DEP_2) | instskip(NEXT) | instid1(VALU_DEP_2)
	v_cvt_u32_f32_e32 v39, v39
	v_cmp_gt_f32_e64 s2, v40, v41
	s_delay_alu instid0(VALU_DEP_2) | instskip(NEXT) | instid1(VALU_DEP_2)
	v_readfirstlane_b32 s25, v39
	v_cndmask_b32_e64 v39, v41, v40, s2
	s_delay_alu instid0(VALU_DEP_2) | instskip(NEXT) | instid1(VALU_DEP_1)
	s_mul_i32 s27, s27, s25
	v_mov_b32_dpp v40, v39 quad_perm:[2,3,0,1] row_mask:0xf bank_mask:0xf
	s_mul_hi_u32 s2, s25, s27
	s_delay_alu instid0(SALU_CYCLE_1)
	s_add_i32 s25, s25, s2
	s_ashr_i32 s2, s5, 31
	s_mul_hi_u32 s25, s23, s25
	s_xor_b32 s27, s35, s2
	v_cmp_gt_f32_e64 s2, v39, v40
	s_mul_i32 s28, s25, s24
	s_delay_alu instid0(VALU_DEP_1)
	v_cndmask_b32_e64 v39, v40, v39, s2
	s_sub_i32 s2, s23, s28
	s_add_i32 s23, s25, 1
	s_sub_i32 s28, s2, s24
	s_cmp_ge_u32 s2, s24
	v_mov_b32_dpp v40, v39 row_xmask:7 row_mask:0xf bank_mask:0xf
	s_cselect_b32 s23, s23, s25
	s_cselect_b32 s2, s28, s2
	s_add_i32 s25, s23, 1
	s_cmp_ge_u32 s2, s24
	s_cselect_b32 s2, s25, s23
	s_delay_alu instid0(SALU_CYCLE_1) | instskip(SKIP_1) | instid1(VALU_DEP_1)
	s_xor_b32 s23, s2, s27
	v_cmp_gt_f32_e64 s2, v39, v40
	v_cndmask_b32_e64 v39, v40, v39, s2
	s_sub_i32 s2, s23, s27
	s_delay_alu instid0(SALU_CYCLE_1) | instskip(SKIP_4) | instid1(SALU_CYCLE_1)
	s_mul_i32 s23, s2, s5
	s_mul_i32 s2, s2, s9
	s_sub_i32 s23, s34, s23
	v_mul_f32_e32 v39, 0x3c010204, v39
	s_mul_i32 s23, s23, s10
	s_add_i32 s24, s23, s2
	s_and_saveexec_b32 s2, s0
	s_cbranch_execz .LBB110_18
; %bb.17:
	s_ashr_i32 s25, s24, 31
	v_mov_b32_e32 v40, 0
	s_lshl_b64 s[28:29], s[24:25], 2
	s_delay_alu instid0(SALU_CYCLE_1)
	s_add_u32 s28, s14, s28
	s_addc_u32 s29, s15, s29
	global_store_b32 v40, v39, s[28:29]
.LBB110_18:
	s_or_b32 exec_lo, exec_lo, s2
	s_and_saveexec_b32 s2, s1
	s_cbranch_execz .LBB110_20
; %bb.19:
	v_rcp_f32_e32 v39, v39
	s_mul_i32 s23, s24, s42
	s_mul_hi_i32 s24, s24, s42
	s_add_u32 s36, s12, s23
	s_addc_u32 s23, s13, s24
	s_mov_b32 s39, -1
	s_and_b32 s37, s23, 0xffff
	s_waitcnt_depctr 0xfff
	v_mul_f32_e32 v30, v30, v39
	v_mul_f32_e32 v26, v26, v39
	;; [unrolled: 1-line block ×5, first 2 shown]
	v_cvt_i32_f32_e32 v30, v30
	v_cvt_i32_f32_e32 v26, v26
	v_mul_f32_e32 v37, v37, v39
	v_mul_f32_e32 v25, v25, v39
	v_cvt_i32_f32_e32 v28, v28
	v_lshlrev_b16 v30, 8, v30
	v_and_b32_e32 v26, 0xff, v26
	v_cvt_i32_f32_e32 v27, v27
	v_cvt_i32_f32_e32 v25, v25
	v_cvt_i32_f32_e32 v29, v29
	v_mul_f32_e32 v38, v38, v39
	v_or_b32_e32 v26, v26, v30
	v_mul_f32_e32 v33, v33, v39
	v_dual_mul_f32 v31, v31, v39 :: v_dual_and_b32 v28, 0xff, v28
	v_lshlrev_b16 v27, 8, v27
	v_and_b32_e32 v25, 0xff, v25
	v_lshlrev_b16 v29, 8, v29
	v_mul_f32_e32 v24, v24, v39
	v_dual_mul_f32 v23, v23, v39 :: v_dual_and_b32 v26, 0xffff, v26
	v_cvt_i32_f32_e32 v33, v33
	v_mul_f32_e32 v34, v34, v39
	v_or_b32_e32 v25, v25, v27
	v_or_b32_e32 v27, v28, v29
	v_cvt_i32_f32_e32 v24, v24
	v_and_b32_e32 v29, 0xff, v33
	v_cvt_i32_f32_e32 v34, v34
	v_cvt_i32_f32_e32 v23, v23
	v_dual_mul_f32 v32, v32, v39 :: v_dual_lshlrev_b32 v25, 16, v25
	v_lshlrev_b16 v24, 8, v24
	s_delay_alu instid0(VALU_DEP_4) | instskip(NEXT) | instid1(VALU_DEP_4)
	v_lshlrev_b16 v28, 8, v34
	v_and_b32_e32 v23, 0xff, v23
	v_cvt_i32_f32_e32 v37, v37
	v_mul_f32_e32 v36, v36, v39
	v_cvt_i32_f32_e32 v38, v38
	v_cvt_i32_f32_e32 v31, v31
	v_or_b32_e32 v23, v23, v24
	v_or_b32_e32 v24, v29, v28
	v_mul_f32_e32 v35, v35, v39
	v_cvt_i32_f32_e32 v32, v32
	v_lshlrev_b16 v34, 8, v38
	v_and_b32_e32 v31, 0xff, v31
	v_and_b32_e32 v24, 0xffff, v24
	v_cvt_i32_f32_e32 v35, v35
	v_lshlrev_b16 v32, 8, v32
	v_and_b32_e32 v27, 0xffff, v27
	v_lshlrev_b32_e32 v23, 16, v23
	v_or_b32_e32 v26, v26, v25
	v_and_b32_e32 v33, 0xff, v35
	v_and_b32_e32 v35, 0xff, v37
	v_cvt_i32_f32_e32 v36, v36
	v_or_b32_e32 v25, v27, v23
	s_delay_alu instid0(VALU_DEP_3) | instskip(NEXT) | instid1(VALU_DEP_3)
	v_or_b32_e32 v29, v35, v34
	v_lshlrev_b16 v30, 8, v36
	s_delay_alu instid0(VALU_DEP_2) | instskip(NEXT) | instid1(VALU_DEP_2)
	v_and_b32_e32 v29, 0xffff, v29
	v_or_b32_e32 v28, v33, v30
	v_or_b32_e32 v30, v31, v32
	s_delay_alu instid0(VALU_DEP_2) | instskip(NEXT) | instid1(VALU_DEP_2)
	v_lshlrev_b32_e32 v28, 16, v28
	v_lshlrev_b32_e32 v30, 16, v30
	s_delay_alu instid0(VALU_DEP_2) | instskip(NEXT) | instid1(VALU_DEP_2)
	v_or_b32_e32 v24, v24, v28
	v_or_b32_e32 v23, v29, v30
	buffer_store_b128 v[23:26], v21, s[36:39], 0 offen
	;;#ASMSTART
	s_nop 0
	;;#ASMEND
.LBB110_20:
	s_or_b32 exec_lo, exec_lo, s2
	s_cmp_eq_u32 s4, 1
	s_mov_b32 s35, 1
	s_cbranch_scc1 .LBB110_35
.LBB110_21:
	s_abs_i32 s43, s5
	s_ashr_i32 s44, s5, 31
	v_cvt_f32_u32_e32 v23, s43
	s_sub_i32 s23, 0, s43
	s_mov_b32 s31, -1
	s_mov_b32 s46, 0x76543210
	v_add_nc_u32_e32 v22, 4, v22
	v_rcp_iflag_f32_e32 v23, v23
	s_waitcnt_depctr 0xfff
	v_mul_f32_e32 v23, 0x4f7ffffe, v23
	s_delay_alu instid0(VALU_DEP_1) | instskip(NEXT) | instid1(VALU_DEP_1)
	v_cvt_u32_f32_e32 v23, v23
	v_readfirstlane_b32 s2, v23
	v_mov_b32_e32 v23, 0
	s_delay_alu instid0(VALU_DEP_2) | instskip(NEXT) | instid1(SALU_CYCLE_1)
	s_mul_i32 s23, s23, s2
	s_mul_hi_u32 s23, s2, s23
	s_delay_alu instid0(SALU_CYCLE_1)
	s_add_i32 s45, s2, s23
	s_branch .LBB110_24
.LBB110_22:                             ;   in Loop: Header=BB110_24 Depth=1
	s_or_b32 exec_lo, exec_lo, s2
.LBB110_23:                             ;   in Loop: Header=BB110_24 Depth=1
	v_add_nc_u32_e32 v22, 4, v22
	s_add_i32 s35, s35, 1
	s_delay_alu instid0(SALU_CYCLE_1)
	s_cmp_eq_u32 s4, s35
	s_cbranch_scc1 .LBB110_35
.LBB110_24:                             ; =>This Inner Loop Header: Depth=1
	s_and_b32 s2, s35, 31
	s_delay_alu instid0(SALU_CYCLE_1)
	s_cmp_lg_u32 s2, 0
	s_cbranch_scc1 .LBB110_26
; %bb.25:                               ;   in Loop: Header=BB110_24 Depth=1
	s_mov_b32 s23, s31
	buffer_load_b32 v20, v22, s[20:23], 0 offen
	s_waitcnt vmcnt(0) expcnt(0) lgkmcnt(55)
	v_lshlrev_b32_e32 v20, 2, v20
	ds_load_b32 v20, v20
.LBB110_26:                             ;   in Loop: Header=BB110_24 Depth=1
	s_waitcnt lgkmcnt(0)
	v_readlane_b32 s2, v20, s2
	s_delay_alu instid0(VALU_DEP_1)
	s_cmp_lt_i32 s2, 0
	s_cbranch_scc1 .LBB110_23
; %bb.27:                               ;   in Loop: Header=BB110_24 Depth=1
	s_add_i32 s23, s34, s35
	s_delay_alu instid0(SALU_CYCLE_1)
	s_abs_i32 s36, s23
	s_ashr_i32 s37, s23, 31
	s_mul_hi_u32 s24, s36, s41
	s_xor_b32 s27, s37, s40
	s_mul_i32 s25, s24, s11
	s_add_i32 s28, s24, 1
	s_sub_i32 s25, s36, s25
	s_delay_alu instid0(SALU_CYCLE_1)
	s_sub_i32 s29, s25, s11
	s_cmp_ge_u32 s25, s11
	s_cselect_b32 s24, s28, s24
	s_cselect_b32 s25, s29, s25
	s_add_i32 s28, s24, 1
	s_cmp_ge_u32 s25, s11
	s_cselect_b32 s24, s28, s24
	s_delay_alu instid0(SALU_CYCLE_1) | instskip(NEXT) | instid1(SALU_CYCLE_1)
	s_xor_b32 s24, s24, s27
	s_sub_i32 s24, s24, s27
	s_delay_alu instid0(SALU_CYCLE_1) | instskip(SKIP_2) | instid1(SALU_CYCLE_1)
	s_mul_i32 s25, s24, s6
	s_mul_i32 s24, s24, s7
	s_sub_i32 s25, s23, s25
	s_mul_i32 s28, s25, s8
	s_delay_alu instid0(SALU_CYCLE_1) | instskip(NEXT) | instid1(SALU_CYCLE_1)
	s_add_i32 s28, s28, s24
	s_cmp_eq_u32 s28, s33
	s_cbranch_scc1 .LBB110_29
; %bb.28:                               ;   in Loop: Header=BB110_24 Depth=1
	s_mul_hi_i32 s25, s28, s42
	s_mul_i32 s24, s28, s42
	s_mov_b32 s27, s31
	s_lshl_b64 s[24:25], s[24:25], 1
	s_mov_b32 s33, s28
	s_add_u32 s24, s16, s24
	s_addc_u32 s25, s17, s25
	s_delay_alu instid0(SALU_CYCLE_1)
	s_and_b32 s25, s25, 0xffff
	s_clause 0x1
	buffer_load_b128 v[4:7], v16, s[24:27], 0 offen
	buffer_load_b128 v[12:15], v16, s[24:27], 16 offen
	s_waitcnt vmcnt(1)
	v_cvt_f32_f16_e32 v0, v4
	v_lshrrev_b32_e32 v1, 16, v4
	v_cvt_f32_f16_e32 v2, v5
	v_lshrrev_b32_e32 v3, 16, v5
	;; [unrolled: 2-line block ×4, first 2 shown]
	s_waitcnt vmcnt(0)
	v_cvt_f32_f16_e32 v8, v12
	v_lshrrev_b32_e32 v9, 16, v12
	v_cvt_f32_f16_e32 v10, v13
	v_lshrrev_b32_e32 v11, 16, v13
	;; [unrolled: 2-line block ×4, first 2 shown]
	v_cvt_f32_f16_e32 v1, v1
	v_cvt_f32_f16_e32 v3, v3
	;; [unrolled: 1-line block ×8, first 2 shown]
.LBB110_29:                             ;   in Loop: Header=BB110_24 Depth=1
	s_mul_i32 s24, s2, s3
	s_delay_alu instid0(SALU_CYCLE_1) | instskip(NEXT) | instid1(SALU_CYCLE_1)
	s_ashr_i32 s25, s24, 31
	s_lshl_b64 s[24:25], s[24:25], 2
	s_delay_alu instid0(SALU_CYCLE_1) | instskip(SKIP_1) | instid1(SALU_CYCLE_1)
	s_add_u32 s28, s18, s24
	s_addc_u32 s2, s19, s25
	s_and_b32 s29, s2, 0xffff
	s_clause 0x3
	buffer_load_b128 v[24:27], v17, s[28:31], 0 offen
	buffer_load_b128 v[28:31], v17, s[28:31], 16 offen
	;; [unrolled: 1-line block ×4, first 2 shown]
	s_waitcnt vmcnt(3)
	v_dual_mul_f32 v38, v0, v24 :: v_dual_mul_f32 v39, v1, v25
	v_dual_mul_f32 v32, v2, v26 :: v_dual_mul_f32 v33, v3, v27
	s_waitcnt vmcnt(2)
	v_dual_mul_f32 v34, v4, v28 :: v_dual_mul_f32 v35, v5, v29
	s_delay_alu instid0(VALU_DEP_3) | instskip(SKIP_3) | instid1(VALU_DEP_3)
	v_max3_f32 v24, |v38|, 0x2edbe6ff, |v39|
	v_dual_mul_f32 v36, v6, v30 :: v_dual_mul_f32 v37, v7, v31
	s_waitcnt vmcnt(1)
	v_dual_mul_f32 v29, v8, v40 :: v_dual_mul_f32 v30, v9, v41
	v_max3_f32 v24, v24, |v32|, |v33|
	s_waitcnt vmcnt(0)
	v_mul_f32_e32 v27, v12, v44
	v_dual_mul_f32 v31, v13, v45 :: v_dual_mul_f32 v28, v15, v47
	v_mul_f32_e32 v25, v11, v43
	v_max3_f32 v24, v24, |v34|, |v35|
	s_delay_alu instid0(VALU_DEP_1) | instskip(SKIP_1) | instid1(VALU_DEP_2)
	v_max3_f32 v26, v24, |v36|, |v37|
	v_mul_f32_e32 v24, v10, v42
	v_max3_f32 v26, v26, |v29|, |v30|
	s_delay_alu instid0(VALU_DEP_1) | instskip(SKIP_1) | instid1(VALU_DEP_2)
	v_max3_f32 v40, v26, |v24|, |v25|
	v_mul_f32_e32 v26, v14, v46
	v_max3_f32 v40, v40, |v27|, |v31|
	s_delay_alu instid0(VALU_DEP_1) | instskip(NEXT) | instid1(VALU_DEP_1)
	v_max3_f32 v40, v40, |v26|, |v28|
	v_mov_b32_dpp v41, v40 quad_perm:[1,0,3,2] row_mask:0xf bank_mask:0xf
	s_delay_alu instid0(VALU_DEP_1) | instskip(NEXT) | instid1(VALU_DEP_1)
	v_cmp_gt_f32_e64 s2, v40, v41
	v_cndmask_b32_e64 v40, v41, v40, s2
	s_delay_alu instid0(VALU_DEP_1) | instskip(NEXT) | instid1(VALU_DEP_1)
	v_mov_b32_dpp v41, v40 quad_perm:[2,3,0,1] row_mask:0xf bank_mask:0xf
	v_cmp_gt_f32_e64 s2, v40, v41
	s_delay_alu instid0(VALU_DEP_1) | instskip(NEXT) | instid1(VALU_DEP_1)
	v_cndmask_b32_e64 v40, v41, v40, s2
	v_mov_b32_dpp v41, v40 row_xmask:7 row_mask:0xf bank_mask:0xf
	s_delay_alu instid0(VALU_DEP_1) | instskip(NEXT) | instid1(VALU_DEP_1)
	v_cmp_gt_f32_e64 s2, v40, v41
	v_cndmask_b32_e64 v40, v41, v40, s2
	s_delay_alu instid0(VALU_DEP_1) | instskip(NEXT) | instid1(VALU_DEP_1)
	v_mov_b32_dpp v41, v40 row_xmask:15 row_mask:0xf bank_mask:0xf
	v_cmp_gt_f32_e64 s2, v40, v41
	s_and_saveexec_b32 s24, vcc_lo
	s_cbranch_execz .LBB110_31
; %bb.30:                               ;   in Loop: Header=BB110_24 Depth=1
	s_delay_alu instid0(VALU_DEP_1) | instskip(NEXT) | instid1(VALU_DEP_1)
	v_cndmask_b32_e64 v40, v41, v40, s2
	v_permlanex16_b32 v41, v40, s46, 0xfedcba98 op_sel:[1,1]
	s_delay_alu instid0(VALU_DEP_1) | instskip(NEXT) | instid1(VALU_DEP_1)
	v_cmp_gt_f32_e64 s2, v40, v41
	v_cndmask_b32_e64 v40, v41, v40, s2
	ds_store_b32 v18, v40
.LBB110_31:                             ;   in Loop: Header=BB110_24 Depth=1
	s_or_b32 exec_lo, exec_lo, s24
	s_waitcnt lgkmcnt(0)
	s_waitcnt_vscnt null, 0x0
	s_barrier
	buffer_gl0_inv
	ds_load_b32 v40, v19
	s_mul_hi_u32 s24, s36, s45
	s_xor_b32 s27, s37, s44
	s_mul_i32 s25, s24, s43
	s_waitcnt lgkmcnt(0)
	v_mov_b32_dpp v41, v40 quad_perm:[1,0,3,2] row_mask:0xf bank_mask:0xf
	s_delay_alu instid0(VALU_DEP_1) | instskip(NEXT) | instid1(VALU_DEP_1)
	v_cmp_gt_f32_e64 s2, v40, v41
	v_cndmask_b32_e64 v40, v41, v40, s2
	s_sub_i32 s2, s36, s25
	s_add_i32 s25, s24, 1
	s_sub_i32 s28, s2, s43
	s_cmp_ge_u32 s2, s43
	v_mov_b32_dpp v41, v40 quad_perm:[2,3,0,1] row_mask:0xf bank_mask:0xf
	s_cselect_b32 s24, s25, s24
	s_cselect_b32 s25, s28, s2
	s_delay_alu instid0(VALU_DEP_1) | instskip(NEXT) | instid1(VALU_DEP_1)
	v_cmp_gt_f32_e64 s2, v40, v41
	v_cndmask_b32_e64 v40, v41, v40, s2
	s_add_i32 s2, s24, 1
	s_cmp_ge_u32 s25, s43
	s_cselect_b32 s2, s2, s24
	s_delay_alu instid0(VALU_DEP_1) | instskip(SKIP_1) | instid1(SALU_CYCLE_1)
	v_mov_b32_dpp v41, v40 row_xmask:7 row_mask:0xf bank_mask:0xf
	s_xor_b32 s2, s2, s27
	s_sub_i32 s24, s2, s27
	s_delay_alu instid0(VALU_DEP_1) | instskip(NEXT) | instid1(VALU_DEP_1)
	v_cmp_gt_f32_e64 s2, v40, v41
	v_cndmask_b32_e64 v40, v41, v40, s2
	s_mul_i32 s2, s24, s5
	s_mul_i32 s24, s24, s9
	s_sub_i32 s2, s23, s2
	s_delay_alu instid0(VALU_DEP_1) | instskip(SKIP_1) | instid1(SALU_CYCLE_1)
	v_mul_f32_e32 v40, 0x3c010204, v40
	s_mul_i32 s2, s2, s10
	s_add_i32 s24, s2, s24
	s_and_saveexec_b32 s2, s0
	s_cbranch_execz .LBB110_33
; %bb.32:                               ;   in Loop: Header=BB110_24 Depth=1
	s_ashr_i32 s25, s24, 31
	s_delay_alu instid0(SALU_CYCLE_1) | instskip(NEXT) | instid1(SALU_CYCLE_1)
	s_lshl_b64 s[28:29], s[24:25], 2
	s_add_u32 s28, s14, s28
	s_addc_u32 s29, s15, s29
	global_store_b32 v23, v40, s[28:29]
.LBB110_33:                             ;   in Loop: Header=BB110_24 Depth=1
	s_or_b32 exec_lo, exec_lo, s2
	s_and_saveexec_b32 s2, s1
	s_cbranch_execz .LBB110_22
; %bb.34:                               ;   in Loop: Header=BB110_24 Depth=1
	v_rcp_f32_e32 v40, v40
	s_mul_i32 s23, s24, s42
	s_mul_hi_i32 s24, s24, s42
	s_add_u32 s36, s12, s23
	s_addc_u32 s23, s13, s24
	s_mov_b32 s39, s31
	s_and_b32 s37, s23, 0xffff
	s_waitcnt_depctr 0xfff
	v_mul_f32_e32 v31, v31, v40
	v_mul_f32_e32 v27, v27, v40
	v_mul_f32_e32 v29, v29, v40
	v_mul_f32_e32 v30, v30, v40
	v_mul_f32_e32 v28, v28, v40
	v_cvt_i32_f32_e32 v31, v31
	v_cvt_i32_f32_e32 v27, v27
	v_mul_f32_e32 v38, v38, v40
	v_mul_f32_e32 v26, v26, v40
	v_cvt_i32_f32_e32 v29, v29
	v_lshlrev_b16 v31, 8, v31
	v_and_b32_e32 v27, 0xff, v27
	v_cvt_i32_f32_e32 v28, v28
	v_cvt_i32_f32_e32 v26, v26
	;; [unrolled: 1-line block ×3, first 2 shown]
	v_mul_f32_e32 v39, v39, v40
	v_or_b32_e32 v27, v27, v31
	v_mul_f32_e32 v34, v34, v40
	v_dual_mul_f32 v32, v32, v40 :: v_dual_and_b32 v29, 0xff, v29
	v_lshlrev_b16 v28, 8, v28
	v_and_b32_e32 v26, 0xff, v26
	v_lshlrev_b16 v30, 8, v30
	v_mul_f32_e32 v25, v25, v40
	v_dual_mul_f32 v24, v24, v40 :: v_dual_and_b32 v27, 0xffff, v27
	v_cvt_i32_f32_e32 v34, v34
	v_mul_f32_e32 v35, v35, v40
	v_or_b32_e32 v26, v26, v28
	v_or_b32_e32 v28, v29, v30
	v_cvt_i32_f32_e32 v25, v25
	v_and_b32_e32 v30, 0xff, v34
	v_cvt_i32_f32_e32 v35, v35
	v_cvt_i32_f32_e32 v24, v24
	v_dual_mul_f32 v33, v33, v40 :: v_dual_lshlrev_b32 v26, 16, v26
	v_lshlrev_b16 v25, 8, v25
	s_delay_alu instid0(VALU_DEP_4) | instskip(NEXT) | instid1(VALU_DEP_4)
	v_lshlrev_b16 v29, 8, v35
	v_and_b32_e32 v24, 0xff, v24
	v_cvt_i32_f32_e32 v38, v38
	v_mul_f32_e32 v37, v37, v40
	v_cvt_i32_f32_e32 v39, v39
	v_cvt_i32_f32_e32 v32, v32
	v_or_b32_e32 v24, v24, v25
	v_or_b32_e32 v25, v30, v29
	v_mul_f32_e32 v36, v36, v40
	v_cvt_i32_f32_e32 v33, v33
	v_lshlrev_b16 v35, 8, v39
	v_and_b32_e32 v32, 0xff, v32
	v_and_b32_e32 v25, 0xffff, v25
	v_cvt_i32_f32_e32 v36, v36
	v_lshlrev_b16 v33, 8, v33
	v_and_b32_e32 v28, 0xffff, v28
	v_lshlrev_b32_e32 v24, 16, v24
	v_or_b32_e32 v27, v27, v26
	v_and_b32_e32 v34, 0xff, v36
	v_and_b32_e32 v36, 0xff, v38
	v_cvt_i32_f32_e32 v37, v37
	v_or_b32_e32 v26, v28, v24
	s_delay_alu instid0(VALU_DEP_3) | instskip(NEXT) | instid1(VALU_DEP_3)
	v_or_b32_e32 v30, v36, v35
	v_lshlrev_b16 v31, 8, v37
	s_delay_alu instid0(VALU_DEP_2) | instskip(NEXT) | instid1(VALU_DEP_2)
	v_and_b32_e32 v30, 0xffff, v30
	v_or_b32_e32 v29, v34, v31
	v_or_b32_e32 v31, v32, v33
	s_delay_alu instid0(VALU_DEP_2) | instskip(NEXT) | instid1(VALU_DEP_2)
	v_lshlrev_b32_e32 v29, 16, v29
	v_lshlrev_b32_e32 v31, 16, v31
	s_delay_alu instid0(VALU_DEP_2) | instskip(NEXT) | instid1(VALU_DEP_2)
	v_or_b32_e32 v25, v25, v29
	v_or_b32_e32 v24, v30, v31
	buffer_store_b128 v[24:27], v21, s[36:39], 0 offen
	;;#ASMSTART
	s_nop 0
	;;#ASMEND
	s_branch .LBB110_22
.LBB110_35:
	s_nop 0
	s_sendmsg sendmsg(MSG_DEALLOC_VGPRS)
	s_endpgm
	.section	.rodata,"a",@progbits
	.p2align	6, 0x0
	.amdhsa_kernel _ZN5aiter36smooth_per_token_scaled_quant_kernelIDF16_aLi256ELi16ELb1ELb1ELb1ELi1024EEEvPT0_PfPT_S3_PiS6_iiPKiiiiiiiii
		.amdhsa_group_segment_fixed_size 4128
		.amdhsa_private_segment_fixed_size 0
		.amdhsa_kernarg_size 96
		.amdhsa_user_sgpr_count 15
		.amdhsa_user_sgpr_dispatch_ptr 0
		.amdhsa_user_sgpr_queue_ptr 0
		.amdhsa_user_sgpr_kernarg_segment_ptr 1
		.amdhsa_user_sgpr_dispatch_id 0
		.amdhsa_user_sgpr_private_segment_size 0
		.amdhsa_wavefront_size32 1
		.amdhsa_uses_dynamic_stack 0
		.amdhsa_enable_private_segment 0
		.amdhsa_system_sgpr_workgroup_id_x 1
		.amdhsa_system_sgpr_workgroup_id_y 0
		.amdhsa_system_sgpr_workgroup_id_z 0
		.amdhsa_system_sgpr_workgroup_info 0
		.amdhsa_system_vgpr_workitem_id 0
		.amdhsa_next_free_vgpr 48
		.amdhsa_next_free_sgpr 47
		.amdhsa_reserve_vcc 1
		.amdhsa_float_round_mode_32 0
		.amdhsa_float_round_mode_16_64 0
		.amdhsa_float_denorm_mode_32 3
		.amdhsa_float_denorm_mode_16_64 3
		.amdhsa_dx10_clamp 1
		.amdhsa_ieee_mode 1
		.amdhsa_fp16_overflow 0
		.amdhsa_workgroup_processor_mode 1
		.amdhsa_memory_ordered 1
		.amdhsa_forward_progress 0
		.amdhsa_shared_vgpr_count 0
		.amdhsa_exception_fp_ieee_invalid_op 0
		.amdhsa_exception_fp_denorm_src 0
		.amdhsa_exception_fp_ieee_div_zero 0
		.amdhsa_exception_fp_ieee_overflow 0
		.amdhsa_exception_fp_ieee_underflow 0
		.amdhsa_exception_fp_ieee_inexact 0
		.amdhsa_exception_int_div_zero 0
	.end_amdhsa_kernel
	.section	.text._ZN5aiter36smooth_per_token_scaled_quant_kernelIDF16_aLi256ELi16ELb1ELb1ELb1ELi1024EEEvPT0_PfPT_S3_PiS6_iiPKiiiiiiiii,"axG",@progbits,_ZN5aiter36smooth_per_token_scaled_quant_kernelIDF16_aLi256ELi16ELb1ELb1ELb1ELi1024EEEvPT0_PfPT_S3_PiS6_iiPKiiiiiiiii,comdat
.Lfunc_end110:
	.size	_ZN5aiter36smooth_per_token_scaled_quant_kernelIDF16_aLi256ELi16ELb1ELb1ELb1ELi1024EEEvPT0_PfPT_S3_PiS6_iiPKiiiiiiiii, .Lfunc_end110-_ZN5aiter36smooth_per_token_scaled_quant_kernelIDF16_aLi256ELi16ELb1ELb1ELb1ELi1024EEEvPT0_PfPT_S3_PiS6_iiPKiiiiiiiii
                                        ; -- End function
	.section	.AMDGPU.csdata,"",@progbits
; Kernel info:
; codeLenInByte = 3748
; NumSgprs: 49
; NumVgprs: 48
; ScratchSize: 0
; MemoryBound: 0
; FloatMode: 240
; IeeeMode: 1
; LDSByteSize: 4128 bytes/workgroup (compile time only)
; SGPRBlocks: 6
; VGPRBlocks: 5
; NumSGPRsForWavesPerEU: 49
; NumVGPRsForWavesPerEU: 48
; Occupancy: 16
; WaveLimiterHint : 0
; COMPUTE_PGM_RSRC2:SCRATCH_EN: 0
; COMPUTE_PGM_RSRC2:USER_SGPR: 15
; COMPUTE_PGM_RSRC2:TRAP_HANDLER: 0
; COMPUTE_PGM_RSRC2:TGID_X_EN: 1
; COMPUTE_PGM_RSRC2:TGID_Y_EN: 0
; COMPUTE_PGM_RSRC2:TGID_Z_EN: 0
; COMPUTE_PGM_RSRC2:TIDIG_COMP_CNT: 0
	.section	.text._ZN5aiter36smooth_per_token_scaled_quant_kernelItaLi256ELi16ELb1ELb1ELb1ELi1024EEEvPT0_PfPT_S3_PiS6_iiPKiiiiiiiii,"axG",@progbits,_ZN5aiter36smooth_per_token_scaled_quant_kernelItaLi256ELi16ELb1ELb1ELb1ELi1024EEEvPT0_PfPT_S3_PiS6_iiPKiiiiiiiii,comdat
	.protected	_ZN5aiter36smooth_per_token_scaled_quant_kernelItaLi256ELi16ELb1ELb1ELb1ELi1024EEEvPT0_PfPT_S3_PiS6_iiPKiiiiiiiii ; -- Begin function _ZN5aiter36smooth_per_token_scaled_quant_kernelItaLi256ELi16ELb1ELb1ELb1ELi1024EEEvPT0_PfPT_S3_PiS6_iiPKiiiiiiiii
	.globl	_ZN5aiter36smooth_per_token_scaled_quant_kernelItaLi256ELi16ELb1ELb1ELb1ELi1024EEEvPT0_PfPT_S3_PiS6_iiPKiiiiiiiii
	.p2align	8
	.type	_ZN5aiter36smooth_per_token_scaled_quant_kernelItaLi256ELi16ELb1ELb1ELb1ELi1024EEEvPT0_PfPT_S3_PiS6_iiPKiiiiiiiii,@function
_ZN5aiter36smooth_per_token_scaled_quant_kernelItaLi256ELi16ELb1ELb1ELb1ELi1024EEEvPT0_PfPT_S3_PiS6_iiPKiiiiiiiii: ; @_ZN5aiter36smooth_per_token_scaled_quant_kernelItaLi256ELi16ELb1ELb1ELb1ELi1024EEEvPT0_PfPT_S3_PiS6_iiPKiiiiiiiii
; %bb.0:
	s_clause 0x2
	s_load_b64 s[2:3], s[0:1], 0x38
	s_load_b64 s[16:17], s[0:1], 0x28
	s_load_b256 s[4:11], s[0:1], 0x40
	s_waitcnt lgkmcnt(0)
	s_cmp_lg_u64 s[2:3], 0
	s_cbranch_scc0 .LBB111_11
; %bb.1:
	s_load_b32 s2, s[2:3], 0x0
	s_waitcnt lgkmcnt(0)
	s_mul_i32 s4, s2, s4
	s_cbranch_execnz .LBB111_3
.LBB111_2:
	s_mul_i32 s4, s6, s5
.LBB111_3:
	s_load_b64 s[2:3], s[0:1], 0x30
	s_lshl_b32 s18, s11, 2
	s_and_b32 s17, s17, 0xffff
	s_mov_b32 s19, -1
	s_abs_i32 s14, s4
                                        ; implicit-def: $sgpr34
	s_waitcnt lgkmcnt(0)
	s_abs_i32 s11, s2
	s_delay_alu instid0(SALU_CYCLE_1) | instskip(SKIP_1) | instid1(VALU_DEP_1)
	v_cvt_f32_u32_e32 v6, s11
	s_sub_i32 s13, 0, s11
	v_rcp_iflag_f32_e32 v6, v6
	s_waitcnt_depctr 0xfff
	v_dual_mul_f32 v6, 0x4f7ffffe, v6 :: v_dual_lshlrev_b32 v1, 2, v0
	s_clause 0x3
	buffer_load_b32 v2, v1, s[16:19], 0 offen
	buffer_load_b32 v3, v1, s[16:19], 0 offen offset:1024
	buffer_load_b32 v4, v1, s[16:19], 0 offen offset:2048
	;; [unrolled: 1-line block ×3, first 2 shown]
	s_waitcnt vmcnt(2)
	ds_store_2addr_stride64_b32 v1, v2, v3 offset1:4
	s_waitcnt vmcnt(0)
	ds_store_2addr_stride64_b32 v1, v4, v5 offset0:8 offset1:12
	v_cvt_u32_f32_e32 v6, v6
	s_delay_alu instid0(VALU_DEP_1) | instskip(NEXT) | instid1(VALU_DEP_1)
	v_readfirstlane_b32 s12, v6
	s_mul_i32 s13, s13, s12
	s_delay_alu instid0(SALU_CYCLE_1) | instskip(NEXT) | instid1(SALU_CYCLE_1)
	s_mul_hi_u32 s13, s12, s13
	s_add_i32 s12, s12, s13
	s_xor_b32 s13, s4, s2
	s_mul_hi_u32 s12, s14, s12
	s_ashr_i32 s13, s13, 31
	s_mul_i32 s16, s12, s11
	s_delay_alu instid0(SALU_CYCLE_1)
	s_sub_i32 s14, s14, s16
	s_add_i32 s16, s12, 1
	s_sub_i32 s17, s14, s11
	s_cmp_ge_u32 s14, s11
	s_cselect_b32 s12, s16, s12
	s_cselect_b32 s14, s17, s14
	s_add_i32 s16, s12, 1
	s_cmp_ge_u32 s14, s11
	s_cselect_b32 s11, s16, s12
	s_delay_alu instid0(SALU_CYCLE_1) | instskip(NEXT) | instid1(SALU_CYCLE_1)
	s_xor_b32 s11, s11, s13
	s_sub_i32 s11, s11, s13
	s_delay_alu instid0(SALU_CYCLE_1) | instskip(NEXT) | instid1(SALU_CYCLE_1)
	s_mul_i32 s2, s11, s2
	s_sub_i32 s12, s4, s2
	s_delay_alu instid0(SALU_CYCLE_1)
	s_cmp_lt_u32 s15, s12
	s_cselect_b32 s2, -1, 0
	s_add_i32 s4, s11, 1
	s_cmp_ge_u32 s15, s12
	s_cbranch_scc0 .LBB111_5
; %bb.4:
	s_sub_i32 s13, s15, s12
	s_mul_i32 s12, s12, s4
	s_mul_i32 s13, s13, s11
	s_mov_b32 s19, 0
	s_add_i32 s34, s13, s12
.LBB111_5:
	s_and_not1_b32 vcc_lo, exec_lo, s19
	s_cbranch_vccnz .LBB111_7
; %bb.6:
	s_mul_i32 s34, s4, s15
.LBB111_7:
	v_cndmask_b32_e64 v1, 0, 1, s2
	s_delay_alu instid0(VALU_DEP_1) | instskip(NEXT) | instid1(VALU_DEP_1)
	v_readfirstlane_b32 s2, v1
	s_add_i32 s4, s11, s2
	s_delay_alu instid0(SALU_CYCLE_1)
	s_cmp_lt_i32 s4, 1
	s_cbranch_scc1 .LBB111_35
; %bb.8:
	s_load_b64 s[12:13], s[0:1], 0x20
	s_ashr_i32 s35, s34, 31
	v_and_b32_e32 v1, 31, v0
	s_lshl_b64 s[14:15], s[34:35], 2
	s_mov_b32 s42, -1
	v_and_b32_e32 v4, 7, v0
	s_mov_b32 s23, s42
	v_cmp_eq_u32_e32 vcc_lo, 31, v1
	v_lshlrev_b32_e32 v16, 5, v0
	v_lshlrev_b32_e32 v17, 6, v0
	v_lshl_or_b32 v19, v4, 2, 0x1000
	v_lshlrev_b32_e32 v21, 4, v0
	s_mov_b32 s41, s3
	s_waitcnt lgkmcnt(0)
	s_add_u32 s20, s12, s14
	s_addc_u32 s2, s13, s15
	s_abs_i32 s11, s6
	s_lshl_b32 s22, s4, 2
	v_cvt_f32_u32_e32 v3, s11
	s_and_b32 s21, s2, 0xffff
	s_load_b256 s[12:19], s[0:1], 0x0
	s_movk_i32 s0, 0x7c
	s_add_i32 s1, s3, 15
	v_rcp_iflag_f32_e32 v3, v3
	v_lshlrev_b32_e32 v22, 2, v1
	v_lshrrev_b32_e32 v1, 3, v0
	s_ashr_i32 s2, s1, 31
	s_lshl_b32 s26, s3, 1
	s_lshr_b32 s2, s2, 28
	s_lshl_b32 s30, s3, 2
	v_and_or_b32 v18, v1, s0, 0x1000
	s_add_i32 s1, s1, s2
	v_cmp_eq_u32_e64 s0, 0, v0
	s_waitcnt_depctr 0xfff
	v_mul_f32_e32 v1, 0x4f7ffffe, v3
	buffer_load_b32 v2, v22, s[20:23], 0 offen
	s_waitcnt vmcnt(0) expcnt(0) lgkmcnt(0)
	s_barrier
	buffer_gl0_inv
	v_cvt_u32_f32_e32 v1, v1
	s_add_i32 s23, s3, 3
	s_ashr_i32 s1, s1, 4
	s_ashr_i32 s2, s23, 31
	v_cmp_gt_u32_e64 s1, s1, v0
	v_readfirstlane_b32 s40, v1
	s_lshr_b32 s2, s2, 30
	s_ashr_i32 s33, s6, 31
	s_add_i32 s23, s23, s2
	s_sub_i32 s2, 0, s11
	s_and_b32 s38, s23, -4
	s_mul_i32 s23, s2, s40
	s_delay_alu instid0(SALU_CYCLE_1) | instskip(NEXT) | instid1(SALU_CYCLE_1)
	s_mul_hi_u32 s23, s40, s23
	s_add_i32 s40, s40, s23
	v_lshlrev_b32_e32 v2, 2, v2
	ds_load_b32 v20, v2
	s_waitcnt lgkmcnt(0)
	v_readlane_b32 s2, v20, 0
	s_delay_alu instid0(VALU_DEP_1)
	s_cmp_lt_i32 s2, 0
	s_cbranch_scc1 .LBB111_12
; %bb.9:
	s_abs_i32 s23, s34
	s_xor_b32 s27, s35, s33
	s_mul_hi_u32 s24, s23, s40
	s_mov_b32 s31, -1
	s_mul_i32 s25, s24, s11
	s_add_i32 s28, s24, 1
	s_sub_i32 s25, s23, s25
	s_delay_alu instid0(SALU_CYCLE_1)
	s_sub_i32 s29, s25, s11
	s_cmp_ge_u32 s25, s11
	s_cselect_b32 s24, s28, s24
	s_cselect_b32 s25, s29, s25
	s_add_i32 s28, s24, 1
	s_cmp_ge_u32 s25, s11
	s_cselect_b32 s24, s28, s24
	s_delay_alu instid0(SALU_CYCLE_1) | instskip(NEXT) | instid1(SALU_CYCLE_1)
	s_xor_b32 s24, s24, s27
	s_sub_i32 s24, s24, s27
	s_delay_alu instid0(SALU_CYCLE_1) | instskip(SKIP_2) | instid1(SALU_CYCLE_1)
	s_mul_i32 s25, s24, s6
	s_mul_i32 s24, s24, s7
	s_sub_i32 s25, s34, s25
	s_mul_i32 s25, s25, s8
	s_delay_alu instid0(SALU_CYCLE_1) | instskip(NEXT) | instid1(SALU_CYCLE_1)
	s_add_i32 s42, s25, s24
	s_cmp_eq_u32 s42, -1
	s_cbranch_scc1 .LBB111_13
; %bb.10:
	s_mul_hi_i32 s25, s42, s41
	s_mul_i32 s24, s42, s41
	s_mov_b32 s27, s31
	s_lshl_b64 s[24:25], s[24:25], 1
	s_delay_alu instid0(SALU_CYCLE_1) | instskip(SKIP_1) | instid1(SALU_CYCLE_1)
	s_add_u32 s24, s16, s24
	s_addc_u32 s25, s17, s25
	s_and_b32 s25, s25, 0xffff
	s_clause 0x1
	buffer_load_b128 v[0:3], v16, s[24:27], 0 offen
	buffer_load_b128 v[4:7], v16, s[24:27], 16 offen
	s_waitcnt vmcnt(1)
	v_lshrrev_b32_e32 v8, 16, v0
	v_and_b32_e32 v0, 0xffff, v0
	v_lshrrev_b32_e32 v9, 16, v1
	v_and_b32_e32 v10, 0xffff, v1
	;; [unrolled: 2-line block ×4, first 2 shown]
	s_waitcnt vmcnt(0)
	v_lshrrev_b32_e32 v15, 16, v4
	v_and_b32_e32 v23, 0xffff, v4
	v_lshrrev_b32_e32 v24, 16, v5
	v_and_b32_e32 v25, 0xffff, v5
	;; [unrolled: 2-line block ×4, first 2 shown]
	v_cvt_f32_u32_e32 v1, v8
	v_cvt_f32_u32_e32 v0, v0
	;; [unrolled: 1-line block ×16, first 2 shown]
	s_branch .LBB111_14
.LBB111_11:
                                        ; implicit-def: $sgpr4
	s_branch .LBB111_2
.LBB111_12:
                                        ; implicit-def: $vgpr0_vgpr1_vgpr2_vgpr3_vgpr4_vgpr5_vgpr6_vgpr7_vgpr8_vgpr9_vgpr10_vgpr11_vgpr12_vgpr13_vgpr14_vgpr15
	s_cmp_eq_u32 s4, 1
	s_mov_b32 s35, 1
	s_cbranch_scc0 .LBB111_21
	s_branch .LBB111_35
.LBB111_13:
                                        ; implicit-def: $vgpr0_vgpr1_vgpr2_vgpr3_vgpr4_vgpr5_vgpr6_vgpr7_vgpr8_vgpr9_vgpr10_vgpr11_vgpr12_vgpr13_vgpr14_vgpr15
.LBB111_14:
	s_mul_i32 s24, s2, s3
	s_delay_alu instid0(SALU_CYCLE_1) | instskip(NEXT) | instid1(SALU_CYCLE_1)
	s_ashr_i32 s25, s24, 31
	s_lshl_b64 s[24:25], s[24:25], 2
	s_delay_alu instid0(SALU_CYCLE_1) | instskip(SKIP_1) | instid1(SALU_CYCLE_1)
	s_add_u32 s28, s18, s24
	s_addc_u32 s2, s19, s25
	s_and_b32 s29, s2, 0xffff
	s_clause 0x3
	buffer_load_b128 v[23:26], v17, s[28:31], 0 offen
	buffer_load_b128 v[27:30], v17, s[28:31], 16 offen
	;; [unrolled: 1-line block ×4, first 2 shown]
	s_waitcnt vmcnt(3)
	v_dual_mul_f32 v37, v0, v23 :: v_dual_mul_f32 v38, v1, v24
	v_dual_mul_f32 v31, v2, v25 :: v_dual_mul_f32 v32, v3, v26
	s_waitcnt vmcnt(2)
	v_dual_mul_f32 v33, v4, v27 :: v_dual_mul_f32 v34, v5, v28
	s_delay_alu instid0(VALU_DEP_3) | instskip(SKIP_3) | instid1(VALU_DEP_3)
	v_max3_f32 v23, |v37|, 0x2edbe6ff, |v38|
	v_dual_mul_f32 v35, v6, v29 :: v_dual_mul_f32 v36, v7, v30
	s_waitcnt vmcnt(1)
	v_dual_mul_f32 v28, v8, v39 :: v_dual_mul_f32 v29, v9, v40
	v_max3_f32 v23, v23, |v31|, |v32|
	s_waitcnt vmcnt(0)
	v_mul_f32_e32 v26, v12, v43
	v_dual_mul_f32 v30, v13, v44 :: v_dual_mul_f32 v27, v15, v46
	v_mul_f32_e32 v24, v11, v42
	v_max3_f32 v23, v23, |v33|, |v34|
	s_delay_alu instid0(VALU_DEP_1) | instskip(SKIP_1) | instid1(VALU_DEP_2)
	v_max3_f32 v25, v23, |v35|, |v36|
	v_mul_f32_e32 v23, v10, v41
	v_max3_f32 v25, v25, |v28|, |v29|
	s_delay_alu instid0(VALU_DEP_1) | instskip(SKIP_1) | instid1(VALU_DEP_2)
	v_max3_f32 v39, v25, |v23|, |v24|
	v_mul_f32_e32 v25, v14, v45
	v_max3_f32 v39, v39, |v26|, |v30|
	s_delay_alu instid0(VALU_DEP_1) | instskip(NEXT) | instid1(VALU_DEP_1)
	v_max3_f32 v39, v39, |v25|, |v27|
	v_mov_b32_dpp v40, v39 quad_perm:[1,0,3,2] row_mask:0xf bank_mask:0xf
	s_delay_alu instid0(VALU_DEP_1) | instskip(NEXT) | instid1(VALU_DEP_1)
	v_cmp_gt_f32_e64 s2, v39, v40
	v_cndmask_b32_e64 v39, v40, v39, s2
	s_delay_alu instid0(VALU_DEP_1) | instskip(NEXT) | instid1(VALU_DEP_1)
	v_mov_b32_dpp v40, v39 quad_perm:[2,3,0,1] row_mask:0xf bank_mask:0xf
	v_cmp_gt_f32_e64 s2, v39, v40
	s_delay_alu instid0(VALU_DEP_1) | instskip(NEXT) | instid1(VALU_DEP_1)
	v_cndmask_b32_e64 v39, v40, v39, s2
	v_mov_b32_dpp v40, v39 row_xmask:7 row_mask:0xf bank_mask:0xf
	s_delay_alu instid0(VALU_DEP_1) | instskip(NEXT) | instid1(VALU_DEP_1)
	v_cmp_gt_f32_e64 s2, v39, v40
	v_cndmask_b32_e64 v39, v40, v39, s2
	s_delay_alu instid0(VALU_DEP_1) | instskip(NEXT) | instid1(VALU_DEP_1)
	v_mov_b32_dpp v40, v39 row_xmask:15 row_mask:0xf bank_mask:0xf
	v_cmp_gt_f32_e64 s2, v39, v40
	s_and_saveexec_b32 s24, vcc_lo
	s_cbranch_execz .LBB111_16
; %bb.15:
	s_delay_alu instid0(VALU_DEP_1)
	v_cndmask_b32_e64 v39, v40, v39, s2
	s_mov_b32 s2, 0x76543210
	s_delay_alu instid0(VALU_DEP_1) | instid1(SALU_CYCLE_1)
	v_permlanex16_b32 v40, v39, s2, 0xfedcba98 op_sel:[1,1]
	s_delay_alu instid0(VALU_DEP_1) | instskip(NEXT) | instid1(VALU_DEP_1)
	v_cmp_gt_f32_e64 s2, v39, v40
	v_cndmask_b32_e64 v39, v40, v39, s2
	ds_store_b32 v18, v39
.LBB111_16:
	s_or_b32 exec_lo, exec_lo, s24
	s_waitcnt lgkmcnt(0)
	s_barrier
	buffer_gl0_inv
	ds_load_b32 v40, v19
	s_abs_i32 s24, s5
	s_delay_alu instid0(SALU_CYCLE_1) | instskip(SKIP_1) | instid1(VALU_DEP_1)
	v_cvt_f32_u32_e32 v39, s24
	s_sub_i32 s27, 0, s24
	v_rcp_iflag_f32_e32 v39, v39
	s_waitcnt_depctr 0xfff
	v_mul_f32_e32 v39, 0x4f7ffffe, v39
	s_waitcnt lgkmcnt(0)
	v_mov_b32_dpp v41, v40 quad_perm:[1,0,3,2] row_mask:0xf bank_mask:0xf
	s_delay_alu instid0(VALU_DEP_2) | instskip(NEXT) | instid1(VALU_DEP_2)
	v_cvt_u32_f32_e32 v39, v39
	v_cmp_gt_f32_e64 s2, v40, v41
	s_delay_alu instid0(VALU_DEP_2) | instskip(NEXT) | instid1(VALU_DEP_2)
	v_readfirstlane_b32 s25, v39
	v_cndmask_b32_e64 v39, v41, v40, s2
	s_delay_alu instid0(VALU_DEP_2) | instskip(NEXT) | instid1(VALU_DEP_1)
	s_mul_i32 s27, s27, s25
	v_mov_b32_dpp v40, v39 quad_perm:[2,3,0,1] row_mask:0xf bank_mask:0xf
	s_mul_hi_u32 s2, s25, s27
	s_delay_alu instid0(SALU_CYCLE_1)
	s_add_i32 s25, s25, s2
	s_ashr_i32 s2, s5, 31
	s_mul_hi_u32 s25, s23, s25
	s_xor_b32 s27, s35, s2
	v_cmp_gt_f32_e64 s2, v39, v40
	s_mul_i32 s28, s25, s24
	s_delay_alu instid0(VALU_DEP_1)
	v_cndmask_b32_e64 v39, v40, v39, s2
	s_sub_i32 s2, s23, s28
	s_add_i32 s23, s25, 1
	s_sub_i32 s28, s2, s24
	s_cmp_ge_u32 s2, s24
	v_mov_b32_dpp v40, v39 row_xmask:7 row_mask:0xf bank_mask:0xf
	s_cselect_b32 s23, s23, s25
	s_cselect_b32 s2, s28, s2
	s_add_i32 s25, s23, 1
	s_cmp_ge_u32 s2, s24
	s_cselect_b32 s2, s25, s23
	s_delay_alu instid0(SALU_CYCLE_1) | instskip(SKIP_1) | instid1(VALU_DEP_1)
	s_xor_b32 s23, s2, s27
	v_cmp_gt_f32_e64 s2, v39, v40
	v_cndmask_b32_e64 v39, v40, v39, s2
	s_sub_i32 s2, s23, s27
	s_delay_alu instid0(SALU_CYCLE_1) | instskip(SKIP_4) | instid1(SALU_CYCLE_1)
	s_mul_i32 s23, s2, s5
	s_mul_i32 s2, s2, s9
	s_sub_i32 s23, s34, s23
	v_mul_f32_e32 v39, 0x3c010204, v39
	s_mul_i32 s23, s23, s10
	s_add_i32 s24, s23, s2
	s_and_saveexec_b32 s2, s0
	s_cbranch_execz .LBB111_18
; %bb.17:
	s_ashr_i32 s25, s24, 31
	v_mov_b32_e32 v40, 0
	s_lshl_b64 s[28:29], s[24:25], 2
	s_delay_alu instid0(SALU_CYCLE_1)
	s_add_u32 s28, s14, s28
	s_addc_u32 s29, s15, s29
	global_store_b32 v40, v39, s[28:29]
.LBB111_18:
	s_or_b32 exec_lo, exec_lo, s2
	s_and_saveexec_b32 s2, s1
	s_cbranch_execz .LBB111_20
; %bb.19:
	v_rcp_f32_e32 v39, v39
	s_mul_i32 s23, s24, s41
	s_mul_hi_i32 s24, s24, s41
	s_add_u32 s36, s12, s23
	s_addc_u32 s23, s13, s24
	s_mov_b32 s39, -1
	s_and_b32 s37, s23, 0xffff
	s_waitcnt_depctr 0xfff
	v_mul_f32_e32 v30, v30, v39
	v_mul_f32_e32 v26, v26, v39
	;; [unrolled: 1-line block ×5, first 2 shown]
	v_cvt_i32_f32_e32 v30, v30
	v_cvt_i32_f32_e32 v26, v26
	v_mul_f32_e32 v37, v37, v39
	v_mul_f32_e32 v25, v25, v39
	v_cvt_i32_f32_e32 v28, v28
	v_lshlrev_b16 v30, 8, v30
	v_and_b32_e32 v26, 0xff, v26
	v_cvt_i32_f32_e32 v27, v27
	v_cvt_i32_f32_e32 v25, v25
	;; [unrolled: 1-line block ×3, first 2 shown]
	v_mul_f32_e32 v38, v38, v39
	v_or_b32_e32 v26, v26, v30
	v_mul_f32_e32 v33, v33, v39
	v_dual_mul_f32 v31, v31, v39 :: v_dual_and_b32 v28, 0xff, v28
	v_lshlrev_b16 v27, 8, v27
	v_and_b32_e32 v25, 0xff, v25
	v_lshlrev_b16 v29, 8, v29
	v_mul_f32_e32 v24, v24, v39
	v_dual_mul_f32 v23, v23, v39 :: v_dual_and_b32 v26, 0xffff, v26
	v_cvt_i32_f32_e32 v33, v33
	v_mul_f32_e32 v34, v34, v39
	v_or_b32_e32 v25, v25, v27
	v_or_b32_e32 v27, v28, v29
	v_cvt_i32_f32_e32 v24, v24
	v_and_b32_e32 v29, 0xff, v33
	v_cvt_i32_f32_e32 v34, v34
	v_cvt_i32_f32_e32 v23, v23
	v_dual_mul_f32 v32, v32, v39 :: v_dual_lshlrev_b32 v25, 16, v25
	v_lshlrev_b16 v24, 8, v24
	s_delay_alu instid0(VALU_DEP_4) | instskip(NEXT) | instid1(VALU_DEP_4)
	v_lshlrev_b16 v28, 8, v34
	v_and_b32_e32 v23, 0xff, v23
	v_cvt_i32_f32_e32 v37, v37
	v_mul_f32_e32 v36, v36, v39
	v_cvt_i32_f32_e32 v38, v38
	v_cvt_i32_f32_e32 v31, v31
	v_or_b32_e32 v23, v23, v24
	v_or_b32_e32 v24, v29, v28
	v_mul_f32_e32 v35, v35, v39
	v_cvt_i32_f32_e32 v32, v32
	v_lshlrev_b16 v34, 8, v38
	v_and_b32_e32 v31, 0xff, v31
	v_and_b32_e32 v24, 0xffff, v24
	v_cvt_i32_f32_e32 v35, v35
	v_lshlrev_b16 v32, 8, v32
	v_and_b32_e32 v27, 0xffff, v27
	v_lshlrev_b32_e32 v23, 16, v23
	v_or_b32_e32 v26, v26, v25
	v_and_b32_e32 v33, 0xff, v35
	v_and_b32_e32 v35, 0xff, v37
	v_cvt_i32_f32_e32 v36, v36
	v_or_b32_e32 v25, v27, v23
	s_delay_alu instid0(VALU_DEP_3) | instskip(NEXT) | instid1(VALU_DEP_3)
	v_or_b32_e32 v29, v35, v34
	v_lshlrev_b16 v30, 8, v36
	s_delay_alu instid0(VALU_DEP_2) | instskip(NEXT) | instid1(VALU_DEP_2)
	v_and_b32_e32 v29, 0xffff, v29
	v_or_b32_e32 v28, v33, v30
	v_or_b32_e32 v30, v31, v32
	s_delay_alu instid0(VALU_DEP_2) | instskip(NEXT) | instid1(VALU_DEP_2)
	v_lshlrev_b32_e32 v28, 16, v28
	v_lshlrev_b32_e32 v30, 16, v30
	s_delay_alu instid0(VALU_DEP_2) | instskip(NEXT) | instid1(VALU_DEP_2)
	v_or_b32_e32 v24, v24, v28
	v_or_b32_e32 v23, v29, v30
	buffer_store_b128 v[23:26], v21, s[36:39], 0 offen
	;;#ASMSTART
	s_nop 0
	;;#ASMEND
.LBB111_20:
	s_or_b32 exec_lo, exec_lo, s2
	s_cmp_eq_u32 s4, 1
	s_mov_b32 s35, 1
	s_cbranch_scc1 .LBB111_35
.LBB111_21:
	s_abs_i32 s43, s5
	s_ashr_i32 s44, s5, 31
	v_cvt_f32_u32_e32 v23, s43
	s_sub_i32 s23, 0, s43
	s_mov_b32 s31, -1
	s_mov_b32 s46, 0x76543210
	v_add_nc_u32_e32 v22, 4, v22
	v_rcp_iflag_f32_e32 v23, v23
	s_waitcnt_depctr 0xfff
	v_mul_f32_e32 v23, 0x4f7ffffe, v23
	s_delay_alu instid0(VALU_DEP_1) | instskip(NEXT) | instid1(VALU_DEP_1)
	v_cvt_u32_f32_e32 v23, v23
	v_readfirstlane_b32 s2, v23
	v_mov_b32_e32 v23, 0
	s_delay_alu instid0(VALU_DEP_2) | instskip(NEXT) | instid1(SALU_CYCLE_1)
	s_mul_i32 s23, s23, s2
	s_mul_hi_u32 s23, s2, s23
	s_delay_alu instid0(SALU_CYCLE_1)
	s_add_i32 s45, s2, s23
	s_branch .LBB111_24
.LBB111_22:                             ;   in Loop: Header=BB111_24 Depth=1
	s_or_b32 exec_lo, exec_lo, s2
.LBB111_23:                             ;   in Loop: Header=BB111_24 Depth=1
	v_add_nc_u32_e32 v22, 4, v22
	s_add_i32 s35, s35, 1
	s_delay_alu instid0(SALU_CYCLE_1)
	s_cmp_eq_u32 s4, s35
	s_cbranch_scc1 .LBB111_35
.LBB111_24:                             ; =>This Inner Loop Header: Depth=1
	s_and_b32 s2, s35, 31
	s_delay_alu instid0(SALU_CYCLE_1)
	s_cmp_lg_u32 s2, 0
	s_cbranch_scc1 .LBB111_26
; %bb.25:                               ;   in Loop: Header=BB111_24 Depth=1
	s_mov_b32 s23, s31
	buffer_load_b32 v20, v22, s[20:23], 0 offen
	s_waitcnt vmcnt(0) expcnt(0) lgkmcnt(55)
	v_lshlrev_b32_e32 v20, 2, v20
	ds_load_b32 v20, v20
.LBB111_26:                             ;   in Loop: Header=BB111_24 Depth=1
	s_waitcnt lgkmcnt(0)
	v_readlane_b32 s2, v20, s2
	s_delay_alu instid0(VALU_DEP_1)
	s_cmp_lt_i32 s2, 0
	s_cbranch_scc1 .LBB111_23
; %bb.27:                               ;   in Loop: Header=BB111_24 Depth=1
	s_add_i32 s23, s34, s35
	s_delay_alu instid0(SALU_CYCLE_1)
	s_abs_i32 s36, s23
	s_ashr_i32 s37, s23, 31
	s_mul_hi_u32 s24, s36, s40
	s_xor_b32 s27, s37, s33
	s_mul_i32 s25, s24, s11
	s_add_i32 s28, s24, 1
	s_sub_i32 s25, s36, s25
	s_delay_alu instid0(SALU_CYCLE_1)
	s_sub_i32 s29, s25, s11
	s_cmp_ge_u32 s25, s11
	s_cselect_b32 s24, s28, s24
	s_cselect_b32 s25, s29, s25
	s_add_i32 s28, s24, 1
	s_cmp_ge_u32 s25, s11
	s_cselect_b32 s24, s28, s24
	s_delay_alu instid0(SALU_CYCLE_1) | instskip(NEXT) | instid1(SALU_CYCLE_1)
	s_xor_b32 s24, s24, s27
	s_sub_i32 s24, s24, s27
	s_delay_alu instid0(SALU_CYCLE_1) | instskip(SKIP_2) | instid1(SALU_CYCLE_1)
	s_mul_i32 s25, s24, s6
	s_mul_i32 s24, s24, s7
	s_sub_i32 s25, s23, s25
	s_mul_i32 s28, s25, s8
	s_delay_alu instid0(SALU_CYCLE_1) | instskip(NEXT) | instid1(SALU_CYCLE_1)
	s_add_i32 s28, s28, s24
	s_cmp_eq_u32 s28, s42
	s_cbranch_scc1 .LBB111_29
; %bb.28:                               ;   in Loop: Header=BB111_24 Depth=1
	s_mul_hi_i32 s25, s28, s41
	s_mul_i32 s24, s28, s41
	s_mov_b32 s27, s31
	s_lshl_b64 s[24:25], s[24:25], 1
	s_mov_b32 s42, s28
	s_add_u32 s24, s16, s24
	s_addc_u32 s25, s17, s25
	s_delay_alu instid0(SALU_CYCLE_1)
	s_and_b32 s25, s25, 0xffff
	s_clause 0x1
	buffer_load_b128 v[0:3], v16, s[24:27], 0 offen
	buffer_load_b128 v[4:7], v16, s[24:27], 16 offen
	s_waitcnt vmcnt(1)
	v_lshrrev_b32_e32 v8, 16, v0
	v_and_b32_e32 v0, 0xffff, v0
	v_lshrrev_b32_e32 v9, 16, v1
	v_and_b32_e32 v10, 0xffff, v1
	;; [unrolled: 2-line block ×4, first 2 shown]
	s_waitcnt vmcnt(0)
	v_lshrrev_b32_e32 v15, 16, v4
	v_and_b32_e32 v24, 0xffff, v4
	v_lshrrev_b32_e32 v25, 16, v5
	v_and_b32_e32 v26, 0xffff, v5
	;; [unrolled: 2-line block ×4, first 2 shown]
	v_cvt_f32_u32_e32 v1, v8
	v_cvt_f32_u32_e32 v0, v0
	v_cvt_f32_u32_e32 v3, v9
	v_cvt_f32_u32_e32 v2, v10
	v_cvt_f32_u32_e32 v5, v11
	v_cvt_f32_u32_e32 v4, v12
	v_cvt_f32_u32_e32 v7, v13
	v_cvt_f32_u32_e32 v6, v14
	v_cvt_f32_u32_e32 v9, v15
	v_cvt_f32_u32_e32 v8, v24
	v_cvt_f32_u32_e32 v11, v25
	v_cvt_f32_u32_e32 v10, v26
	v_cvt_f32_u32_e32 v13, v27
	v_cvt_f32_u32_e32 v12, v28
	v_cvt_f32_u32_e32 v15, v29
	v_cvt_f32_u32_e32 v14, v30
.LBB111_29:                             ;   in Loop: Header=BB111_24 Depth=1
	s_mul_i32 s24, s2, s3
	s_delay_alu instid0(SALU_CYCLE_1) | instskip(NEXT) | instid1(SALU_CYCLE_1)
	s_ashr_i32 s25, s24, 31
	s_lshl_b64 s[24:25], s[24:25], 2
	s_delay_alu instid0(SALU_CYCLE_1) | instskip(SKIP_1) | instid1(SALU_CYCLE_1)
	s_add_u32 s28, s18, s24
	s_addc_u32 s2, s19, s25
	s_and_b32 s29, s2, 0xffff
	s_clause 0x3
	buffer_load_b128 v[24:27], v17, s[28:31], 0 offen
	buffer_load_b128 v[28:31], v17, s[28:31], 16 offen
	;; [unrolled: 1-line block ×4, first 2 shown]
	s_waitcnt vmcnt(3)
	v_dual_mul_f32 v38, v0, v24 :: v_dual_mul_f32 v39, v1, v25
	v_dual_mul_f32 v32, v2, v26 :: v_dual_mul_f32 v33, v3, v27
	s_waitcnt vmcnt(2)
	v_dual_mul_f32 v34, v4, v28 :: v_dual_mul_f32 v35, v5, v29
	s_delay_alu instid0(VALU_DEP_3) | instskip(SKIP_3) | instid1(VALU_DEP_3)
	v_max3_f32 v24, |v38|, 0x2edbe6ff, |v39|
	v_dual_mul_f32 v36, v6, v30 :: v_dual_mul_f32 v37, v7, v31
	s_waitcnt vmcnt(1)
	v_dual_mul_f32 v29, v8, v40 :: v_dual_mul_f32 v30, v9, v41
	v_max3_f32 v24, v24, |v32|, |v33|
	s_waitcnt vmcnt(0)
	v_mul_f32_e32 v27, v12, v44
	v_dual_mul_f32 v31, v13, v45 :: v_dual_mul_f32 v28, v15, v47
	v_mul_f32_e32 v25, v11, v43
	v_max3_f32 v24, v24, |v34|, |v35|
	s_delay_alu instid0(VALU_DEP_1) | instskip(SKIP_1) | instid1(VALU_DEP_2)
	v_max3_f32 v26, v24, |v36|, |v37|
	v_mul_f32_e32 v24, v10, v42
	v_max3_f32 v26, v26, |v29|, |v30|
	s_delay_alu instid0(VALU_DEP_1) | instskip(SKIP_1) | instid1(VALU_DEP_2)
	v_max3_f32 v40, v26, |v24|, |v25|
	v_mul_f32_e32 v26, v14, v46
	v_max3_f32 v40, v40, |v27|, |v31|
	s_delay_alu instid0(VALU_DEP_1) | instskip(NEXT) | instid1(VALU_DEP_1)
	v_max3_f32 v40, v40, |v26|, |v28|
	v_mov_b32_dpp v41, v40 quad_perm:[1,0,3,2] row_mask:0xf bank_mask:0xf
	s_delay_alu instid0(VALU_DEP_1) | instskip(NEXT) | instid1(VALU_DEP_1)
	v_cmp_gt_f32_e64 s2, v40, v41
	v_cndmask_b32_e64 v40, v41, v40, s2
	s_delay_alu instid0(VALU_DEP_1) | instskip(NEXT) | instid1(VALU_DEP_1)
	v_mov_b32_dpp v41, v40 quad_perm:[2,3,0,1] row_mask:0xf bank_mask:0xf
	v_cmp_gt_f32_e64 s2, v40, v41
	s_delay_alu instid0(VALU_DEP_1) | instskip(NEXT) | instid1(VALU_DEP_1)
	v_cndmask_b32_e64 v40, v41, v40, s2
	v_mov_b32_dpp v41, v40 row_xmask:7 row_mask:0xf bank_mask:0xf
	s_delay_alu instid0(VALU_DEP_1) | instskip(NEXT) | instid1(VALU_DEP_1)
	v_cmp_gt_f32_e64 s2, v40, v41
	v_cndmask_b32_e64 v40, v41, v40, s2
	s_delay_alu instid0(VALU_DEP_1) | instskip(NEXT) | instid1(VALU_DEP_1)
	v_mov_b32_dpp v41, v40 row_xmask:15 row_mask:0xf bank_mask:0xf
	v_cmp_gt_f32_e64 s2, v40, v41
	s_and_saveexec_b32 s24, vcc_lo
	s_cbranch_execz .LBB111_31
; %bb.30:                               ;   in Loop: Header=BB111_24 Depth=1
	s_delay_alu instid0(VALU_DEP_1) | instskip(NEXT) | instid1(VALU_DEP_1)
	v_cndmask_b32_e64 v40, v41, v40, s2
	v_permlanex16_b32 v41, v40, s46, 0xfedcba98 op_sel:[1,1]
	s_delay_alu instid0(VALU_DEP_1) | instskip(NEXT) | instid1(VALU_DEP_1)
	v_cmp_gt_f32_e64 s2, v40, v41
	v_cndmask_b32_e64 v40, v41, v40, s2
	ds_store_b32 v18, v40
.LBB111_31:                             ;   in Loop: Header=BB111_24 Depth=1
	s_or_b32 exec_lo, exec_lo, s24
	s_waitcnt lgkmcnt(0)
	s_waitcnt_vscnt null, 0x0
	s_barrier
	buffer_gl0_inv
	ds_load_b32 v40, v19
	s_mul_hi_u32 s24, s36, s45
	s_xor_b32 s27, s37, s44
	s_mul_i32 s25, s24, s43
	s_waitcnt lgkmcnt(0)
	v_mov_b32_dpp v41, v40 quad_perm:[1,0,3,2] row_mask:0xf bank_mask:0xf
	s_delay_alu instid0(VALU_DEP_1) | instskip(NEXT) | instid1(VALU_DEP_1)
	v_cmp_gt_f32_e64 s2, v40, v41
	v_cndmask_b32_e64 v40, v41, v40, s2
	s_sub_i32 s2, s36, s25
	s_add_i32 s25, s24, 1
	s_sub_i32 s28, s2, s43
	s_cmp_ge_u32 s2, s43
	v_mov_b32_dpp v41, v40 quad_perm:[2,3,0,1] row_mask:0xf bank_mask:0xf
	s_cselect_b32 s24, s25, s24
	s_cselect_b32 s25, s28, s2
	s_delay_alu instid0(VALU_DEP_1) | instskip(NEXT) | instid1(VALU_DEP_1)
	v_cmp_gt_f32_e64 s2, v40, v41
	v_cndmask_b32_e64 v40, v41, v40, s2
	s_add_i32 s2, s24, 1
	s_cmp_ge_u32 s25, s43
	s_cselect_b32 s2, s2, s24
	s_delay_alu instid0(VALU_DEP_1) | instskip(SKIP_1) | instid1(SALU_CYCLE_1)
	v_mov_b32_dpp v41, v40 row_xmask:7 row_mask:0xf bank_mask:0xf
	s_xor_b32 s2, s2, s27
	s_sub_i32 s24, s2, s27
	s_delay_alu instid0(VALU_DEP_1) | instskip(NEXT) | instid1(VALU_DEP_1)
	v_cmp_gt_f32_e64 s2, v40, v41
	v_cndmask_b32_e64 v40, v41, v40, s2
	s_mul_i32 s2, s24, s5
	s_mul_i32 s24, s24, s9
	s_sub_i32 s2, s23, s2
	s_delay_alu instid0(VALU_DEP_1) | instskip(SKIP_1) | instid1(SALU_CYCLE_1)
	v_mul_f32_e32 v40, 0x3c010204, v40
	s_mul_i32 s2, s2, s10
	s_add_i32 s24, s2, s24
	s_and_saveexec_b32 s2, s0
	s_cbranch_execz .LBB111_33
; %bb.32:                               ;   in Loop: Header=BB111_24 Depth=1
	s_ashr_i32 s25, s24, 31
	s_delay_alu instid0(SALU_CYCLE_1) | instskip(NEXT) | instid1(SALU_CYCLE_1)
	s_lshl_b64 s[28:29], s[24:25], 2
	s_add_u32 s28, s14, s28
	s_addc_u32 s29, s15, s29
	global_store_b32 v23, v40, s[28:29]
.LBB111_33:                             ;   in Loop: Header=BB111_24 Depth=1
	s_or_b32 exec_lo, exec_lo, s2
	s_and_saveexec_b32 s2, s1
	s_cbranch_execz .LBB111_22
; %bb.34:                               ;   in Loop: Header=BB111_24 Depth=1
	v_rcp_f32_e32 v40, v40
	s_mul_i32 s23, s24, s41
	s_mul_hi_i32 s24, s24, s41
	s_add_u32 s36, s12, s23
	s_addc_u32 s23, s13, s24
	s_mov_b32 s39, s31
	s_and_b32 s37, s23, 0xffff
	s_waitcnt_depctr 0xfff
	v_mul_f32_e32 v31, v31, v40
	v_mul_f32_e32 v27, v27, v40
	;; [unrolled: 1-line block ×5, first 2 shown]
	v_cvt_i32_f32_e32 v31, v31
	v_cvt_i32_f32_e32 v27, v27
	v_mul_f32_e32 v38, v38, v40
	v_mul_f32_e32 v26, v26, v40
	v_cvt_i32_f32_e32 v29, v29
	v_lshlrev_b16 v31, 8, v31
	v_and_b32_e32 v27, 0xff, v27
	v_cvt_i32_f32_e32 v28, v28
	v_cvt_i32_f32_e32 v26, v26
	;; [unrolled: 1-line block ×3, first 2 shown]
	v_mul_f32_e32 v39, v39, v40
	v_or_b32_e32 v27, v27, v31
	v_mul_f32_e32 v34, v34, v40
	v_dual_mul_f32 v32, v32, v40 :: v_dual_and_b32 v29, 0xff, v29
	v_lshlrev_b16 v28, 8, v28
	v_and_b32_e32 v26, 0xff, v26
	v_lshlrev_b16 v30, 8, v30
	v_mul_f32_e32 v25, v25, v40
	v_dual_mul_f32 v24, v24, v40 :: v_dual_and_b32 v27, 0xffff, v27
	v_cvt_i32_f32_e32 v34, v34
	v_mul_f32_e32 v35, v35, v40
	v_or_b32_e32 v26, v26, v28
	v_or_b32_e32 v28, v29, v30
	v_cvt_i32_f32_e32 v25, v25
	v_and_b32_e32 v30, 0xff, v34
	v_cvt_i32_f32_e32 v35, v35
	v_cvt_i32_f32_e32 v24, v24
	v_dual_mul_f32 v33, v33, v40 :: v_dual_lshlrev_b32 v26, 16, v26
	v_lshlrev_b16 v25, 8, v25
	s_delay_alu instid0(VALU_DEP_4) | instskip(NEXT) | instid1(VALU_DEP_4)
	v_lshlrev_b16 v29, 8, v35
	v_and_b32_e32 v24, 0xff, v24
	v_cvt_i32_f32_e32 v38, v38
	v_mul_f32_e32 v37, v37, v40
	v_cvt_i32_f32_e32 v39, v39
	v_cvt_i32_f32_e32 v32, v32
	v_or_b32_e32 v24, v24, v25
	v_or_b32_e32 v25, v30, v29
	v_mul_f32_e32 v36, v36, v40
	v_cvt_i32_f32_e32 v33, v33
	v_lshlrev_b16 v35, 8, v39
	v_and_b32_e32 v32, 0xff, v32
	v_and_b32_e32 v25, 0xffff, v25
	v_cvt_i32_f32_e32 v36, v36
	v_lshlrev_b16 v33, 8, v33
	v_and_b32_e32 v28, 0xffff, v28
	v_lshlrev_b32_e32 v24, 16, v24
	v_or_b32_e32 v27, v27, v26
	v_and_b32_e32 v34, 0xff, v36
	v_and_b32_e32 v36, 0xff, v38
	v_cvt_i32_f32_e32 v37, v37
	v_or_b32_e32 v26, v28, v24
	s_delay_alu instid0(VALU_DEP_3) | instskip(NEXT) | instid1(VALU_DEP_3)
	v_or_b32_e32 v30, v36, v35
	v_lshlrev_b16 v31, 8, v37
	s_delay_alu instid0(VALU_DEP_2) | instskip(NEXT) | instid1(VALU_DEP_2)
	v_and_b32_e32 v30, 0xffff, v30
	v_or_b32_e32 v29, v34, v31
	v_or_b32_e32 v31, v32, v33
	s_delay_alu instid0(VALU_DEP_2) | instskip(NEXT) | instid1(VALU_DEP_2)
	v_lshlrev_b32_e32 v29, 16, v29
	v_lshlrev_b32_e32 v31, 16, v31
	s_delay_alu instid0(VALU_DEP_2) | instskip(NEXT) | instid1(VALU_DEP_2)
	v_or_b32_e32 v25, v25, v29
	v_or_b32_e32 v24, v30, v31
	buffer_store_b128 v[24:27], v21, s[36:39], 0 offen
	;;#ASMSTART
	s_nop 0
	;;#ASMEND
	s_branch .LBB111_22
.LBB111_35:
	s_nop 0
	s_sendmsg sendmsg(MSG_DEALLOC_VGPRS)
	s_endpgm
	.section	.rodata,"a",@progbits
	.p2align	6, 0x0
	.amdhsa_kernel _ZN5aiter36smooth_per_token_scaled_quant_kernelItaLi256ELi16ELb1ELb1ELb1ELi1024EEEvPT0_PfPT_S3_PiS6_iiPKiiiiiiiii
		.amdhsa_group_segment_fixed_size 4128
		.amdhsa_private_segment_fixed_size 0
		.amdhsa_kernarg_size 96
		.amdhsa_user_sgpr_count 15
		.amdhsa_user_sgpr_dispatch_ptr 0
		.amdhsa_user_sgpr_queue_ptr 0
		.amdhsa_user_sgpr_kernarg_segment_ptr 1
		.amdhsa_user_sgpr_dispatch_id 0
		.amdhsa_user_sgpr_private_segment_size 0
		.amdhsa_wavefront_size32 1
		.amdhsa_uses_dynamic_stack 0
		.amdhsa_enable_private_segment 0
		.amdhsa_system_sgpr_workgroup_id_x 1
		.amdhsa_system_sgpr_workgroup_id_y 0
		.amdhsa_system_sgpr_workgroup_id_z 0
		.amdhsa_system_sgpr_workgroup_info 0
		.amdhsa_system_vgpr_workitem_id 0
		.amdhsa_next_free_vgpr 48
		.amdhsa_next_free_sgpr 47
		.amdhsa_reserve_vcc 1
		.amdhsa_float_round_mode_32 0
		.amdhsa_float_round_mode_16_64 0
		.amdhsa_float_denorm_mode_32 3
		.amdhsa_float_denorm_mode_16_64 3
		.amdhsa_dx10_clamp 1
		.amdhsa_ieee_mode 1
		.amdhsa_fp16_overflow 0
		.amdhsa_workgroup_processor_mode 1
		.amdhsa_memory_ordered 1
		.amdhsa_forward_progress 0
		.amdhsa_shared_vgpr_count 0
		.amdhsa_exception_fp_ieee_invalid_op 0
		.amdhsa_exception_fp_denorm_src 0
		.amdhsa_exception_fp_ieee_div_zero 0
		.amdhsa_exception_fp_ieee_overflow 0
		.amdhsa_exception_fp_ieee_underflow 0
		.amdhsa_exception_fp_ieee_inexact 0
		.amdhsa_exception_int_div_zero 0
	.end_amdhsa_kernel
	.section	.text._ZN5aiter36smooth_per_token_scaled_quant_kernelItaLi256ELi16ELb1ELb1ELb1ELi1024EEEvPT0_PfPT_S3_PiS6_iiPKiiiiiiiii,"axG",@progbits,_ZN5aiter36smooth_per_token_scaled_quant_kernelItaLi256ELi16ELb1ELb1ELb1ELi1024EEEvPT0_PfPT_S3_PiS6_iiPKiiiiiiiii,comdat
.Lfunc_end111:
	.size	_ZN5aiter36smooth_per_token_scaled_quant_kernelItaLi256ELi16ELb1ELb1ELb1ELi1024EEEvPT0_PfPT_S3_PiS6_iiPKiiiiiiiii, .Lfunc_end111-_ZN5aiter36smooth_per_token_scaled_quant_kernelItaLi256ELi16ELb1ELb1ELb1ELi1024EEEvPT0_PfPT_S3_PiS6_iiPKiiiiiiiii
                                        ; -- End function
	.section	.AMDGPU.csdata,"",@progbits
; Kernel info:
; codeLenInByte = 3876
; NumSgprs: 49
; NumVgprs: 48
; ScratchSize: 0
; MemoryBound: 0
; FloatMode: 240
; IeeeMode: 1
; LDSByteSize: 4128 bytes/workgroup (compile time only)
; SGPRBlocks: 6
; VGPRBlocks: 5
; NumSGPRsForWavesPerEU: 49
; NumVGPRsForWavesPerEU: 48
; Occupancy: 16
; WaveLimiterHint : 0
; COMPUTE_PGM_RSRC2:SCRATCH_EN: 0
; COMPUTE_PGM_RSRC2:USER_SGPR: 15
; COMPUTE_PGM_RSRC2:TRAP_HANDLER: 0
; COMPUTE_PGM_RSRC2:TGID_X_EN: 1
; COMPUTE_PGM_RSRC2:TGID_Y_EN: 0
; COMPUTE_PGM_RSRC2:TGID_Z_EN: 0
; COMPUTE_PGM_RSRC2:TIDIG_COMP_CNT: 0
	.section	.text._ZN5aiter36smooth_per_token_scaled_quant_kernelIDF16_aLi256ELi16ELb1ELb1ELb0ELi1024EEEvPT0_PfPT_S3_PiS6_iiPKiiiiiiiii,"axG",@progbits,_ZN5aiter36smooth_per_token_scaled_quant_kernelIDF16_aLi256ELi16ELb1ELb1ELb0ELi1024EEEvPT0_PfPT_S3_PiS6_iiPKiiiiiiiii,comdat
	.protected	_ZN5aiter36smooth_per_token_scaled_quant_kernelIDF16_aLi256ELi16ELb1ELb1ELb0ELi1024EEEvPT0_PfPT_S3_PiS6_iiPKiiiiiiiii ; -- Begin function _ZN5aiter36smooth_per_token_scaled_quant_kernelIDF16_aLi256ELi16ELb1ELb1ELb0ELi1024EEEvPT0_PfPT_S3_PiS6_iiPKiiiiiiiii
	.globl	_ZN5aiter36smooth_per_token_scaled_quant_kernelIDF16_aLi256ELi16ELb1ELb1ELb0ELi1024EEEvPT0_PfPT_S3_PiS6_iiPKiiiiiiiii
	.p2align	8
	.type	_ZN5aiter36smooth_per_token_scaled_quant_kernelIDF16_aLi256ELi16ELb1ELb1ELb0ELi1024EEEvPT0_PfPT_S3_PiS6_iiPKiiiiiiiii,@function
_ZN5aiter36smooth_per_token_scaled_quant_kernelIDF16_aLi256ELi16ELb1ELb1ELb0ELi1024EEEvPT0_PfPT_S3_PiS6_iiPKiiiiiiiii: ; @_ZN5aiter36smooth_per_token_scaled_quant_kernelIDF16_aLi256ELi16ELb1ELb1ELb0ELi1024EEEvPT0_PfPT_S3_PiS6_iiPKiiiiiiiii
; %bb.0:
	s_clause 0x1
	s_load_b64 s[2:3], s[0:1], 0x38
	s_load_b256 s[4:11], s[0:1], 0x40
	s_waitcnt lgkmcnt(0)
	s_cmp_lg_u64 s[2:3], 0
	s_cbranch_scc0 .LBB112_11
; %bb.1:
	s_load_b32 s2, s[2:3], 0x0
	s_waitcnt lgkmcnt(0)
	s_mul_i32 s4, s2, s4
	s_cbranch_execnz .LBB112_3
.LBB112_2:
	s_mul_i32 s4, s6, s5
.LBB112_3:
	s_load_b64 s[2:3], s[0:1], 0x30
	s_abs_i32 s14, s4
	s_waitcnt lgkmcnt(0)
	s_abs_i32 s11, s2
	s_delay_alu instid0(SALU_CYCLE_1) | instskip(SKIP_1) | instid1(VALU_DEP_1)
	v_cvt_f32_u32_e32 v1, s11
	s_sub_i32 s13, 0, s11
	v_rcp_iflag_f32_e32 v1, v1
	s_waitcnt_depctr 0xfff
	v_mul_f32_e32 v1, 0x4f7ffffe, v1
	s_delay_alu instid0(VALU_DEP_1) | instskip(NEXT) | instid1(VALU_DEP_1)
	v_cvt_u32_f32_e32 v1, v1
	v_readfirstlane_b32 s12, v1
	s_delay_alu instid0(VALU_DEP_1) | instskip(NEXT) | instid1(SALU_CYCLE_1)
	s_mul_i32 s13, s13, s12
	s_mul_hi_u32 s13, s12, s13
	s_delay_alu instid0(SALU_CYCLE_1) | instskip(SKIP_4) | instid1(SALU_CYCLE_1)
	s_add_i32 s12, s12, s13
	s_xor_b32 s13, s4, s2
	s_mul_hi_u32 s12, s14, s12
	s_ashr_i32 s13, s13, 31
	s_mul_i32 s16, s12, s11
	s_sub_i32 s14, s14, s16
	s_add_i32 s16, s12, 1
	s_sub_i32 s17, s14, s11
	s_cmp_ge_u32 s14, s11
	s_cselect_b32 s12, s16, s12
	s_cselect_b32 s14, s17, s14
	s_add_i32 s16, s12, 1
	s_cmp_ge_u32 s14, s11
	s_cselect_b32 s11, s16, s12
	s_mov_b32 s12, 0
	s_xor_b32 s11, s11, s13
	s_delay_alu instid0(SALU_CYCLE_1) | instskip(NEXT) | instid1(SALU_CYCLE_1)
	s_sub_i32 s11, s11, s13
	s_mul_i32 s2, s11, s2
	s_delay_alu instid0(SALU_CYCLE_1) | instskip(NEXT) | instid1(SALU_CYCLE_1)
	s_sub_i32 s13, s4, s2
	s_cmp_lt_u32 s15, s13
	s_cselect_b32 s2, -1, 0
	s_add_i32 s4, s11, 1
	s_cmp_ge_u32 s15, s13
	s_cbranch_scc0 .LBB112_5
; %bb.4:
	s_sub_i32 s14, s15, s13
	s_mul_i32 s13, s13, s4
	s_mul_i32 s14, s14, s11
	s_delay_alu instid0(SALU_CYCLE_1)
	s_add_i32 s34, s14, s13
	s_and_not1_b32 vcc_lo, exec_lo, s12
	s_cbranch_vccz .LBB112_6
	s_branch .LBB112_7
.LBB112_5:
                                        ; implicit-def: $sgpr34
.LBB112_6:
	s_mul_i32 s34, s4, s15
.LBB112_7:
	v_cndmask_b32_e64 v1, 0, 1, s2
	s_delay_alu instid0(VALU_DEP_1) | instskip(NEXT) | instid1(VALU_DEP_1)
	v_readfirstlane_b32 s2, v1
	s_add_i32 s4, s11, s2
	s_delay_alu instid0(SALU_CYCLE_1)
	s_cmp_lt_i32 s4, 1
	s_cbranch_scc1 .LBB112_35
; %bb.8:
	s_load_b64 s[12:13], s[0:1], 0x20
	s_ashr_i32 s35, s34, 31
	v_and_b32_e32 v1, 31, v0
	s_lshl_b64 s[14:15], s[34:35], 2
	s_mov_b32 s42, -1
	v_lshrrev_b32_e32 v3, 3, v0
	s_mov_b32 s23, s42
	v_cmp_eq_u32_e32 vcc_lo, 31, v1
	v_and_b32_e32 v4, 7, v0
	v_lshlrev_b32_e32 v17, 5, v0
	v_lshlrev_b32_e32 v18, 6, v0
	v_and_b32_e32 v19, 0x7c, v3
	v_lshlrev_b32_e32 v21, 4, v0
	v_lshlrev_b32_e32 v20, 2, v4
	s_mov_b32 s33, s3
	s_waitcnt lgkmcnt(0)
	s_add_u32 s20, s12, s14
	s_addc_u32 s2, s13, s15
	s_abs_i32 s11, s6
	s_lshl_b32 s22, s4, 2
	v_cvt_f32_u32_e32 v2, s11
	s_and_b32 s21, s2, 0xffff
	s_load_b256 s[12:19], s[0:1], 0x0
	s_add_i32 s1, s3, 15
	v_cmp_eq_u32_e64 s0, 0, v0
	v_rcp_iflag_f32_e32 v2, v2
	v_lshlrev_b32_e32 v22, 2, v1
	s_ashr_i32 s2, s1, 31
	s_lshl_b32 s26, s3, 1
	s_lshr_b32 s2, s2, 28
	s_lshl_b32 s30, s3, 2
	s_add_i32 s1, s1, s2
	s_ashr_i32 s40, s6, 31
	s_ashr_i32 s1, s1, 4
	s_waitcnt_depctr 0xfff
	v_mul_f32_e32 v1, 0x4f7ffffe, v2
	buffer_load_b32 v16, v22, s[20:23], 0 offen
	s_add_i32 s23, s3, 3
	v_cmp_gt_u32_e64 s1, s1, v0
	s_ashr_i32 s2, s23, 31
	v_cvt_u32_f32_e32 v1, v1
	s_lshr_b32 s2, s2, 30
	s_waitcnt vmcnt(3) expcnt(0) lgkmcnt(55)
	s_add_i32 s23, s23, s2
	s_sub_i32 s2, 0, s11
	v_readfirstlane_b32 s41, v1
	s_and_b32 s38, s23, -4
	s_waitcnt vmcnt(0) lgkmcnt(0)
	s_barrier
	buffer_gl0_inv
	s_mul_i32 s23, s2, s41
	s_delay_alu instid0(SALU_CYCLE_1) | instskip(NEXT) | instid1(SALU_CYCLE_1)
	s_mul_hi_u32 s23, s41, s23
	s_add_i32 s41, s41, s23
	v_readlane_b32 s2, v16, 0
	s_delay_alu instid0(VALU_DEP_1)
	s_cmp_lt_i32 s2, 0
	s_cbranch_scc1 .LBB112_12
; %bb.9:
	s_abs_i32 s23, s34
	s_xor_b32 s27, s35, s40
	s_mul_hi_u32 s24, s23, s41
	s_mov_b32 s31, -1
	s_mul_i32 s25, s24, s11
	s_add_i32 s28, s24, 1
	s_sub_i32 s25, s23, s25
	s_delay_alu instid0(SALU_CYCLE_1)
	s_sub_i32 s29, s25, s11
	s_cmp_ge_u32 s25, s11
	s_cselect_b32 s24, s28, s24
	s_cselect_b32 s25, s29, s25
	s_add_i32 s28, s24, 1
	s_cmp_ge_u32 s25, s11
	s_cselect_b32 s24, s28, s24
	s_delay_alu instid0(SALU_CYCLE_1) | instskip(NEXT) | instid1(SALU_CYCLE_1)
	s_xor_b32 s24, s24, s27
	s_sub_i32 s24, s24, s27
	s_delay_alu instid0(SALU_CYCLE_1) | instskip(SKIP_2) | instid1(SALU_CYCLE_1)
	s_mul_i32 s25, s24, s6
	s_mul_i32 s24, s24, s7
	s_sub_i32 s25, s34, s25
	s_mul_i32 s25, s25, s8
	s_delay_alu instid0(SALU_CYCLE_1) | instskip(NEXT) | instid1(SALU_CYCLE_1)
	s_add_i32 s42, s25, s24
	s_cmp_eq_u32 s42, -1
	s_cbranch_scc1 .LBB112_13
; %bb.10:
	s_mul_hi_i32 s25, s42, s33
	s_mul_i32 s24, s42, s33
	s_mov_b32 s27, s31
	s_lshl_b64 s[24:25], s[24:25], 1
	s_delay_alu instid0(SALU_CYCLE_1) | instskip(SKIP_1) | instid1(SALU_CYCLE_1)
	s_add_u32 s24, s16, s24
	s_addc_u32 s25, s17, s25
	s_and_b32 s25, s25, 0xffff
	s_clause 0x1
	buffer_load_b128 v[4:7], v17, s[24:27], 0 offen
	buffer_load_b128 v[12:15], v17, s[24:27], 16 offen
	s_waitcnt vmcnt(1)
	v_cvt_f32_f16_e32 v0, v4
	v_lshrrev_b32_e32 v1, 16, v4
	v_cvt_f32_f16_e32 v2, v5
	v_lshrrev_b32_e32 v3, 16, v5
	;; [unrolled: 2-line block ×4, first 2 shown]
	s_waitcnt vmcnt(0)
	v_cvt_f32_f16_e32 v8, v12
	v_lshrrev_b32_e32 v9, 16, v12
	v_cvt_f32_f16_e32 v10, v13
	v_lshrrev_b32_e32 v11, 16, v13
	;; [unrolled: 2-line block ×4, first 2 shown]
	v_cvt_f32_f16_e32 v1, v1
	v_cvt_f32_f16_e32 v3, v3
	;; [unrolled: 1-line block ×8, first 2 shown]
	s_branch .LBB112_14
.LBB112_11:
                                        ; implicit-def: $sgpr4
	s_branch .LBB112_2
.LBB112_12:
                                        ; implicit-def: $vgpr0_vgpr1_vgpr2_vgpr3_vgpr4_vgpr5_vgpr6_vgpr7_vgpr8_vgpr9_vgpr10_vgpr11_vgpr12_vgpr13_vgpr14_vgpr15
	s_cmp_eq_u32 s4, 1
	s_mov_b32 s35, 1
	s_cbranch_scc0 .LBB112_21
	s_branch .LBB112_35
.LBB112_13:
                                        ; implicit-def: $vgpr0_vgpr1_vgpr2_vgpr3_vgpr4_vgpr5_vgpr6_vgpr7_vgpr8_vgpr9_vgpr10_vgpr11_vgpr12_vgpr13_vgpr14_vgpr15
.LBB112_14:
	s_mul_i32 s24, s2, s3
	s_delay_alu instid0(SALU_CYCLE_1) | instskip(NEXT) | instid1(SALU_CYCLE_1)
	s_ashr_i32 s25, s24, 31
	s_lshl_b64 s[24:25], s[24:25], 2
	s_delay_alu instid0(SALU_CYCLE_1) | instskip(SKIP_1) | instid1(SALU_CYCLE_1)
	s_add_u32 s28, s18, s24
	s_addc_u32 s2, s19, s25
	s_and_b32 s29, s2, 0xffff
	s_clause 0x3
	buffer_load_b128 v[23:26], v18, s[28:31], 0 offen
	buffer_load_b128 v[27:30], v18, s[28:31], 16 offen
	;; [unrolled: 1-line block ×4, first 2 shown]
	s_waitcnt vmcnt(3)
	v_dual_mul_f32 v37, v0, v23 :: v_dual_mul_f32 v38, v1, v24
	v_dual_mul_f32 v31, v2, v25 :: v_dual_mul_f32 v32, v3, v26
	s_waitcnt vmcnt(2)
	v_dual_mul_f32 v33, v4, v27 :: v_dual_mul_f32 v34, v5, v28
	s_delay_alu instid0(VALU_DEP_3) | instskip(SKIP_3) | instid1(VALU_DEP_3)
	v_max3_f32 v23, |v37|, 0x2edbe6ff, |v38|
	v_dual_mul_f32 v35, v6, v29 :: v_dual_mul_f32 v36, v7, v30
	s_waitcnt vmcnt(1)
	v_dual_mul_f32 v28, v8, v39 :: v_dual_mul_f32 v29, v9, v40
	v_max3_f32 v23, v23, |v31|, |v32|
	s_waitcnt vmcnt(0)
	v_mul_f32_e32 v26, v12, v43
	v_dual_mul_f32 v30, v13, v44 :: v_dual_mul_f32 v27, v15, v46
	v_mul_f32_e32 v24, v11, v42
	v_max3_f32 v23, v23, |v33|, |v34|
	s_delay_alu instid0(VALU_DEP_1) | instskip(SKIP_1) | instid1(VALU_DEP_2)
	v_max3_f32 v25, v23, |v35|, |v36|
	v_mul_f32_e32 v23, v10, v41
	v_max3_f32 v25, v25, |v28|, |v29|
	s_delay_alu instid0(VALU_DEP_1) | instskip(SKIP_1) | instid1(VALU_DEP_2)
	v_max3_f32 v39, v25, |v23|, |v24|
	v_mul_f32_e32 v25, v14, v45
	v_max3_f32 v39, v39, |v26|, |v30|
	s_delay_alu instid0(VALU_DEP_1) | instskip(NEXT) | instid1(VALU_DEP_1)
	v_max3_f32 v39, v39, |v25|, |v27|
	v_mov_b32_dpp v40, v39 quad_perm:[1,0,3,2] row_mask:0xf bank_mask:0xf
	s_delay_alu instid0(VALU_DEP_1) | instskip(NEXT) | instid1(VALU_DEP_1)
	v_cmp_gt_f32_e64 s2, v39, v40
	v_cndmask_b32_e64 v39, v40, v39, s2
	s_delay_alu instid0(VALU_DEP_1) | instskip(NEXT) | instid1(VALU_DEP_1)
	v_mov_b32_dpp v40, v39 quad_perm:[2,3,0,1] row_mask:0xf bank_mask:0xf
	v_cmp_gt_f32_e64 s2, v39, v40
	s_delay_alu instid0(VALU_DEP_1) | instskip(NEXT) | instid1(VALU_DEP_1)
	v_cndmask_b32_e64 v39, v40, v39, s2
	v_mov_b32_dpp v40, v39 row_xmask:7 row_mask:0xf bank_mask:0xf
	s_delay_alu instid0(VALU_DEP_1) | instskip(NEXT) | instid1(VALU_DEP_1)
	v_cmp_gt_f32_e64 s2, v39, v40
	v_cndmask_b32_e64 v39, v40, v39, s2
	s_delay_alu instid0(VALU_DEP_1) | instskip(NEXT) | instid1(VALU_DEP_1)
	v_mov_b32_dpp v40, v39 row_xmask:15 row_mask:0xf bank_mask:0xf
	v_cmp_gt_f32_e64 s2, v39, v40
	s_and_saveexec_b32 s24, vcc_lo
	s_cbranch_execz .LBB112_16
; %bb.15:
	s_delay_alu instid0(VALU_DEP_1)
	v_cndmask_b32_e64 v39, v40, v39, s2
	s_mov_b32 s2, 0x76543210
	s_delay_alu instid0(VALU_DEP_1) | instid1(SALU_CYCLE_1)
	v_permlanex16_b32 v40, v39, s2, 0xfedcba98 op_sel:[1,1]
	s_delay_alu instid0(VALU_DEP_1) | instskip(NEXT) | instid1(VALU_DEP_1)
	v_cmp_gt_f32_e64 s2, v39, v40
	v_cndmask_b32_e64 v39, v40, v39, s2
	ds_store_b32 v19, v39
.LBB112_16:
	s_or_b32 exec_lo, exec_lo, s24
	s_waitcnt lgkmcnt(0)
	s_barrier
	buffer_gl0_inv
	ds_load_b32 v40, v20
	s_abs_i32 s24, s5
	s_delay_alu instid0(SALU_CYCLE_1) | instskip(SKIP_1) | instid1(VALU_DEP_1)
	v_cvt_f32_u32_e32 v39, s24
	s_sub_i32 s27, 0, s24
	v_rcp_iflag_f32_e32 v39, v39
	s_waitcnt_depctr 0xfff
	v_mul_f32_e32 v39, 0x4f7ffffe, v39
	s_waitcnt lgkmcnt(0)
	v_mov_b32_dpp v41, v40 quad_perm:[1,0,3,2] row_mask:0xf bank_mask:0xf
	s_delay_alu instid0(VALU_DEP_2) | instskip(NEXT) | instid1(VALU_DEP_2)
	v_cvt_u32_f32_e32 v39, v39
	v_cmp_gt_f32_e64 s2, v40, v41
	s_delay_alu instid0(VALU_DEP_2) | instskip(NEXT) | instid1(VALU_DEP_2)
	v_readfirstlane_b32 s25, v39
	v_cndmask_b32_e64 v39, v41, v40, s2
	s_delay_alu instid0(VALU_DEP_2) | instskip(NEXT) | instid1(VALU_DEP_1)
	s_mul_i32 s27, s27, s25
	v_mov_b32_dpp v40, v39 quad_perm:[2,3,0,1] row_mask:0xf bank_mask:0xf
	s_mul_hi_u32 s2, s25, s27
	s_delay_alu instid0(SALU_CYCLE_1)
	s_add_i32 s25, s25, s2
	s_ashr_i32 s2, s5, 31
	s_mul_hi_u32 s25, s23, s25
	s_xor_b32 s27, s35, s2
	v_cmp_gt_f32_e64 s2, v39, v40
	s_mul_i32 s28, s25, s24
	s_delay_alu instid0(VALU_DEP_1)
	v_cndmask_b32_e64 v39, v40, v39, s2
	s_sub_i32 s2, s23, s28
	s_add_i32 s23, s25, 1
	s_sub_i32 s28, s2, s24
	s_cmp_ge_u32 s2, s24
	v_mov_b32_dpp v40, v39 row_xmask:7 row_mask:0xf bank_mask:0xf
	s_cselect_b32 s23, s23, s25
	s_cselect_b32 s2, s28, s2
	s_add_i32 s25, s23, 1
	s_cmp_ge_u32 s2, s24
	s_cselect_b32 s2, s25, s23
	s_delay_alu instid0(SALU_CYCLE_1) | instskip(SKIP_1) | instid1(VALU_DEP_1)
	s_xor_b32 s23, s2, s27
	v_cmp_gt_f32_e64 s2, v39, v40
	v_cndmask_b32_e64 v39, v40, v39, s2
	s_sub_i32 s2, s23, s27
	s_delay_alu instid0(SALU_CYCLE_1) | instskip(SKIP_4) | instid1(SALU_CYCLE_1)
	s_mul_i32 s23, s2, s5
	s_mul_i32 s2, s2, s9
	s_sub_i32 s23, s34, s23
	v_mul_f32_e32 v39, 0x3c010204, v39
	s_mul_i32 s23, s23, s10
	s_add_i32 s24, s23, s2
	s_and_saveexec_b32 s2, s0
	s_cbranch_execz .LBB112_18
; %bb.17:
	s_ashr_i32 s25, s24, 31
	v_mov_b32_e32 v40, 0
	s_lshl_b64 s[28:29], s[24:25], 2
	s_delay_alu instid0(SALU_CYCLE_1)
	s_add_u32 s28, s14, s28
	s_addc_u32 s29, s15, s29
	global_store_b32 v40, v39, s[28:29]
.LBB112_18:
	s_or_b32 exec_lo, exec_lo, s2
	s_and_saveexec_b32 s2, s1
	s_cbranch_execz .LBB112_20
; %bb.19:
	v_rcp_f32_e32 v39, v39
	s_mul_i32 s23, s24, s33
	s_mul_hi_i32 s24, s24, s33
	s_add_u32 s36, s12, s23
	s_addc_u32 s23, s13, s24
	s_mov_b32 s39, -1
	s_and_b32 s37, s23, 0xffff
	s_waitcnt_depctr 0xfff
	v_mul_f32_e32 v30, v30, v39
	v_mul_f32_e32 v26, v26, v39
	;; [unrolled: 1-line block ×5, first 2 shown]
	v_cvt_i32_f32_e32 v30, v30
	v_cvt_i32_f32_e32 v26, v26
	v_mul_f32_e32 v37, v37, v39
	v_mul_f32_e32 v25, v25, v39
	v_cvt_i32_f32_e32 v28, v28
	v_lshlrev_b16 v30, 8, v30
	v_and_b32_e32 v26, 0xff, v26
	v_cvt_i32_f32_e32 v27, v27
	v_cvt_i32_f32_e32 v25, v25
	;; [unrolled: 1-line block ×3, first 2 shown]
	v_mul_f32_e32 v38, v38, v39
	v_or_b32_e32 v26, v26, v30
	v_mul_f32_e32 v33, v33, v39
	v_dual_mul_f32 v31, v31, v39 :: v_dual_and_b32 v28, 0xff, v28
	v_lshlrev_b16 v27, 8, v27
	v_and_b32_e32 v25, 0xff, v25
	v_lshlrev_b16 v29, 8, v29
	v_mul_f32_e32 v24, v24, v39
	v_dual_mul_f32 v23, v23, v39 :: v_dual_and_b32 v26, 0xffff, v26
	v_cvt_i32_f32_e32 v33, v33
	v_mul_f32_e32 v34, v34, v39
	v_or_b32_e32 v25, v25, v27
	v_or_b32_e32 v27, v28, v29
	v_cvt_i32_f32_e32 v24, v24
	v_and_b32_e32 v29, 0xff, v33
	v_cvt_i32_f32_e32 v34, v34
	v_cvt_i32_f32_e32 v23, v23
	v_dual_mul_f32 v32, v32, v39 :: v_dual_lshlrev_b32 v25, 16, v25
	v_lshlrev_b16 v24, 8, v24
	s_delay_alu instid0(VALU_DEP_4) | instskip(NEXT) | instid1(VALU_DEP_4)
	v_lshlrev_b16 v28, 8, v34
	v_and_b32_e32 v23, 0xff, v23
	v_cvt_i32_f32_e32 v37, v37
	v_mul_f32_e32 v36, v36, v39
	v_cvt_i32_f32_e32 v38, v38
	v_cvt_i32_f32_e32 v31, v31
	v_or_b32_e32 v23, v23, v24
	v_or_b32_e32 v24, v29, v28
	v_mul_f32_e32 v35, v35, v39
	v_cvt_i32_f32_e32 v32, v32
	v_lshlrev_b16 v34, 8, v38
	v_and_b32_e32 v31, 0xff, v31
	v_and_b32_e32 v24, 0xffff, v24
	v_cvt_i32_f32_e32 v35, v35
	v_lshlrev_b16 v32, 8, v32
	v_and_b32_e32 v27, 0xffff, v27
	v_lshlrev_b32_e32 v23, 16, v23
	v_or_b32_e32 v26, v26, v25
	v_and_b32_e32 v33, 0xff, v35
	v_and_b32_e32 v35, 0xff, v37
	v_cvt_i32_f32_e32 v36, v36
	v_or_b32_e32 v25, v27, v23
	s_delay_alu instid0(VALU_DEP_3) | instskip(NEXT) | instid1(VALU_DEP_3)
	v_or_b32_e32 v29, v35, v34
	v_lshlrev_b16 v30, 8, v36
	s_delay_alu instid0(VALU_DEP_2) | instskip(NEXT) | instid1(VALU_DEP_2)
	v_and_b32_e32 v29, 0xffff, v29
	v_or_b32_e32 v28, v33, v30
	v_or_b32_e32 v30, v31, v32
	s_delay_alu instid0(VALU_DEP_2) | instskip(NEXT) | instid1(VALU_DEP_2)
	v_lshlrev_b32_e32 v28, 16, v28
	v_lshlrev_b32_e32 v30, 16, v30
	s_delay_alu instid0(VALU_DEP_2) | instskip(NEXT) | instid1(VALU_DEP_2)
	v_or_b32_e32 v24, v24, v28
	v_or_b32_e32 v23, v29, v30
	buffer_store_b128 v[23:26], v21, s[36:39], 0 offen
	;;#ASMSTART
	s_nop 0
	;;#ASMEND
.LBB112_20:
	s_or_b32 exec_lo, exec_lo, s2
	s_cmp_eq_u32 s4, 1
	s_mov_b32 s35, 1
	s_cbranch_scc1 .LBB112_35
.LBB112_21:
	s_abs_i32 s43, s5
	s_ashr_i32 s44, s5, 31
	v_cvt_f32_u32_e32 v23, s43
	s_sub_i32 s23, 0, s43
	s_mov_b32 s31, -1
	s_mov_b32 s46, 0x76543210
	v_add_nc_u32_e32 v22, 4, v22
	v_rcp_iflag_f32_e32 v23, v23
	s_waitcnt_depctr 0xfff
	v_mul_f32_e32 v23, 0x4f7ffffe, v23
	s_delay_alu instid0(VALU_DEP_1) | instskip(NEXT) | instid1(VALU_DEP_1)
	v_cvt_u32_f32_e32 v23, v23
	v_readfirstlane_b32 s2, v23
	v_mov_b32_e32 v23, 0
	s_delay_alu instid0(VALU_DEP_2) | instskip(NEXT) | instid1(SALU_CYCLE_1)
	s_mul_i32 s23, s23, s2
	s_mul_hi_u32 s23, s2, s23
	s_delay_alu instid0(SALU_CYCLE_1)
	s_add_i32 s45, s2, s23
	s_branch .LBB112_24
.LBB112_22:                             ;   in Loop: Header=BB112_24 Depth=1
	s_or_b32 exec_lo, exec_lo, s2
.LBB112_23:                             ;   in Loop: Header=BB112_24 Depth=1
	v_add_nc_u32_e32 v22, 4, v22
	s_add_i32 s35, s35, 1
	s_delay_alu instid0(SALU_CYCLE_1)
	s_cmp_eq_u32 s4, s35
	s_cbranch_scc1 .LBB112_35
.LBB112_24:                             ; =>This Inner Loop Header: Depth=1
	s_and_b32 s2, s35, 31
	s_delay_alu instid0(SALU_CYCLE_1)
	s_cmp_lg_u32 s2, 0
	s_cbranch_scc1 .LBB112_26
; %bb.25:                               ;   in Loop: Header=BB112_24 Depth=1
	s_mov_b32 s23, s31
	buffer_load_b32 v16, v22, s[20:23], 0 offen
	s_waitcnt vmcnt(3) expcnt(0) lgkmcnt(55)
.LBB112_26:                             ;   in Loop: Header=BB112_24 Depth=1
	s_waitcnt vmcnt(0)
	v_readlane_b32 s2, v16, s2
	s_delay_alu instid0(VALU_DEP_1)
	s_cmp_lt_i32 s2, 0
	s_cbranch_scc1 .LBB112_23
; %bb.27:                               ;   in Loop: Header=BB112_24 Depth=1
	s_add_i32 s23, s34, s35
	s_delay_alu instid0(SALU_CYCLE_1)
	s_abs_i32 s36, s23
	s_ashr_i32 s37, s23, 31
	s_mul_hi_u32 s24, s36, s41
	s_xor_b32 s27, s37, s40
	s_mul_i32 s25, s24, s11
	s_add_i32 s28, s24, 1
	s_sub_i32 s25, s36, s25
	s_delay_alu instid0(SALU_CYCLE_1)
	s_sub_i32 s29, s25, s11
	s_cmp_ge_u32 s25, s11
	s_cselect_b32 s24, s28, s24
	s_cselect_b32 s25, s29, s25
	s_add_i32 s28, s24, 1
	s_cmp_ge_u32 s25, s11
	s_cselect_b32 s24, s28, s24
	s_delay_alu instid0(SALU_CYCLE_1) | instskip(NEXT) | instid1(SALU_CYCLE_1)
	s_xor_b32 s24, s24, s27
	s_sub_i32 s24, s24, s27
	s_delay_alu instid0(SALU_CYCLE_1) | instskip(SKIP_2) | instid1(SALU_CYCLE_1)
	s_mul_i32 s25, s24, s6
	s_mul_i32 s24, s24, s7
	s_sub_i32 s25, s23, s25
	s_mul_i32 s28, s25, s8
	s_delay_alu instid0(SALU_CYCLE_1) | instskip(NEXT) | instid1(SALU_CYCLE_1)
	s_add_i32 s28, s28, s24
	s_cmp_eq_u32 s28, s42
	s_cbranch_scc1 .LBB112_29
; %bb.28:                               ;   in Loop: Header=BB112_24 Depth=1
	s_mul_hi_i32 s25, s28, s33
	s_mul_i32 s24, s28, s33
	s_mov_b32 s27, s31
	s_lshl_b64 s[24:25], s[24:25], 1
	s_mov_b32 s42, s28
	s_add_u32 s24, s16, s24
	s_addc_u32 s25, s17, s25
	s_delay_alu instid0(SALU_CYCLE_1)
	s_and_b32 s25, s25, 0xffff
	s_clause 0x1
	buffer_load_b128 v[4:7], v17, s[24:27], 0 offen
	buffer_load_b128 v[12:15], v17, s[24:27], 16 offen
	s_waitcnt vmcnt(1)
	v_cvt_f32_f16_e32 v0, v4
	v_lshrrev_b32_e32 v1, 16, v4
	v_cvt_f32_f16_e32 v2, v5
	v_lshrrev_b32_e32 v3, 16, v5
	;; [unrolled: 2-line block ×4, first 2 shown]
	s_waitcnt vmcnt(0)
	v_cvt_f32_f16_e32 v8, v12
	v_lshrrev_b32_e32 v9, 16, v12
	v_cvt_f32_f16_e32 v10, v13
	v_lshrrev_b32_e32 v11, 16, v13
	;; [unrolled: 2-line block ×4, first 2 shown]
	v_cvt_f32_f16_e32 v1, v1
	v_cvt_f32_f16_e32 v3, v3
	;; [unrolled: 1-line block ×8, first 2 shown]
.LBB112_29:                             ;   in Loop: Header=BB112_24 Depth=1
	s_mul_i32 s24, s2, s3
	s_delay_alu instid0(SALU_CYCLE_1) | instskip(NEXT) | instid1(SALU_CYCLE_1)
	s_ashr_i32 s25, s24, 31
	s_lshl_b64 s[24:25], s[24:25], 2
	s_delay_alu instid0(SALU_CYCLE_1) | instskip(SKIP_1) | instid1(SALU_CYCLE_1)
	s_add_u32 s28, s18, s24
	s_addc_u32 s2, s19, s25
	s_and_b32 s29, s2, 0xffff
	s_clause 0x3
	buffer_load_b128 v[24:27], v18, s[28:31], 0 offen
	buffer_load_b128 v[28:31], v18, s[28:31], 16 offen
	;; [unrolled: 1-line block ×4, first 2 shown]
	s_waitcnt vmcnt(3)
	v_dual_mul_f32 v38, v0, v24 :: v_dual_mul_f32 v39, v1, v25
	v_dual_mul_f32 v32, v2, v26 :: v_dual_mul_f32 v33, v3, v27
	s_waitcnt vmcnt(2)
	v_dual_mul_f32 v34, v4, v28 :: v_dual_mul_f32 v35, v5, v29
	s_delay_alu instid0(VALU_DEP_3) | instskip(SKIP_3) | instid1(VALU_DEP_3)
	v_max3_f32 v24, |v38|, 0x2edbe6ff, |v39|
	v_dual_mul_f32 v36, v6, v30 :: v_dual_mul_f32 v37, v7, v31
	s_waitcnt vmcnt(1)
	v_dual_mul_f32 v29, v8, v40 :: v_dual_mul_f32 v30, v9, v41
	v_max3_f32 v24, v24, |v32|, |v33|
	s_waitcnt vmcnt(0)
	v_mul_f32_e32 v27, v12, v44
	v_dual_mul_f32 v31, v13, v45 :: v_dual_mul_f32 v28, v15, v47
	v_mul_f32_e32 v25, v11, v43
	v_max3_f32 v24, v24, |v34|, |v35|
	s_delay_alu instid0(VALU_DEP_1) | instskip(SKIP_1) | instid1(VALU_DEP_2)
	v_max3_f32 v26, v24, |v36|, |v37|
	v_mul_f32_e32 v24, v10, v42
	v_max3_f32 v26, v26, |v29|, |v30|
	s_delay_alu instid0(VALU_DEP_1) | instskip(SKIP_1) | instid1(VALU_DEP_2)
	v_max3_f32 v40, v26, |v24|, |v25|
	v_mul_f32_e32 v26, v14, v46
	v_max3_f32 v40, v40, |v27|, |v31|
	s_delay_alu instid0(VALU_DEP_1) | instskip(NEXT) | instid1(VALU_DEP_1)
	v_max3_f32 v40, v40, |v26|, |v28|
	v_mov_b32_dpp v41, v40 quad_perm:[1,0,3,2] row_mask:0xf bank_mask:0xf
	s_delay_alu instid0(VALU_DEP_1) | instskip(NEXT) | instid1(VALU_DEP_1)
	v_cmp_gt_f32_e64 s2, v40, v41
	v_cndmask_b32_e64 v40, v41, v40, s2
	s_delay_alu instid0(VALU_DEP_1) | instskip(NEXT) | instid1(VALU_DEP_1)
	v_mov_b32_dpp v41, v40 quad_perm:[2,3,0,1] row_mask:0xf bank_mask:0xf
	v_cmp_gt_f32_e64 s2, v40, v41
	s_delay_alu instid0(VALU_DEP_1) | instskip(NEXT) | instid1(VALU_DEP_1)
	v_cndmask_b32_e64 v40, v41, v40, s2
	v_mov_b32_dpp v41, v40 row_xmask:7 row_mask:0xf bank_mask:0xf
	s_delay_alu instid0(VALU_DEP_1) | instskip(NEXT) | instid1(VALU_DEP_1)
	v_cmp_gt_f32_e64 s2, v40, v41
	v_cndmask_b32_e64 v40, v41, v40, s2
	s_delay_alu instid0(VALU_DEP_1) | instskip(NEXT) | instid1(VALU_DEP_1)
	v_mov_b32_dpp v41, v40 row_xmask:15 row_mask:0xf bank_mask:0xf
	v_cmp_gt_f32_e64 s2, v40, v41
	s_and_saveexec_b32 s24, vcc_lo
	s_cbranch_execz .LBB112_31
; %bb.30:                               ;   in Loop: Header=BB112_24 Depth=1
	s_delay_alu instid0(VALU_DEP_1) | instskip(NEXT) | instid1(VALU_DEP_1)
	v_cndmask_b32_e64 v40, v41, v40, s2
	v_permlanex16_b32 v41, v40, s46, 0xfedcba98 op_sel:[1,1]
	s_delay_alu instid0(VALU_DEP_1) | instskip(NEXT) | instid1(VALU_DEP_1)
	v_cmp_gt_f32_e64 s2, v40, v41
	v_cndmask_b32_e64 v40, v41, v40, s2
	ds_store_b32 v19, v40
.LBB112_31:                             ;   in Loop: Header=BB112_24 Depth=1
	s_or_b32 exec_lo, exec_lo, s24
	s_waitcnt lgkmcnt(0)
	s_waitcnt_vscnt null, 0x0
	s_barrier
	buffer_gl0_inv
	ds_load_b32 v40, v20
	s_mul_hi_u32 s24, s36, s45
	s_xor_b32 s27, s37, s44
	s_mul_i32 s25, s24, s43
	s_waitcnt lgkmcnt(0)
	v_mov_b32_dpp v41, v40 quad_perm:[1,0,3,2] row_mask:0xf bank_mask:0xf
	s_delay_alu instid0(VALU_DEP_1) | instskip(NEXT) | instid1(VALU_DEP_1)
	v_cmp_gt_f32_e64 s2, v40, v41
	v_cndmask_b32_e64 v40, v41, v40, s2
	s_sub_i32 s2, s36, s25
	s_add_i32 s25, s24, 1
	s_sub_i32 s28, s2, s43
	s_cmp_ge_u32 s2, s43
	v_mov_b32_dpp v41, v40 quad_perm:[2,3,0,1] row_mask:0xf bank_mask:0xf
	s_cselect_b32 s24, s25, s24
	s_cselect_b32 s25, s28, s2
	s_delay_alu instid0(VALU_DEP_1) | instskip(NEXT) | instid1(VALU_DEP_1)
	v_cmp_gt_f32_e64 s2, v40, v41
	v_cndmask_b32_e64 v40, v41, v40, s2
	s_add_i32 s2, s24, 1
	s_cmp_ge_u32 s25, s43
	s_cselect_b32 s2, s2, s24
	s_delay_alu instid0(VALU_DEP_1) | instskip(SKIP_1) | instid1(SALU_CYCLE_1)
	v_mov_b32_dpp v41, v40 row_xmask:7 row_mask:0xf bank_mask:0xf
	s_xor_b32 s2, s2, s27
	s_sub_i32 s24, s2, s27
	s_delay_alu instid0(VALU_DEP_1) | instskip(NEXT) | instid1(VALU_DEP_1)
	v_cmp_gt_f32_e64 s2, v40, v41
	v_cndmask_b32_e64 v40, v41, v40, s2
	s_mul_i32 s2, s24, s5
	s_mul_i32 s24, s24, s9
	s_sub_i32 s2, s23, s2
	s_delay_alu instid0(VALU_DEP_1) | instskip(SKIP_1) | instid1(SALU_CYCLE_1)
	v_mul_f32_e32 v40, 0x3c010204, v40
	s_mul_i32 s2, s2, s10
	s_add_i32 s24, s2, s24
	s_and_saveexec_b32 s2, s0
	s_cbranch_execz .LBB112_33
; %bb.32:                               ;   in Loop: Header=BB112_24 Depth=1
	s_ashr_i32 s25, s24, 31
	s_delay_alu instid0(SALU_CYCLE_1) | instskip(NEXT) | instid1(SALU_CYCLE_1)
	s_lshl_b64 s[28:29], s[24:25], 2
	s_add_u32 s28, s14, s28
	s_addc_u32 s29, s15, s29
	global_store_b32 v23, v40, s[28:29]
.LBB112_33:                             ;   in Loop: Header=BB112_24 Depth=1
	s_or_b32 exec_lo, exec_lo, s2
	s_and_saveexec_b32 s2, s1
	s_cbranch_execz .LBB112_22
; %bb.34:                               ;   in Loop: Header=BB112_24 Depth=1
	v_rcp_f32_e32 v40, v40
	s_mul_i32 s23, s24, s33
	s_mul_hi_i32 s24, s24, s33
	s_add_u32 s36, s12, s23
	s_addc_u32 s23, s13, s24
	s_mov_b32 s39, s31
	s_and_b32 s37, s23, 0xffff
	s_waitcnt_depctr 0xfff
	v_mul_f32_e32 v31, v31, v40
	v_mul_f32_e32 v27, v27, v40
	;; [unrolled: 1-line block ×5, first 2 shown]
	v_cvt_i32_f32_e32 v31, v31
	v_cvt_i32_f32_e32 v27, v27
	v_mul_f32_e32 v38, v38, v40
	v_mul_f32_e32 v26, v26, v40
	v_cvt_i32_f32_e32 v29, v29
	v_lshlrev_b16 v31, 8, v31
	v_and_b32_e32 v27, 0xff, v27
	v_cvt_i32_f32_e32 v28, v28
	v_cvt_i32_f32_e32 v26, v26
	;; [unrolled: 1-line block ×3, first 2 shown]
	v_mul_f32_e32 v39, v39, v40
	v_or_b32_e32 v27, v27, v31
	v_mul_f32_e32 v34, v34, v40
	v_dual_mul_f32 v32, v32, v40 :: v_dual_and_b32 v29, 0xff, v29
	v_lshlrev_b16 v28, 8, v28
	v_and_b32_e32 v26, 0xff, v26
	v_lshlrev_b16 v30, 8, v30
	v_mul_f32_e32 v25, v25, v40
	v_dual_mul_f32 v24, v24, v40 :: v_dual_and_b32 v27, 0xffff, v27
	v_cvt_i32_f32_e32 v34, v34
	v_mul_f32_e32 v35, v35, v40
	v_or_b32_e32 v26, v26, v28
	v_or_b32_e32 v28, v29, v30
	v_cvt_i32_f32_e32 v25, v25
	v_and_b32_e32 v30, 0xff, v34
	v_cvt_i32_f32_e32 v35, v35
	v_cvt_i32_f32_e32 v24, v24
	v_dual_mul_f32 v33, v33, v40 :: v_dual_lshlrev_b32 v26, 16, v26
	v_lshlrev_b16 v25, 8, v25
	s_delay_alu instid0(VALU_DEP_4) | instskip(NEXT) | instid1(VALU_DEP_4)
	v_lshlrev_b16 v29, 8, v35
	v_and_b32_e32 v24, 0xff, v24
	v_cvt_i32_f32_e32 v38, v38
	v_mul_f32_e32 v37, v37, v40
	v_cvt_i32_f32_e32 v39, v39
	v_cvt_i32_f32_e32 v32, v32
	v_or_b32_e32 v24, v24, v25
	v_or_b32_e32 v25, v30, v29
	v_mul_f32_e32 v36, v36, v40
	v_cvt_i32_f32_e32 v33, v33
	v_lshlrev_b16 v35, 8, v39
	v_and_b32_e32 v32, 0xff, v32
	v_and_b32_e32 v25, 0xffff, v25
	v_cvt_i32_f32_e32 v36, v36
	v_lshlrev_b16 v33, 8, v33
	v_and_b32_e32 v28, 0xffff, v28
	v_lshlrev_b32_e32 v24, 16, v24
	v_or_b32_e32 v27, v27, v26
	v_and_b32_e32 v34, 0xff, v36
	v_and_b32_e32 v36, 0xff, v38
	v_cvt_i32_f32_e32 v37, v37
	v_or_b32_e32 v26, v28, v24
	s_delay_alu instid0(VALU_DEP_3) | instskip(NEXT) | instid1(VALU_DEP_3)
	v_or_b32_e32 v30, v36, v35
	v_lshlrev_b16 v31, 8, v37
	s_delay_alu instid0(VALU_DEP_2) | instskip(NEXT) | instid1(VALU_DEP_2)
	v_and_b32_e32 v30, 0xffff, v30
	v_or_b32_e32 v29, v34, v31
	v_or_b32_e32 v31, v32, v33
	s_delay_alu instid0(VALU_DEP_2) | instskip(NEXT) | instid1(VALU_DEP_2)
	v_lshlrev_b32_e32 v29, 16, v29
	v_lshlrev_b32_e32 v31, 16, v31
	s_delay_alu instid0(VALU_DEP_2) | instskip(NEXT) | instid1(VALU_DEP_2)
	v_or_b32_e32 v25, v25, v29
	v_or_b32_e32 v24, v30, v31
	buffer_store_b128 v[24:27], v21, s[36:39], 0 offen
	;;#ASMSTART
	s_nop 0
	;;#ASMEND
	s_branch .LBB112_22
.LBB112_35:
	s_nop 0
	s_sendmsg sendmsg(MSG_DEALLOC_VGPRS)
	s_endpgm
	.section	.rodata,"a",@progbits
	.p2align	6, 0x0
	.amdhsa_kernel _ZN5aiter36smooth_per_token_scaled_quant_kernelIDF16_aLi256ELi16ELb1ELb1ELb0ELi1024EEEvPT0_PfPT_S3_PiS6_iiPKiiiiiiiii
		.amdhsa_group_segment_fixed_size 32
		.amdhsa_private_segment_fixed_size 0
		.amdhsa_kernarg_size 96
		.amdhsa_user_sgpr_count 15
		.amdhsa_user_sgpr_dispatch_ptr 0
		.amdhsa_user_sgpr_queue_ptr 0
		.amdhsa_user_sgpr_kernarg_segment_ptr 1
		.amdhsa_user_sgpr_dispatch_id 0
		.amdhsa_user_sgpr_private_segment_size 0
		.amdhsa_wavefront_size32 1
		.amdhsa_uses_dynamic_stack 0
		.amdhsa_enable_private_segment 0
		.amdhsa_system_sgpr_workgroup_id_x 1
		.amdhsa_system_sgpr_workgroup_id_y 0
		.amdhsa_system_sgpr_workgroup_id_z 0
		.amdhsa_system_sgpr_workgroup_info 0
		.amdhsa_system_vgpr_workitem_id 0
		.amdhsa_next_free_vgpr 48
		.amdhsa_next_free_sgpr 47
		.amdhsa_reserve_vcc 1
		.amdhsa_float_round_mode_32 0
		.amdhsa_float_round_mode_16_64 0
		.amdhsa_float_denorm_mode_32 3
		.amdhsa_float_denorm_mode_16_64 3
		.amdhsa_dx10_clamp 1
		.amdhsa_ieee_mode 1
		.amdhsa_fp16_overflow 0
		.amdhsa_workgroup_processor_mode 1
		.amdhsa_memory_ordered 1
		.amdhsa_forward_progress 0
		.amdhsa_shared_vgpr_count 0
		.amdhsa_exception_fp_ieee_invalid_op 0
		.amdhsa_exception_fp_denorm_src 0
		.amdhsa_exception_fp_ieee_div_zero 0
		.amdhsa_exception_fp_ieee_overflow 0
		.amdhsa_exception_fp_ieee_underflow 0
		.amdhsa_exception_fp_ieee_inexact 0
		.amdhsa_exception_int_div_zero 0
	.end_amdhsa_kernel
	.section	.text._ZN5aiter36smooth_per_token_scaled_quant_kernelIDF16_aLi256ELi16ELb1ELb1ELb0ELi1024EEEvPT0_PfPT_S3_PiS6_iiPKiiiiiiiii,"axG",@progbits,_ZN5aiter36smooth_per_token_scaled_quant_kernelIDF16_aLi256ELi16ELb1ELb1ELb0ELi1024EEEvPT0_PfPT_S3_PiS6_iiPKiiiiiiiii,comdat
.Lfunc_end112:
	.size	_ZN5aiter36smooth_per_token_scaled_quant_kernelIDF16_aLi256ELi16ELb1ELb1ELb0ELi1024EEEvPT0_PfPT_S3_PiS6_iiPKiiiiiiiii, .Lfunc_end112-_ZN5aiter36smooth_per_token_scaled_quant_kernelIDF16_aLi256ELi16ELb1ELb1ELb0ELi1024EEEvPT0_PfPT_S3_PiS6_iiPKiiiiiiiii
                                        ; -- End function
	.section	.AMDGPU.csdata,"",@progbits
; Kernel info:
; codeLenInByte = 3624
; NumSgprs: 49
; NumVgprs: 48
; ScratchSize: 0
; MemoryBound: 0
; FloatMode: 240
; IeeeMode: 1
; LDSByteSize: 32 bytes/workgroup (compile time only)
; SGPRBlocks: 6
; VGPRBlocks: 5
; NumSGPRsForWavesPerEU: 49
; NumVGPRsForWavesPerEU: 48
; Occupancy: 16
; WaveLimiterHint : 0
; COMPUTE_PGM_RSRC2:SCRATCH_EN: 0
; COMPUTE_PGM_RSRC2:USER_SGPR: 15
; COMPUTE_PGM_RSRC2:TRAP_HANDLER: 0
; COMPUTE_PGM_RSRC2:TGID_X_EN: 1
; COMPUTE_PGM_RSRC2:TGID_Y_EN: 0
; COMPUTE_PGM_RSRC2:TGID_Z_EN: 0
; COMPUTE_PGM_RSRC2:TIDIG_COMP_CNT: 0
	.section	.text._ZN5aiter36smooth_per_token_scaled_quant_kernelItaLi256ELi16ELb1ELb1ELb0ELi1024EEEvPT0_PfPT_S3_PiS6_iiPKiiiiiiiii,"axG",@progbits,_ZN5aiter36smooth_per_token_scaled_quant_kernelItaLi256ELi16ELb1ELb1ELb0ELi1024EEEvPT0_PfPT_S3_PiS6_iiPKiiiiiiiii,comdat
	.protected	_ZN5aiter36smooth_per_token_scaled_quant_kernelItaLi256ELi16ELb1ELb1ELb0ELi1024EEEvPT0_PfPT_S3_PiS6_iiPKiiiiiiiii ; -- Begin function _ZN5aiter36smooth_per_token_scaled_quant_kernelItaLi256ELi16ELb1ELb1ELb0ELi1024EEEvPT0_PfPT_S3_PiS6_iiPKiiiiiiiii
	.globl	_ZN5aiter36smooth_per_token_scaled_quant_kernelItaLi256ELi16ELb1ELb1ELb0ELi1024EEEvPT0_PfPT_S3_PiS6_iiPKiiiiiiiii
	.p2align	8
	.type	_ZN5aiter36smooth_per_token_scaled_quant_kernelItaLi256ELi16ELb1ELb1ELb0ELi1024EEEvPT0_PfPT_S3_PiS6_iiPKiiiiiiiii,@function
_ZN5aiter36smooth_per_token_scaled_quant_kernelItaLi256ELi16ELb1ELb1ELb0ELi1024EEEvPT0_PfPT_S3_PiS6_iiPKiiiiiiiii: ; @_ZN5aiter36smooth_per_token_scaled_quant_kernelItaLi256ELi16ELb1ELb1ELb0ELi1024EEEvPT0_PfPT_S3_PiS6_iiPKiiiiiiiii
; %bb.0:
	s_clause 0x1
	s_load_b64 s[2:3], s[0:1], 0x38
	s_load_b256 s[4:11], s[0:1], 0x40
	s_waitcnt lgkmcnt(0)
	s_cmp_lg_u64 s[2:3], 0
	s_cbranch_scc0 .LBB113_11
; %bb.1:
	s_load_b32 s2, s[2:3], 0x0
	s_waitcnt lgkmcnt(0)
	s_mul_i32 s4, s2, s4
	s_cbranch_execnz .LBB113_3
.LBB113_2:
	s_mul_i32 s4, s6, s5
.LBB113_3:
	s_load_b64 s[2:3], s[0:1], 0x30
	s_abs_i32 s14, s4
	s_waitcnt lgkmcnt(0)
	s_abs_i32 s11, s2
	s_delay_alu instid0(SALU_CYCLE_1) | instskip(SKIP_1) | instid1(VALU_DEP_1)
	v_cvt_f32_u32_e32 v1, s11
	s_sub_i32 s13, 0, s11
	v_rcp_iflag_f32_e32 v1, v1
	s_waitcnt_depctr 0xfff
	v_mul_f32_e32 v1, 0x4f7ffffe, v1
	s_delay_alu instid0(VALU_DEP_1) | instskip(NEXT) | instid1(VALU_DEP_1)
	v_cvt_u32_f32_e32 v1, v1
	v_readfirstlane_b32 s12, v1
	s_delay_alu instid0(VALU_DEP_1) | instskip(NEXT) | instid1(SALU_CYCLE_1)
	s_mul_i32 s13, s13, s12
	s_mul_hi_u32 s13, s12, s13
	s_delay_alu instid0(SALU_CYCLE_1) | instskip(SKIP_4) | instid1(SALU_CYCLE_1)
	s_add_i32 s12, s12, s13
	s_xor_b32 s13, s4, s2
	s_mul_hi_u32 s12, s14, s12
	s_ashr_i32 s13, s13, 31
	s_mul_i32 s16, s12, s11
	s_sub_i32 s14, s14, s16
	s_add_i32 s16, s12, 1
	s_sub_i32 s17, s14, s11
	s_cmp_ge_u32 s14, s11
	s_cselect_b32 s12, s16, s12
	s_cselect_b32 s14, s17, s14
	s_add_i32 s16, s12, 1
	s_cmp_ge_u32 s14, s11
	s_cselect_b32 s11, s16, s12
	s_mov_b32 s12, 0
	s_xor_b32 s11, s11, s13
	s_delay_alu instid0(SALU_CYCLE_1) | instskip(NEXT) | instid1(SALU_CYCLE_1)
	s_sub_i32 s11, s11, s13
	s_mul_i32 s2, s11, s2
	s_delay_alu instid0(SALU_CYCLE_1) | instskip(NEXT) | instid1(SALU_CYCLE_1)
	s_sub_i32 s13, s4, s2
	s_cmp_lt_u32 s15, s13
	s_cselect_b32 s2, -1, 0
	s_add_i32 s4, s11, 1
	s_cmp_ge_u32 s15, s13
	s_cbranch_scc0 .LBB113_5
; %bb.4:
	s_sub_i32 s14, s15, s13
	s_mul_i32 s13, s13, s4
	s_mul_i32 s14, s14, s11
	s_delay_alu instid0(SALU_CYCLE_1)
	s_add_i32 s34, s14, s13
	s_and_not1_b32 vcc_lo, exec_lo, s12
	s_cbranch_vccz .LBB113_6
	s_branch .LBB113_7
.LBB113_5:
                                        ; implicit-def: $sgpr34
.LBB113_6:
	s_mul_i32 s34, s4, s15
.LBB113_7:
	v_cndmask_b32_e64 v1, 0, 1, s2
	s_delay_alu instid0(VALU_DEP_1) | instskip(NEXT) | instid1(VALU_DEP_1)
	v_readfirstlane_b32 s2, v1
	s_add_i32 s4, s11, s2
	s_delay_alu instid0(SALU_CYCLE_1)
	s_cmp_lt_i32 s4, 1
	s_cbranch_scc1 .LBB113_35
; %bb.8:
	s_load_b64 s[12:13], s[0:1], 0x20
	s_ashr_i32 s35, s34, 31
	v_and_b32_e32 v1, 31, v0
	s_lshl_b64 s[14:15], s[34:35], 2
	s_mov_b32 s42, -1
	v_lshrrev_b32_e32 v3, 3, v0
	s_mov_b32 s23, s42
	v_cmp_eq_u32_e32 vcc_lo, 31, v1
	v_and_b32_e32 v4, 7, v0
	v_lshlrev_b32_e32 v17, 5, v0
	v_lshlrev_b32_e32 v18, 6, v0
	v_and_b32_e32 v19, 0x7c, v3
	v_lshlrev_b32_e32 v21, 4, v0
	v_lshlrev_b32_e32 v20, 2, v4
	s_mov_b32 s33, s3
	s_waitcnt lgkmcnt(0)
	s_add_u32 s20, s12, s14
	s_addc_u32 s2, s13, s15
	s_abs_i32 s11, s6
	s_lshl_b32 s22, s4, 2
	v_cvt_f32_u32_e32 v2, s11
	s_and_b32 s21, s2, 0xffff
	s_load_b256 s[12:19], s[0:1], 0x0
	s_add_i32 s1, s3, 15
	v_cmp_eq_u32_e64 s0, 0, v0
	v_rcp_iflag_f32_e32 v2, v2
	v_lshlrev_b32_e32 v22, 2, v1
	s_ashr_i32 s2, s1, 31
	s_lshl_b32 s26, s3, 1
	s_lshr_b32 s2, s2, 28
	s_lshl_b32 s30, s3, 2
	s_add_i32 s1, s1, s2
	s_ashr_i32 s40, s6, 31
	s_ashr_i32 s1, s1, 4
	s_waitcnt_depctr 0xfff
	v_mul_f32_e32 v1, 0x4f7ffffe, v2
	buffer_load_b32 v16, v22, s[20:23], 0 offen
	s_add_i32 s23, s3, 3
	v_cmp_gt_u32_e64 s1, s1, v0
	s_ashr_i32 s2, s23, 31
	v_cvt_u32_f32_e32 v1, v1
	s_lshr_b32 s2, s2, 30
	s_waitcnt vmcnt(3) expcnt(0) lgkmcnt(55)
	s_add_i32 s23, s23, s2
	s_sub_i32 s2, 0, s11
	v_readfirstlane_b32 s41, v1
	s_and_b32 s38, s23, -4
	s_waitcnt vmcnt(0) lgkmcnt(0)
	s_barrier
	buffer_gl0_inv
	s_mul_i32 s23, s2, s41
	s_delay_alu instid0(SALU_CYCLE_1) | instskip(NEXT) | instid1(SALU_CYCLE_1)
	s_mul_hi_u32 s23, s41, s23
	s_add_i32 s41, s41, s23
	v_readlane_b32 s2, v16, 0
	s_delay_alu instid0(VALU_DEP_1)
	s_cmp_lt_i32 s2, 0
	s_cbranch_scc1 .LBB113_12
; %bb.9:
	s_abs_i32 s23, s34
	s_xor_b32 s27, s35, s40
	s_mul_hi_u32 s24, s23, s41
	s_mov_b32 s31, -1
	s_mul_i32 s25, s24, s11
	s_add_i32 s28, s24, 1
	s_sub_i32 s25, s23, s25
	s_delay_alu instid0(SALU_CYCLE_1)
	s_sub_i32 s29, s25, s11
	s_cmp_ge_u32 s25, s11
	s_cselect_b32 s24, s28, s24
	s_cselect_b32 s25, s29, s25
	s_add_i32 s28, s24, 1
	s_cmp_ge_u32 s25, s11
	s_cselect_b32 s24, s28, s24
	s_delay_alu instid0(SALU_CYCLE_1) | instskip(NEXT) | instid1(SALU_CYCLE_1)
	s_xor_b32 s24, s24, s27
	s_sub_i32 s24, s24, s27
	s_delay_alu instid0(SALU_CYCLE_1) | instskip(SKIP_2) | instid1(SALU_CYCLE_1)
	s_mul_i32 s25, s24, s6
	s_mul_i32 s24, s24, s7
	s_sub_i32 s25, s34, s25
	s_mul_i32 s25, s25, s8
	s_delay_alu instid0(SALU_CYCLE_1) | instskip(NEXT) | instid1(SALU_CYCLE_1)
	s_add_i32 s42, s25, s24
	s_cmp_eq_u32 s42, -1
	s_cbranch_scc1 .LBB113_13
; %bb.10:
	s_mul_hi_i32 s25, s42, s33
	s_mul_i32 s24, s42, s33
	s_mov_b32 s27, s31
	s_lshl_b64 s[24:25], s[24:25], 1
	s_delay_alu instid0(SALU_CYCLE_1) | instskip(SKIP_1) | instid1(SALU_CYCLE_1)
	s_add_u32 s24, s16, s24
	s_addc_u32 s25, s17, s25
	s_and_b32 s25, s25, 0xffff
	s_clause 0x1
	buffer_load_b128 v[0:3], v17, s[24:27], 0 offen
	buffer_load_b128 v[4:7], v17, s[24:27], 16 offen
	s_waitcnt vmcnt(1)
	v_lshrrev_b32_e32 v8, 16, v0
	v_and_b32_e32 v0, 0xffff, v0
	v_lshrrev_b32_e32 v9, 16, v1
	v_and_b32_e32 v10, 0xffff, v1
	;; [unrolled: 2-line block ×4, first 2 shown]
	s_waitcnt vmcnt(0)
	v_lshrrev_b32_e32 v15, 16, v4
	v_and_b32_e32 v23, 0xffff, v4
	v_lshrrev_b32_e32 v24, 16, v5
	v_and_b32_e32 v25, 0xffff, v5
	;; [unrolled: 2-line block ×4, first 2 shown]
	v_cvt_f32_u32_e32 v1, v8
	v_cvt_f32_u32_e32 v0, v0
	;; [unrolled: 1-line block ×16, first 2 shown]
	s_branch .LBB113_14
.LBB113_11:
                                        ; implicit-def: $sgpr4
	s_branch .LBB113_2
.LBB113_12:
                                        ; implicit-def: $vgpr0_vgpr1_vgpr2_vgpr3_vgpr4_vgpr5_vgpr6_vgpr7_vgpr8_vgpr9_vgpr10_vgpr11_vgpr12_vgpr13_vgpr14_vgpr15
	s_cmp_eq_u32 s4, 1
	s_mov_b32 s35, 1
	s_cbranch_scc0 .LBB113_21
	s_branch .LBB113_35
.LBB113_13:
                                        ; implicit-def: $vgpr0_vgpr1_vgpr2_vgpr3_vgpr4_vgpr5_vgpr6_vgpr7_vgpr8_vgpr9_vgpr10_vgpr11_vgpr12_vgpr13_vgpr14_vgpr15
.LBB113_14:
	s_mul_i32 s24, s2, s3
	s_delay_alu instid0(SALU_CYCLE_1) | instskip(NEXT) | instid1(SALU_CYCLE_1)
	s_ashr_i32 s25, s24, 31
	s_lshl_b64 s[24:25], s[24:25], 2
	s_delay_alu instid0(SALU_CYCLE_1) | instskip(SKIP_1) | instid1(SALU_CYCLE_1)
	s_add_u32 s28, s18, s24
	s_addc_u32 s2, s19, s25
	s_and_b32 s29, s2, 0xffff
	s_clause 0x3
	buffer_load_b128 v[23:26], v18, s[28:31], 0 offen
	buffer_load_b128 v[27:30], v18, s[28:31], 16 offen
	;; [unrolled: 1-line block ×4, first 2 shown]
	s_waitcnt vmcnt(3)
	v_dual_mul_f32 v37, v0, v23 :: v_dual_mul_f32 v38, v1, v24
	v_dual_mul_f32 v31, v2, v25 :: v_dual_mul_f32 v32, v3, v26
	s_waitcnt vmcnt(2)
	v_dual_mul_f32 v33, v4, v27 :: v_dual_mul_f32 v34, v5, v28
	s_delay_alu instid0(VALU_DEP_3) | instskip(SKIP_3) | instid1(VALU_DEP_3)
	v_max3_f32 v23, |v37|, 0x2edbe6ff, |v38|
	v_dual_mul_f32 v35, v6, v29 :: v_dual_mul_f32 v36, v7, v30
	s_waitcnt vmcnt(1)
	v_dual_mul_f32 v28, v8, v39 :: v_dual_mul_f32 v29, v9, v40
	v_max3_f32 v23, v23, |v31|, |v32|
	s_waitcnt vmcnt(0)
	v_mul_f32_e32 v26, v12, v43
	v_dual_mul_f32 v30, v13, v44 :: v_dual_mul_f32 v27, v15, v46
	v_mul_f32_e32 v24, v11, v42
	v_max3_f32 v23, v23, |v33|, |v34|
	s_delay_alu instid0(VALU_DEP_1) | instskip(SKIP_1) | instid1(VALU_DEP_2)
	v_max3_f32 v25, v23, |v35|, |v36|
	v_mul_f32_e32 v23, v10, v41
	v_max3_f32 v25, v25, |v28|, |v29|
	s_delay_alu instid0(VALU_DEP_1) | instskip(SKIP_1) | instid1(VALU_DEP_2)
	v_max3_f32 v39, v25, |v23|, |v24|
	v_mul_f32_e32 v25, v14, v45
	v_max3_f32 v39, v39, |v26|, |v30|
	s_delay_alu instid0(VALU_DEP_1) | instskip(NEXT) | instid1(VALU_DEP_1)
	v_max3_f32 v39, v39, |v25|, |v27|
	v_mov_b32_dpp v40, v39 quad_perm:[1,0,3,2] row_mask:0xf bank_mask:0xf
	s_delay_alu instid0(VALU_DEP_1) | instskip(NEXT) | instid1(VALU_DEP_1)
	v_cmp_gt_f32_e64 s2, v39, v40
	v_cndmask_b32_e64 v39, v40, v39, s2
	s_delay_alu instid0(VALU_DEP_1) | instskip(NEXT) | instid1(VALU_DEP_1)
	v_mov_b32_dpp v40, v39 quad_perm:[2,3,0,1] row_mask:0xf bank_mask:0xf
	v_cmp_gt_f32_e64 s2, v39, v40
	s_delay_alu instid0(VALU_DEP_1) | instskip(NEXT) | instid1(VALU_DEP_1)
	v_cndmask_b32_e64 v39, v40, v39, s2
	v_mov_b32_dpp v40, v39 row_xmask:7 row_mask:0xf bank_mask:0xf
	s_delay_alu instid0(VALU_DEP_1) | instskip(NEXT) | instid1(VALU_DEP_1)
	v_cmp_gt_f32_e64 s2, v39, v40
	v_cndmask_b32_e64 v39, v40, v39, s2
	s_delay_alu instid0(VALU_DEP_1) | instskip(NEXT) | instid1(VALU_DEP_1)
	v_mov_b32_dpp v40, v39 row_xmask:15 row_mask:0xf bank_mask:0xf
	v_cmp_gt_f32_e64 s2, v39, v40
	s_and_saveexec_b32 s24, vcc_lo
	s_cbranch_execz .LBB113_16
; %bb.15:
	s_delay_alu instid0(VALU_DEP_1)
	v_cndmask_b32_e64 v39, v40, v39, s2
	s_mov_b32 s2, 0x76543210
	s_delay_alu instid0(VALU_DEP_1) | instid1(SALU_CYCLE_1)
	v_permlanex16_b32 v40, v39, s2, 0xfedcba98 op_sel:[1,1]
	s_delay_alu instid0(VALU_DEP_1) | instskip(NEXT) | instid1(VALU_DEP_1)
	v_cmp_gt_f32_e64 s2, v39, v40
	v_cndmask_b32_e64 v39, v40, v39, s2
	ds_store_b32 v19, v39
.LBB113_16:
	s_or_b32 exec_lo, exec_lo, s24
	s_waitcnt lgkmcnt(0)
	s_barrier
	buffer_gl0_inv
	ds_load_b32 v40, v20
	s_abs_i32 s24, s5
	s_delay_alu instid0(SALU_CYCLE_1) | instskip(SKIP_1) | instid1(VALU_DEP_1)
	v_cvt_f32_u32_e32 v39, s24
	s_sub_i32 s27, 0, s24
	v_rcp_iflag_f32_e32 v39, v39
	s_waitcnt_depctr 0xfff
	v_mul_f32_e32 v39, 0x4f7ffffe, v39
	s_waitcnt lgkmcnt(0)
	v_mov_b32_dpp v41, v40 quad_perm:[1,0,3,2] row_mask:0xf bank_mask:0xf
	s_delay_alu instid0(VALU_DEP_2) | instskip(NEXT) | instid1(VALU_DEP_2)
	v_cvt_u32_f32_e32 v39, v39
	v_cmp_gt_f32_e64 s2, v40, v41
	s_delay_alu instid0(VALU_DEP_2) | instskip(NEXT) | instid1(VALU_DEP_2)
	v_readfirstlane_b32 s25, v39
	v_cndmask_b32_e64 v39, v41, v40, s2
	s_delay_alu instid0(VALU_DEP_2) | instskip(NEXT) | instid1(VALU_DEP_1)
	s_mul_i32 s27, s27, s25
	v_mov_b32_dpp v40, v39 quad_perm:[2,3,0,1] row_mask:0xf bank_mask:0xf
	s_mul_hi_u32 s2, s25, s27
	s_delay_alu instid0(SALU_CYCLE_1)
	s_add_i32 s25, s25, s2
	s_ashr_i32 s2, s5, 31
	s_mul_hi_u32 s25, s23, s25
	s_xor_b32 s27, s35, s2
	v_cmp_gt_f32_e64 s2, v39, v40
	s_mul_i32 s28, s25, s24
	s_delay_alu instid0(VALU_DEP_1)
	v_cndmask_b32_e64 v39, v40, v39, s2
	s_sub_i32 s2, s23, s28
	s_add_i32 s23, s25, 1
	s_sub_i32 s28, s2, s24
	s_cmp_ge_u32 s2, s24
	v_mov_b32_dpp v40, v39 row_xmask:7 row_mask:0xf bank_mask:0xf
	s_cselect_b32 s23, s23, s25
	s_cselect_b32 s2, s28, s2
	s_add_i32 s25, s23, 1
	s_cmp_ge_u32 s2, s24
	s_cselect_b32 s2, s25, s23
	s_delay_alu instid0(SALU_CYCLE_1) | instskip(SKIP_1) | instid1(VALU_DEP_1)
	s_xor_b32 s23, s2, s27
	v_cmp_gt_f32_e64 s2, v39, v40
	v_cndmask_b32_e64 v39, v40, v39, s2
	s_sub_i32 s2, s23, s27
	s_delay_alu instid0(SALU_CYCLE_1) | instskip(SKIP_4) | instid1(SALU_CYCLE_1)
	s_mul_i32 s23, s2, s5
	s_mul_i32 s2, s2, s9
	s_sub_i32 s23, s34, s23
	v_mul_f32_e32 v39, 0x3c010204, v39
	s_mul_i32 s23, s23, s10
	s_add_i32 s24, s23, s2
	s_and_saveexec_b32 s2, s0
	s_cbranch_execz .LBB113_18
; %bb.17:
	s_ashr_i32 s25, s24, 31
	v_mov_b32_e32 v40, 0
	s_lshl_b64 s[28:29], s[24:25], 2
	s_delay_alu instid0(SALU_CYCLE_1)
	s_add_u32 s28, s14, s28
	s_addc_u32 s29, s15, s29
	global_store_b32 v40, v39, s[28:29]
.LBB113_18:
	s_or_b32 exec_lo, exec_lo, s2
	s_and_saveexec_b32 s2, s1
	s_cbranch_execz .LBB113_20
; %bb.19:
	v_rcp_f32_e32 v39, v39
	s_mul_i32 s23, s24, s33
	s_mul_hi_i32 s24, s24, s33
	s_add_u32 s36, s12, s23
	s_addc_u32 s23, s13, s24
	s_mov_b32 s39, -1
	s_and_b32 s37, s23, 0xffff
	s_waitcnt_depctr 0xfff
	v_mul_f32_e32 v30, v30, v39
	v_mul_f32_e32 v26, v26, v39
	;; [unrolled: 1-line block ×5, first 2 shown]
	v_cvt_i32_f32_e32 v30, v30
	v_cvt_i32_f32_e32 v26, v26
	v_mul_f32_e32 v37, v37, v39
	v_mul_f32_e32 v25, v25, v39
	v_cvt_i32_f32_e32 v28, v28
	v_lshlrev_b16 v30, 8, v30
	v_and_b32_e32 v26, 0xff, v26
	v_cvt_i32_f32_e32 v27, v27
	v_cvt_i32_f32_e32 v25, v25
	;; [unrolled: 1-line block ×3, first 2 shown]
	v_mul_f32_e32 v38, v38, v39
	v_or_b32_e32 v26, v26, v30
	v_mul_f32_e32 v33, v33, v39
	v_dual_mul_f32 v31, v31, v39 :: v_dual_and_b32 v28, 0xff, v28
	v_lshlrev_b16 v27, 8, v27
	v_and_b32_e32 v25, 0xff, v25
	v_lshlrev_b16 v29, 8, v29
	v_mul_f32_e32 v24, v24, v39
	v_dual_mul_f32 v23, v23, v39 :: v_dual_and_b32 v26, 0xffff, v26
	v_cvt_i32_f32_e32 v33, v33
	v_mul_f32_e32 v34, v34, v39
	v_or_b32_e32 v25, v25, v27
	v_or_b32_e32 v27, v28, v29
	v_cvt_i32_f32_e32 v24, v24
	v_and_b32_e32 v29, 0xff, v33
	v_cvt_i32_f32_e32 v34, v34
	v_cvt_i32_f32_e32 v23, v23
	v_dual_mul_f32 v32, v32, v39 :: v_dual_lshlrev_b32 v25, 16, v25
	v_lshlrev_b16 v24, 8, v24
	s_delay_alu instid0(VALU_DEP_4) | instskip(NEXT) | instid1(VALU_DEP_4)
	v_lshlrev_b16 v28, 8, v34
	v_and_b32_e32 v23, 0xff, v23
	v_cvt_i32_f32_e32 v37, v37
	v_mul_f32_e32 v36, v36, v39
	v_cvt_i32_f32_e32 v38, v38
	v_cvt_i32_f32_e32 v31, v31
	v_or_b32_e32 v23, v23, v24
	v_or_b32_e32 v24, v29, v28
	v_mul_f32_e32 v35, v35, v39
	v_cvt_i32_f32_e32 v32, v32
	v_lshlrev_b16 v34, 8, v38
	v_and_b32_e32 v31, 0xff, v31
	v_and_b32_e32 v24, 0xffff, v24
	v_cvt_i32_f32_e32 v35, v35
	v_lshlrev_b16 v32, 8, v32
	v_and_b32_e32 v27, 0xffff, v27
	v_lshlrev_b32_e32 v23, 16, v23
	v_or_b32_e32 v26, v26, v25
	v_and_b32_e32 v33, 0xff, v35
	v_and_b32_e32 v35, 0xff, v37
	v_cvt_i32_f32_e32 v36, v36
	v_or_b32_e32 v25, v27, v23
	s_delay_alu instid0(VALU_DEP_3) | instskip(NEXT) | instid1(VALU_DEP_3)
	v_or_b32_e32 v29, v35, v34
	v_lshlrev_b16 v30, 8, v36
	s_delay_alu instid0(VALU_DEP_2) | instskip(NEXT) | instid1(VALU_DEP_2)
	v_and_b32_e32 v29, 0xffff, v29
	v_or_b32_e32 v28, v33, v30
	v_or_b32_e32 v30, v31, v32
	s_delay_alu instid0(VALU_DEP_2) | instskip(NEXT) | instid1(VALU_DEP_2)
	v_lshlrev_b32_e32 v28, 16, v28
	v_lshlrev_b32_e32 v30, 16, v30
	s_delay_alu instid0(VALU_DEP_2) | instskip(NEXT) | instid1(VALU_DEP_2)
	v_or_b32_e32 v24, v24, v28
	v_or_b32_e32 v23, v29, v30
	buffer_store_b128 v[23:26], v21, s[36:39], 0 offen
	;;#ASMSTART
	s_nop 0
	;;#ASMEND
.LBB113_20:
	s_or_b32 exec_lo, exec_lo, s2
	s_cmp_eq_u32 s4, 1
	s_mov_b32 s35, 1
	s_cbranch_scc1 .LBB113_35
.LBB113_21:
	s_abs_i32 s43, s5
	s_ashr_i32 s44, s5, 31
	v_cvt_f32_u32_e32 v23, s43
	s_sub_i32 s23, 0, s43
	s_mov_b32 s31, -1
	s_mov_b32 s46, 0x76543210
	v_add_nc_u32_e32 v22, 4, v22
	v_rcp_iflag_f32_e32 v23, v23
	s_waitcnt_depctr 0xfff
	v_mul_f32_e32 v23, 0x4f7ffffe, v23
	s_delay_alu instid0(VALU_DEP_1) | instskip(NEXT) | instid1(VALU_DEP_1)
	v_cvt_u32_f32_e32 v23, v23
	v_readfirstlane_b32 s2, v23
	v_mov_b32_e32 v23, 0
	s_delay_alu instid0(VALU_DEP_2) | instskip(NEXT) | instid1(SALU_CYCLE_1)
	s_mul_i32 s23, s23, s2
	s_mul_hi_u32 s23, s2, s23
	s_delay_alu instid0(SALU_CYCLE_1)
	s_add_i32 s45, s2, s23
	s_branch .LBB113_24
.LBB113_22:                             ;   in Loop: Header=BB113_24 Depth=1
	s_or_b32 exec_lo, exec_lo, s2
.LBB113_23:                             ;   in Loop: Header=BB113_24 Depth=1
	v_add_nc_u32_e32 v22, 4, v22
	s_add_i32 s35, s35, 1
	s_delay_alu instid0(SALU_CYCLE_1)
	s_cmp_eq_u32 s4, s35
	s_cbranch_scc1 .LBB113_35
.LBB113_24:                             ; =>This Inner Loop Header: Depth=1
	s_and_b32 s2, s35, 31
	s_delay_alu instid0(SALU_CYCLE_1)
	s_cmp_lg_u32 s2, 0
	s_cbranch_scc1 .LBB113_26
; %bb.25:                               ;   in Loop: Header=BB113_24 Depth=1
	s_mov_b32 s23, s31
	buffer_load_b32 v16, v22, s[20:23], 0 offen
	s_waitcnt vmcnt(3) expcnt(0) lgkmcnt(55)
.LBB113_26:                             ;   in Loop: Header=BB113_24 Depth=1
	s_waitcnt vmcnt(0)
	v_readlane_b32 s2, v16, s2
	s_delay_alu instid0(VALU_DEP_1)
	s_cmp_lt_i32 s2, 0
	s_cbranch_scc1 .LBB113_23
; %bb.27:                               ;   in Loop: Header=BB113_24 Depth=1
	s_add_i32 s23, s34, s35
	s_delay_alu instid0(SALU_CYCLE_1)
	s_abs_i32 s36, s23
	s_ashr_i32 s37, s23, 31
	s_mul_hi_u32 s24, s36, s41
	s_xor_b32 s27, s37, s40
	s_mul_i32 s25, s24, s11
	s_add_i32 s28, s24, 1
	s_sub_i32 s25, s36, s25
	s_delay_alu instid0(SALU_CYCLE_1)
	s_sub_i32 s29, s25, s11
	s_cmp_ge_u32 s25, s11
	s_cselect_b32 s24, s28, s24
	s_cselect_b32 s25, s29, s25
	s_add_i32 s28, s24, 1
	s_cmp_ge_u32 s25, s11
	s_cselect_b32 s24, s28, s24
	s_delay_alu instid0(SALU_CYCLE_1) | instskip(NEXT) | instid1(SALU_CYCLE_1)
	s_xor_b32 s24, s24, s27
	s_sub_i32 s24, s24, s27
	s_delay_alu instid0(SALU_CYCLE_1) | instskip(SKIP_2) | instid1(SALU_CYCLE_1)
	s_mul_i32 s25, s24, s6
	s_mul_i32 s24, s24, s7
	s_sub_i32 s25, s23, s25
	s_mul_i32 s28, s25, s8
	s_delay_alu instid0(SALU_CYCLE_1) | instskip(NEXT) | instid1(SALU_CYCLE_1)
	s_add_i32 s28, s28, s24
	s_cmp_eq_u32 s28, s42
	s_cbranch_scc1 .LBB113_29
; %bb.28:                               ;   in Loop: Header=BB113_24 Depth=1
	s_mul_hi_i32 s25, s28, s33
	s_mul_i32 s24, s28, s33
	s_mov_b32 s27, s31
	s_lshl_b64 s[24:25], s[24:25], 1
	s_mov_b32 s42, s28
	s_add_u32 s24, s16, s24
	s_addc_u32 s25, s17, s25
	s_delay_alu instid0(SALU_CYCLE_1)
	s_and_b32 s25, s25, 0xffff
	s_clause 0x1
	buffer_load_b128 v[0:3], v17, s[24:27], 0 offen
	buffer_load_b128 v[4:7], v17, s[24:27], 16 offen
	s_waitcnt vmcnt(1)
	v_lshrrev_b32_e32 v8, 16, v0
	v_and_b32_e32 v0, 0xffff, v0
	v_lshrrev_b32_e32 v9, 16, v1
	v_and_b32_e32 v10, 0xffff, v1
	;; [unrolled: 2-line block ×4, first 2 shown]
	s_waitcnt vmcnt(0)
	v_lshrrev_b32_e32 v15, 16, v4
	v_and_b32_e32 v24, 0xffff, v4
	v_lshrrev_b32_e32 v25, 16, v5
	v_and_b32_e32 v26, 0xffff, v5
	;; [unrolled: 2-line block ×4, first 2 shown]
	v_cvt_f32_u32_e32 v1, v8
	v_cvt_f32_u32_e32 v0, v0
	;; [unrolled: 1-line block ×16, first 2 shown]
.LBB113_29:                             ;   in Loop: Header=BB113_24 Depth=1
	s_mul_i32 s24, s2, s3
	s_delay_alu instid0(SALU_CYCLE_1) | instskip(NEXT) | instid1(SALU_CYCLE_1)
	s_ashr_i32 s25, s24, 31
	s_lshl_b64 s[24:25], s[24:25], 2
	s_delay_alu instid0(SALU_CYCLE_1) | instskip(SKIP_1) | instid1(SALU_CYCLE_1)
	s_add_u32 s28, s18, s24
	s_addc_u32 s2, s19, s25
	s_and_b32 s29, s2, 0xffff
	s_clause 0x3
	buffer_load_b128 v[24:27], v18, s[28:31], 0 offen
	buffer_load_b128 v[28:31], v18, s[28:31], 16 offen
	;; [unrolled: 1-line block ×4, first 2 shown]
	s_waitcnt vmcnt(3)
	v_dual_mul_f32 v38, v0, v24 :: v_dual_mul_f32 v39, v1, v25
	v_dual_mul_f32 v32, v2, v26 :: v_dual_mul_f32 v33, v3, v27
	s_waitcnt vmcnt(2)
	v_dual_mul_f32 v34, v4, v28 :: v_dual_mul_f32 v35, v5, v29
	s_delay_alu instid0(VALU_DEP_3) | instskip(SKIP_3) | instid1(VALU_DEP_3)
	v_max3_f32 v24, |v38|, 0x2edbe6ff, |v39|
	v_dual_mul_f32 v36, v6, v30 :: v_dual_mul_f32 v37, v7, v31
	s_waitcnt vmcnt(1)
	v_dual_mul_f32 v29, v8, v40 :: v_dual_mul_f32 v30, v9, v41
	v_max3_f32 v24, v24, |v32|, |v33|
	s_waitcnt vmcnt(0)
	v_mul_f32_e32 v27, v12, v44
	v_dual_mul_f32 v31, v13, v45 :: v_dual_mul_f32 v28, v15, v47
	v_mul_f32_e32 v25, v11, v43
	v_max3_f32 v24, v24, |v34|, |v35|
	s_delay_alu instid0(VALU_DEP_1) | instskip(SKIP_1) | instid1(VALU_DEP_2)
	v_max3_f32 v26, v24, |v36|, |v37|
	v_mul_f32_e32 v24, v10, v42
	v_max3_f32 v26, v26, |v29|, |v30|
	s_delay_alu instid0(VALU_DEP_1) | instskip(SKIP_1) | instid1(VALU_DEP_2)
	v_max3_f32 v40, v26, |v24|, |v25|
	v_mul_f32_e32 v26, v14, v46
	v_max3_f32 v40, v40, |v27|, |v31|
	s_delay_alu instid0(VALU_DEP_1) | instskip(NEXT) | instid1(VALU_DEP_1)
	v_max3_f32 v40, v40, |v26|, |v28|
	v_mov_b32_dpp v41, v40 quad_perm:[1,0,3,2] row_mask:0xf bank_mask:0xf
	s_delay_alu instid0(VALU_DEP_1) | instskip(NEXT) | instid1(VALU_DEP_1)
	v_cmp_gt_f32_e64 s2, v40, v41
	v_cndmask_b32_e64 v40, v41, v40, s2
	s_delay_alu instid0(VALU_DEP_1) | instskip(NEXT) | instid1(VALU_DEP_1)
	v_mov_b32_dpp v41, v40 quad_perm:[2,3,0,1] row_mask:0xf bank_mask:0xf
	v_cmp_gt_f32_e64 s2, v40, v41
	s_delay_alu instid0(VALU_DEP_1) | instskip(NEXT) | instid1(VALU_DEP_1)
	v_cndmask_b32_e64 v40, v41, v40, s2
	v_mov_b32_dpp v41, v40 row_xmask:7 row_mask:0xf bank_mask:0xf
	s_delay_alu instid0(VALU_DEP_1) | instskip(NEXT) | instid1(VALU_DEP_1)
	v_cmp_gt_f32_e64 s2, v40, v41
	v_cndmask_b32_e64 v40, v41, v40, s2
	s_delay_alu instid0(VALU_DEP_1) | instskip(NEXT) | instid1(VALU_DEP_1)
	v_mov_b32_dpp v41, v40 row_xmask:15 row_mask:0xf bank_mask:0xf
	v_cmp_gt_f32_e64 s2, v40, v41
	s_and_saveexec_b32 s24, vcc_lo
	s_cbranch_execz .LBB113_31
; %bb.30:                               ;   in Loop: Header=BB113_24 Depth=1
	s_delay_alu instid0(VALU_DEP_1) | instskip(NEXT) | instid1(VALU_DEP_1)
	v_cndmask_b32_e64 v40, v41, v40, s2
	v_permlanex16_b32 v41, v40, s46, 0xfedcba98 op_sel:[1,1]
	s_delay_alu instid0(VALU_DEP_1) | instskip(NEXT) | instid1(VALU_DEP_1)
	v_cmp_gt_f32_e64 s2, v40, v41
	v_cndmask_b32_e64 v40, v41, v40, s2
	ds_store_b32 v19, v40
.LBB113_31:                             ;   in Loop: Header=BB113_24 Depth=1
	s_or_b32 exec_lo, exec_lo, s24
	s_waitcnt lgkmcnt(0)
	s_waitcnt_vscnt null, 0x0
	s_barrier
	buffer_gl0_inv
	ds_load_b32 v40, v20
	s_mul_hi_u32 s24, s36, s45
	s_xor_b32 s27, s37, s44
	s_mul_i32 s25, s24, s43
	s_waitcnt lgkmcnt(0)
	v_mov_b32_dpp v41, v40 quad_perm:[1,0,3,2] row_mask:0xf bank_mask:0xf
	s_delay_alu instid0(VALU_DEP_1) | instskip(NEXT) | instid1(VALU_DEP_1)
	v_cmp_gt_f32_e64 s2, v40, v41
	v_cndmask_b32_e64 v40, v41, v40, s2
	s_sub_i32 s2, s36, s25
	s_add_i32 s25, s24, 1
	s_sub_i32 s28, s2, s43
	s_cmp_ge_u32 s2, s43
	v_mov_b32_dpp v41, v40 quad_perm:[2,3,0,1] row_mask:0xf bank_mask:0xf
	s_cselect_b32 s24, s25, s24
	s_cselect_b32 s25, s28, s2
	s_delay_alu instid0(VALU_DEP_1) | instskip(NEXT) | instid1(VALU_DEP_1)
	v_cmp_gt_f32_e64 s2, v40, v41
	v_cndmask_b32_e64 v40, v41, v40, s2
	s_add_i32 s2, s24, 1
	s_cmp_ge_u32 s25, s43
	s_cselect_b32 s2, s2, s24
	s_delay_alu instid0(VALU_DEP_1) | instskip(SKIP_1) | instid1(SALU_CYCLE_1)
	v_mov_b32_dpp v41, v40 row_xmask:7 row_mask:0xf bank_mask:0xf
	s_xor_b32 s2, s2, s27
	s_sub_i32 s24, s2, s27
	s_delay_alu instid0(VALU_DEP_1) | instskip(NEXT) | instid1(VALU_DEP_1)
	v_cmp_gt_f32_e64 s2, v40, v41
	v_cndmask_b32_e64 v40, v41, v40, s2
	s_mul_i32 s2, s24, s5
	s_mul_i32 s24, s24, s9
	s_sub_i32 s2, s23, s2
	s_delay_alu instid0(VALU_DEP_1) | instskip(SKIP_1) | instid1(SALU_CYCLE_1)
	v_mul_f32_e32 v40, 0x3c010204, v40
	s_mul_i32 s2, s2, s10
	s_add_i32 s24, s2, s24
	s_and_saveexec_b32 s2, s0
	s_cbranch_execz .LBB113_33
; %bb.32:                               ;   in Loop: Header=BB113_24 Depth=1
	s_ashr_i32 s25, s24, 31
	s_delay_alu instid0(SALU_CYCLE_1) | instskip(NEXT) | instid1(SALU_CYCLE_1)
	s_lshl_b64 s[28:29], s[24:25], 2
	s_add_u32 s28, s14, s28
	s_addc_u32 s29, s15, s29
	global_store_b32 v23, v40, s[28:29]
.LBB113_33:                             ;   in Loop: Header=BB113_24 Depth=1
	s_or_b32 exec_lo, exec_lo, s2
	s_and_saveexec_b32 s2, s1
	s_cbranch_execz .LBB113_22
; %bb.34:                               ;   in Loop: Header=BB113_24 Depth=1
	v_rcp_f32_e32 v40, v40
	s_mul_i32 s23, s24, s33
	s_mul_hi_i32 s24, s24, s33
	s_add_u32 s36, s12, s23
	s_addc_u32 s23, s13, s24
	s_mov_b32 s39, s31
	s_and_b32 s37, s23, 0xffff
	s_waitcnt_depctr 0xfff
	v_mul_f32_e32 v31, v31, v40
	v_mul_f32_e32 v27, v27, v40
	;; [unrolled: 1-line block ×5, first 2 shown]
	v_cvt_i32_f32_e32 v31, v31
	v_cvt_i32_f32_e32 v27, v27
	v_mul_f32_e32 v38, v38, v40
	v_mul_f32_e32 v26, v26, v40
	v_cvt_i32_f32_e32 v29, v29
	v_lshlrev_b16 v31, 8, v31
	v_and_b32_e32 v27, 0xff, v27
	v_cvt_i32_f32_e32 v28, v28
	v_cvt_i32_f32_e32 v26, v26
	;; [unrolled: 1-line block ×3, first 2 shown]
	v_mul_f32_e32 v39, v39, v40
	v_or_b32_e32 v27, v27, v31
	v_mul_f32_e32 v34, v34, v40
	v_dual_mul_f32 v32, v32, v40 :: v_dual_and_b32 v29, 0xff, v29
	v_lshlrev_b16 v28, 8, v28
	v_and_b32_e32 v26, 0xff, v26
	v_lshlrev_b16 v30, 8, v30
	v_mul_f32_e32 v25, v25, v40
	v_dual_mul_f32 v24, v24, v40 :: v_dual_and_b32 v27, 0xffff, v27
	v_cvt_i32_f32_e32 v34, v34
	v_mul_f32_e32 v35, v35, v40
	v_or_b32_e32 v26, v26, v28
	v_or_b32_e32 v28, v29, v30
	v_cvt_i32_f32_e32 v25, v25
	v_and_b32_e32 v30, 0xff, v34
	v_cvt_i32_f32_e32 v35, v35
	v_cvt_i32_f32_e32 v24, v24
	v_dual_mul_f32 v33, v33, v40 :: v_dual_lshlrev_b32 v26, 16, v26
	v_lshlrev_b16 v25, 8, v25
	s_delay_alu instid0(VALU_DEP_4) | instskip(NEXT) | instid1(VALU_DEP_4)
	v_lshlrev_b16 v29, 8, v35
	v_and_b32_e32 v24, 0xff, v24
	v_cvt_i32_f32_e32 v38, v38
	v_mul_f32_e32 v37, v37, v40
	v_cvt_i32_f32_e32 v39, v39
	v_cvt_i32_f32_e32 v32, v32
	v_or_b32_e32 v24, v24, v25
	v_or_b32_e32 v25, v30, v29
	v_mul_f32_e32 v36, v36, v40
	v_cvt_i32_f32_e32 v33, v33
	v_lshlrev_b16 v35, 8, v39
	v_and_b32_e32 v32, 0xff, v32
	v_and_b32_e32 v25, 0xffff, v25
	v_cvt_i32_f32_e32 v36, v36
	v_lshlrev_b16 v33, 8, v33
	v_and_b32_e32 v28, 0xffff, v28
	v_lshlrev_b32_e32 v24, 16, v24
	v_or_b32_e32 v27, v27, v26
	v_and_b32_e32 v34, 0xff, v36
	v_and_b32_e32 v36, 0xff, v38
	v_cvt_i32_f32_e32 v37, v37
	v_or_b32_e32 v26, v28, v24
	s_delay_alu instid0(VALU_DEP_3) | instskip(NEXT) | instid1(VALU_DEP_3)
	v_or_b32_e32 v30, v36, v35
	v_lshlrev_b16 v31, 8, v37
	s_delay_alu instid0(VALU_DEP_2) | instskip(NEXT) | instid1(VALU_DEP_2)
	v_and_b32_e32 v30, 0xffff, v30
	v_or_b32_e32 v29, v34, v31
	v_or_b32_e32 v31, v32, v33
	s_delay_alu instid0(VALU_DEP_2) | instskip(NEXT) | instid1(VALU_DEP_2)
	v_lshlrev_b32_e32 v29, 16, v29
	v_lshlrev_b32_e32 v31, 16, v31
	s_delay_alu instid0(VALU_DEP_2) | instskip(NEXT) | instid1(VALU_DEP_2)
	v_or_b32_e32 v25, v25, v29
	v_or_b32_e32 v24, v30, v31
	buffer_store_b128 v[24:27], v21, s[36:39], 0 offen
	;;#ASMSTART
	s_nop 0
	;;#ASMEND
	s_branch .LBB113_22
.LBB113_35:
	s_nop 0
	s_sendmsg sendmsg(MSG_DEALLOC_VGPRS)
	s_endpgm
	.section	.rodata,"a",@progbits
	.p2align	6, 0x0
	.amdhsa_kernel _ZN5aiter36smooth_per_token_scaled_quant_kernelItaLi256ELi16ELb1ELb1ELb0ELi1024EEEvPT0_PfPT_S3_PiS6_iiPKiiiiiiiii
		.amdhsa_group_segment_fixed_size 32
		.amdhsa_private_segment_fixed_size 0
		.amdhsa_kernarg_size 96
		.amdhsa_user_sgpr_count 15
		.amdhsa_user_sgpr_dispatch_ptr 0
		.amdhsa_user_sgpr_queue_ptr 0
		.amdhsa_user_sgpr_kernarg_segment_ptr 1
		.amdhsa_user_sgpr_dispatch_id 0
		.amdhsa_user_sgpr_private_segment_size 0
		.amdhsa_wavefront_size32 1
		.amdhsa_uses_dynamic_stack 0
		.amdhsa_enable_private_segment 0
		.amdhsa_system_sgpr_workgroup_id_x 1
		.amdhsa_system_sgpr_workgroup_id_y 0
		.amdhsa_system_sgpr_workgroup_id_z 0
		.amdhsa_system_sgpr_workgroup_info 0
		.amdhsa_system_vgpr_workitem_id 0
		.amdhsa_next_free_vgpr 48
		.amdhsa_next_free_sgpr 47
		.amdhsa_reserve_vcc 1
		.amdhsa_float_round_mode_32 0
		.amdhsa_float_round_mode_16_64 0
		.amdhsa_float_denorm_mode_32 3
		.amdhsa_float_denorm_mode_16_64 3
		.amdhsa_dx10_clamp 1
		.amdhsa_ieee_mode 1
		.amdhsa_fp16_overflow 0
		.amdhsa_workgroup_processor_mode 1
		.amdhsa_memory_ordered 1
		.amdhsa_forward_progress 0
		.amdhsa_shared_vgpr_count 0
		.amdhsa_exception_fp_ieee_invalid_op 0
		.amdhsa_exception_fp_denorm_src 0
		.amdhsa_exception_fp_ieee_div_zero 0
		.amdhsa_exception_fp_ieee_overflow 0
		.amdhsa_exception_fp_ieee_underflow 0
		.amdhsa_exception_fp_ieee_inexact 0
		.amdhsa_exception_int_div_zero 0
	.end_amdhsa_kernel
	.section	.text._ZN5aiter36smooth_per_token_scaled_quant_kernelItaLi256ELi16ELb1ELb1ELb0ELi1024EEEvPT0_PfPT_S3_PiS6_iiPKiiiiiiiii,"axG",@progbits,_ZN5aiter36smooth_per_token_scaled_quant_kernelItaLi256ELi16ELb1ELb1ELb0ELi1024EEEvPT0_PfPT_S3_PiS6_iiPKiiiiiiiii,comdat
.Lfunc_end113:
	.size	_ZN5aiter36smooth_per_token_scaled_quant_kernelItaLi256ELi16ELb1ELb1ELb0ELi1024EEEvPT0_PfPT_S3_PiS6_iiPKiiiiiiiii, .Lfunc_end113-_ZN5aiter36smooth_per_token_scaled_quant_kernelItaLi256ELi16ELb1ELb1ELb0ELi1024EEEvPT0_PfPT_S3_PiS6_iiPKiiiiiiiii
                                        ; -- End function
	.section	.AMDGPU.csdata,"",@progbits
; Kernel info:
; codeLenInByte = 3752
; NumSgprs: 49
; NumVgprs: 48
; ScratchSize: 0
; MemoryBound: 0
; FloatMode: 240
; IeeeMode: 1
; LDSByteSize: 32 bytes/workgroup (compile time only)
; SGPRBlocks: 6
; VGPRBlocks: 5
; NumSGPRsForWavesPerEU: 49
; NumVGPRsForWavesPerEU: 48
; Occupancy: 16
; WaveLimiterHint : 0
; COMPUTE_PGM_RSRC2:SCRATCH_EN: 0
; COMPUTE_PGM_RSRC2:USER_SGPR: 15
; COMPUTE_PGM_RSRC2:TRAP_HANDLER: 0
; COMPUTE_PGM_RSRC2:TGID_X_EN: 1
; COMPUTE_PGM_RSRC2:TGID_Y_EN: 0
; COMPUTE_PGM_RSRC2:TGID_Z_EN: 0
; COMPUTE_PGM_RSRC2:TIDIG_COMP_CNT: 0
	.section	.text._ZN5aiter36smooth_per_token_scaled_quant_kernelIDF16_aLi256ELi16ELb1ELb0ELb0ELi1024EEEvPT0_PfPT_S3_PiS6_iiPKiiiiiiiii,"axG",@progbits,_ZN5aiter36smooth_per_token_scaled_quant_kernelIDF16_aLi256ELi16ELb1ELb0ELb0ELi1024EEEvPT0_PfPT_S3_PiS6_iiPKiiiiiiiii,comdat
	.protected	_ZN5aiter36smooth_per_token_scaled_quant_kernelIDF16_aLi256ELi16ELb1ELb0ELb0ELi1024EEEvPT0_PfPT_S3_PiS6_iiPKiiiiiiiii ; -- Begin function _ZN5aiter36smooth_per_token_scaled_quant_kernelIDF16_aLi256ELi16ELb1ELb0ELb0ELi1024EEEvPT0_PfPT_S3_PiS6_iiPKiiiiiiiii
	.globl	_ZN5aiter36smooth_per_token_scaled_quant_kernelIDF16_aLi256ELi16ELb1ELb0ELb0ELi1024EEEvPT0_PfPT_S3_PiS6_iiPKiiiiiiiii
	.p2align	8
	.type	_ZN5aiter36smooth_per_token_scaled_quant_kernelIDF16_aLi256ELi16ELb1ELb0ELb0ELi1024EEEvPT0_PfPT_S3_PiS6_iiPKiiiiiiiii,@function
_ZN5aiter36smooth_per_token_scaled_quant_kernelIDF16_aLi256ELi16ELb1ELb0ELb0ELi1024EEEvPT0_PfPT_S3_PiS6_iiPKiiiiiiiii: ; @_ZN5aiter36smooth_per_token_scaled_quant_kernelIDF16_aLi256ELi16ELb1ELb0ELb0ELi1024EEEvPT0_PfPT_S3_PiS6_iiPKiiiiiiiii
; %bb.0:
	s_clause 0x1
	s_load_b64 s[2:3], s[0:1], 0x38
	s_load_b256 s[4:11], s[0:1], 0x40
	s_waitcnt lgkmcnt(0)
	s_cmp_lg_u64 s[2:3], 0
	s_cbranch_scc0 .LBB114_19
; %bb.1:
	s_load_b32 s2, s[2:3], 0x0
	s_waitcnt lgkmcnt(0)
	s_mul_i32 s4, s2, s4
	s_cbranch_execnz .LBB114_3
.LBB114_2:
	s_mul_i32 s4, s6, s5
.LBB114_3:
	s_load_b64 s[2:3], s[0:1], 0x30
	s_abs_i32 s14, s4
	s_waitcnt lgkmcnt(0)
	s_abs_i32 s11, s2
	s_delay_alu instid0(SALU_CYCLE_1) | instskip(SKIP_1) | instid1(VALU_DEP_1)
	v_cvt_f32_u32_e32 v1, s11
	s_sub_i32 s13, 0, s11
	v_rcp_iflag_f32_e32 v1, v1
	s_waitcnt_depctr 0xfff
	v_mul_f32_e32 v1, 0x4f7ffffe, v1
	s_delay_alu instid0(VALU_DEP_1) | instskip(NEXT) | instid1(VALU_DEP_1)
	v_cvt_u32_f32_e32 v1, v1
	v_readfirstlane_b32 s12, v1
	s_delay_alu instid0(VALU_DEP_1) | instskip(NEXT) | instid1(SALU_CYCLE_1)
	s_mul_i32 s13, s13, s12
	s_mul_hi_u32 s13, s12, s13
	s_delay_alu instid0(SALU_CYCLE_1) | instskip(SKIP_4) | instid1(SALU_CYCLE_1)
	s_add_i32 s12, s12, s13
	s_xor_b32 s13, s4, s2
	s_mul_hi_u32 s12, s14, s12
	s_ashr_i32 s13, s13, 31
	s_mul_i32 s16, s12, s11
	s_sub_i32 s14, s14, s16
	s_add_i32 s16, s12, 1
	s_sub_i32 s17, s14, s11
	s_cmp_ge_u32 s14, s11
	s_cselect_b32 s12, s16, s12
	s_cselect_b32 s14, s17, s14
	s_add_i32 s16, s12, 1
	s_cmp_ge_u32 s14, s11
	s_cselect_b32 s11, s16, s12
	s_delay_alu instid0(SALU_CYCLE_1) | instskip(NEXT) | instid1(SALU_CYCLE_1)
	s_xor_b32 s11, s11, s13
	s_sub_i32 s11, s11, s13
	s_mov_b32 s13, 0
	s_mul_i32 s2, s11, s2
	s_delay_alu instid0(SALU_CYCLE_1) | instskip(NEXT) | instid1(SALU_CYCLE_1)
	s_sub_i32 s4, s4, s2
	s_cmp_lt_u32 s15, s4
	s_cselect_b32 s2, -1, 0
	s_add_i32 s12, s11, 1
	s_cmp_ge_u32 s15, s4
	s_cbranch_scc0 .LBB114_5
; %bb.4:
	s_sub_i32 s14, s15, s4
	s_mul_i32 s4, s4, s12
	s_mul_i32 s14, s14, s11
	s_delay_alu instid0(SALU_CYCLE_1)
	s_add_i32 s4, s14, s4
	s_and_not1_b32 vcc_lo, exec_lo, s13
	s_cbranch_vccz .LBB114_6
	s_branch .LBB114_7
.LBB114_5:
                                        ; implicit-def: $sgpr4
.LBB114_6:
	s_mul_i32 s4, s12, s15
.LBB114_7:
	v_cndmask_b32_e64 v1, 0, 1, s2
	s_delay_alu instid0(VALU_DEP_1) | instskip(NEXT) | instid1(VALU_DEP_1)
	v_readfirstlane_b32 s2, v1
	s_add_i32 s11, s11, s2
	s_delay_alu instid0(SALU_CYCLE_1)
	s_cmp_lt_i32 s11, 1
	s_cbranch_scc1 .LBB114_18
; %bb.8:
	s_abs_i32 s34, s6
	s_abs_i32 s35, s5
	v_cvt_f32_u32_e32 v6, s34
	v_cvt_f32_u32_e32 v7, s35
	v_and_b32_e32 v3, 31, v0
	v_lshrrev_b32_e32 v4, 3, v0
	v_and_b32_e32 v5, 7, v0
	v_rcp_iflag_f32_e32 v6, v6
	v_rcp_iflag_f32_e32 v7, v7
	s_load_b256 s[12:19], s[0:1], 0x0
	s_add_i32 s1, s3, 15
	v_lshlrev_b32_e32 v2, 6, v0
	s_ashr_i32 s0, s1, 31
	v_cmp_eq_u32_e32 vcc_lo, 31, v3
	v_and_b32_e32 v3, 0x7c, v4
	v_lshlrev_b32_e32 v4, 2, v5
	s_lshr_b32 s2, s0, 28
	s_waitcnt_depctr 0xfff
	v_mul_f32_e32 v5, 0x4f7ffffe, v6
	v_dual_mul_f32 v6, 0x4f7ffffe, v7 :: v_dual_lshlrev_b32 v1, 5, v0
	s_add_i32 s1, s1, s2
	s_add_i32 s2, s3, 3
	s_mov_b32 s33, s3
	s_lshl_b32 s22, s3, 1
	s_lshl_b32 s26, s3, 2
	s_ashr_i32 s3, s2, 31
	v_cvt_u32_f32_e32 v5, v5
	s_lshr_b32 s3, s3, 30
	v_cvt_u32_f32_e32 v6, v6
	s_add_i32 s2, s2, s3
	s_sub_i32 s3, 0, s34
	s_and_b32 s30, s2, -4
	v_readfirstlane_b32 s2, v5
	v_readfirstlane_b32 s20, v6
	s_sub_i32 s21, 0, s35
	s_ashr_i32 s1, s1, 4
	v_cmp_eq_u32_e64 s0, 0, v0
	s_mul_i32 s3, s3, s2
	s_mul_i32 s21, s21, s20
	s_mul_hi_u32 s3, s2, s3
	v_cmp_gt_u32_e64 s1, s1, v0
	v_dual_mov_b32 v5, 0 :: v_dual_lshlrev_b32 v0, 4, v0
	s_mov_b32 s23, -1
	s_waitcnt lgkmcnt(0)
	s_and_b32 s19, s19, 0xffff
	s_add_i32 s37, s2, s3
	s_mul_hi_u32 s2, s20, s21
	s_mov_b32 s27, s23
	s_ashr_i32 s36, s6, 31
	s_ashr_i32 s38, s5, 31
	s_add_i32 s39, s20, s2
	s_mov_b32 s24, s18
	s_mov_b32 s25, s19
	;; [unrolled: 1-line block ×4, first 2 shown]
                                        ; implicit-def: $vgpr6
                                        ; implicit-def: $vgpr11
                                        ; implicit-def: $vgpr7
                                        ; implicit-def: $vgpr13
                                        ; implicit-def: $vgpr8
                                        ; implicit-def: $vgpr14
                                        ; implicit-def: $vgpr9
                                        ; implicit-def: $vgpr16
                                        ; implicit-def: $vgpr10
                                        ; implicit-def: $vgpr18
                                        ; implicit-def: $vgpr12
                                        ; implicit-def: $vgpr19
                                        ; implicit-def: $vgpr15
                                        ; implicit-def: $vgpr20
                                        ; implicit-def: $vgpr17
                                        ; implicit-def: $vgpr21
	s_branch .LBB114_10
.LBB114_9:                              ;   in Loop: Header=BB114_10 Depth=1
	s_or_b32 exec_lo, exec_lo, s3
	s_add_i32 s11, s11, -1
	s_add_i32 s4, s4, 1
	s_cmp_eq_u32 s11, 0
	s_cbranch_scc1 .LBB114_18
.LBB114_10:                             ; =>This Inner Loop Header: Depth=1
	s_abs_i32 s3, s4
	s_ashr_i32 s28, s4, 31
	s_mul_hi_u32 s2, s3, s37
	s_xor_b32 s21, s28, s36
	s_mul_i32 s20, s2, s34
	s_add_i32 s29, s2, 1
	s_sub_i32 s20, s3, s20
	s_delay_alu instid0(SALU_CYCLE_1)
	s_sub_i32 s31, s20, s34
	s_cmp_ge_u32 s20, s34
	s_cselect_b32 s2, s29, s2
	s_cselect_b32 s20, s31, s20
	s_add_i32 s29, s2, 1
	s_cmp_ge_u32 s20, s34
	s_cselect_b32 s2, s29, s2
	s_delay_alu instid0(SALU_CYCLE_1) | instskip(NEXT) | instid1(SALU_CYCLE_1)
	s_xor_b32 s2, s2, s21
	s_sub_i32 s2, s2, s21
	s_delay_alu instid0(SALU_CYCLE_1) | instskip(SKIP_2) | instid1(SALU_CYCLE_1)
	s_mul_i32 s20, s2, s6
	s_mul_i32 s2, s2, s7
	s_sub_i32 s20, s4, s20
	s_mul_i32 s20, s20, s8
	s_delay_alu instid0(SALU_CYCLE_1) | instskip(NEXT) | instid1(SALU_CYCLE_1)
	s_add_i32 s2, s20, s2
	s_cmp_eq_u32 s2, s19
	s_cbranch_scc1 .LBB114_12
; %bb.11:                               ;   in Loop: Header=BB114_10 Depth=1
	s_mul_hi_i32 s21, s2, s33
	s_mul_i32 s20, s2, s33
	s_delay_alu instid0(SALU_CYCLE_1) | instskip(NEXT) | instid1(SALU_CYCLE_1)
	s_lshl_b64 s[20:21], s[20:21], 1
	s_add_u32 s20, s16, s20
	s_addc_u32 s19, s17, s21
	s_delay_alu instid0(SALU_CYCLE_1)
	s_and_b32 s21, s19, 0xffff
	s_clause 0x1
	buffer_load_b128 v[7:10], v1, s[20:23], 0 offen
	buffer_load_b128 v[15:18], v1, s[20:23], 16 offen
	s_mov_b32 s19, s2
	s_waitcnt vmcnt(1)
	v_lshrrev_b32_e32 v11, 16, v7
	v_lshrrev_b32_e32 v13, 16, v8
	;; [unrolled: 1-line block ×4, first 2 shown]
	s_waitcnt vmcnt(0)
	v_lshrrev_b32_e32 v20, 16, v15
	v_lshrrev_b32_e32 v21, 16, v16
	;; [unrolled: 1-line block ×4, first 2 shown]
	v_cvt_f32_f16_e32 v6, v7
	v_cvt_f32_f16_e32 v7, v8
	;; [unrolled: 1-line block ×16, first 2 shown]
.LBB114_12:                             ;   in Loop: Header=BB114_10 Depth=1
	s_clause 0x3
	buffer_load_b128 v[22:25], v2, s[24:27], 0 offen
	buffer_load_b128 v[26:29], v2, s[24:27], 16 offen
	;; [unrolled: 1-line block ×4, first 2 shown]
	s_waitcnt vmcnt(3)
	v_dual_mul_f32 v36, v6, v22 :: v_dual_mul_f32 v37, v11, v23
	v_dual_mul_f32 v30, v7, v24 :: v_dual_mul_f32 v31, v13, v25
	s_waitcnt vmcnt(2)
	v_dual_mul_f32 v32, v8, v26 :: v_dual_mul_f32 v33, v14, v27
	s_delay_alu instid0(VALU_DEP_3) | instskip(SKIP_3) | instid1(VALU_DEP_3)
	v_max3_f32 v22, |v36|, 0x2edbe6ff, |v37|
	v_dual_mul_f32 v34, v9, v28 :: v_dual_mul_f32 v35, v16, v29
	s_waitcnt vmcnt(1)
	v_dual_mul_f32 v26, v10, v38 :: v_dual_mul_f32 v23, v19, v41
	v_max3_f32 v22, v22, |v30|, |v31|
	v_mul_f32_e32 v27, v18, v39
	s_waitcnt vmcnt(0)
	v_dual_mul_f32 v25, v15, v42 :: v_dual_mul_f32 v28, v20, v43
	v_mul_f32_e32 v29, v21, v45
	v_max3_f32 v22, v22, |v32|, |v33|
	s_delay_alu instid0(VALU_DEP_1) | instskip(SKIP_1) | instid1(VALU_DEP_2)
	v_max3_f32 v24, v22, |v34|, |v35|
	v_mul_f32_e32 v22, v12, v40
	v_max3_f32 v24, v24, |v26|, |v27|
	s_delay_alu instid0(VALU_DEP_1) | instskip(SKIP_1) | instid1(VALU_DEP_2)
	v_max3_f32 v38, v24, |v22|, |v23|
	v_mul_f32_e32 v24, v17, v44
	v_max3_f32 v38, v38, |v25|, |v28|
	s_delay_alu instid0(VALU_DEP_1) | instskip(NEXT) | instid1(VALU_DEP_1)
	v_max3_f32 v38, v38, |v24|, |v29|
	v_mov_b32_dpp v39, v38 quad_perm:[1,0,3,2] row_mask:0xf bank_mask:0xf
	s_delay_alu instid0(VALU_DEP_1) | instskip(NEXT) | instid1(VALU_DEP_1)
	v_cmp_gt_f32_e64 s2, v38, v39
	v_cndmask_b32_e64 v38, v39, v38, s2
	s_delay_alu instid0(VALU_DEP_1) | instskip(NEXT) | instid1(VALU_DEP_1)
	v_mov_b32_dpp v39, v38 quad_perm:[2,3,0,1] row_mask:0xf bank_mask:0xf
	v_cmp_gt_f32_e64 s2, v38, v39
	s_delay_alu instid0(VALU_DEP_1) | instskip(NEXT) | instid1(VALU_DEP_1)
	v_cndmask_b32_e64 v38, v39, v38, s2
	v_mov_b32_dpp v39, v38 row_xmask:7 row_mask:0xf bank_mask:0xf
	s_delay_alu instid0(VALU_DEP_1) | instskip(NEXT) | instid1(VALU_DEP_1)
	v_cmp_gt_f32_e64 s2, v38, v39
	v_cndmask_b32_e64 v38, v39, v38, s2
	s_delay_alu instid0(VALU_DEP_1) | instskip(NEXT) | instid1(VALU_DEP_1)
	v_mov_b32_dpp v39, v38 row_xmask:15 row_mask:0xf bank_mask:0xf
	v_cmp_gt_f32_e64 s2, v38, v39
	s_and_saveexec_b32 s20, vcc_lo
	s_cbranch_execz .LBB114_14
; %bb.13:                               ;   in Loop: Header=BB114_10 Depth=1
	s_delay_alu instid0(VALU_DEP_1) | instskip(NEXT) | instid1(VALU_DEP_1)
	v_cndmask_b32_e64 v38, v39, v38, s2
	v_permlanex16_b32 v39, v38, s18, 0xfedcba98 op_sel:[1,1]
	s_delay_alu instid0(VALU_DEP_1) | instskip(NEXT) | instid1(VALU_DEP_1)
	v_cmp_gt_f32_e64 s2, v38, v39
	v_cndmask_b32_e64 v38, v39, v38, s2
	ds_store_b32 v3, v38
.LBB114_14:                             ;   in Loop: Header=BB114_10 Depth=1
	s_or_b32 exec_lo, exec_lo, s20
	s_waitcnt lgkmcnt(0)
	s_waitcnt_vscnt null, 0x0
	s_barrier
	buffer_gl0_inv
	ds_load_b32 v38, v4
	s_mul_hi_u32 s20, s3, s39
	s_xor_b32 s28, s28, s38
	s_mul_i32 s21, s20, s35
	s_waitcnt lgkmcnt(0)
	v_mov_b32_dpp v39, v38 quad_perm:[1,0,3,2] row_mask:0xf bank_mask:0xf
	s_delay_alu instid0(VALU_DEP_1) | instskip(NEXT) | instid1(VALU_DEP_1)
	v_cmp_gt_f32_e64 s2, v38, v39
	v_cndmask_b32_e64 v38, v39, v38, s2
	s_sub_i32 s2, s3, s21
	s_add_i32 s3, s20, 1
	s_sub_i32 s21, s2, s35
	s_cmp_ge_u32 s2, s35
	v_mov_b32_dpp v39, v38 quad_perm:[2,3,0,1] row_mask:0xf bank_mask:0xf
	s_cselect_b32 s3, s3, s20
	s_cselect_b32 s20, s21, s2
	s_delay_alu instid0(VALU_DEP_1) | instskip(NEXT) | instid1(VALU_DEP_1)
	v_cmp_gt_f32_e64 s2, v38, v39
	v_cndmask_b32_e64 v38, v39, v38, s2
	s_add_i32 s2, s3, 1
	s_cmp_ge_u32 s20, s35
	s_cselect_b32 s2, s2, s3
	s_delay_alu instid0(VALU_DEP_1) | instskip(SKIP_1) | instid1(SALU_CYCLE_1)
	v_mov_b32_dpp v39, v38 row_xmask:7 row_mask:0xf bank_mask:0xf
	s_xor_b32 s2, s2, s28
	s_sub_i32 s3, s2, s28
	s_delay_alu instid0(VALU_DEP_1) | instskip(NEXT) | instid1(VALU_DEP_1)
	v_cmp_gt_f32_e64 s2, v38, v39
	v_cndmask_b32_e64 v38, v39, v38, s2
	s_mul_i32 s2, s3, s5
	s_mul_i32 s3, s3, s9
	s_sub_i32 s2, s4, s2
	s_delay_alu instid0(VALU_DEP_1) | instskip(SKIP_1) | instid1(SALU_CYCLE_1)
	v_mul_f32_e32 v38, 0x3c010204, v38
	s_mul_i32 s2, s2, s10
	s_add_i32 s2, s2, s3
	s_and_saveexec_b32 s20, s0
	s_cbranch_execz .LBB114_16
; %bb.15:                               ;   in Loop: Header=BB114_10 Depth=1
	s_ashr_i32 s3, s2, 31
	s_delay_alu instid0(SALU_CYCLE_1) | instskip(NEXT) | instid1(SALU_CYCLE_1)
	s_lshl_b64 s[28:29], s[2:3], 2
	s_add_u32 s28, s14, s28
	s_addc_u32 s29, s15, s29
	global_store_b32 v5, v38, s[28:29]
.LBB114_16:                             ;   in Loop: Header=BB114_10 Depth=1
	s_or_b32 exec_lo, exec_lo, s20
	s_and_saveexec_b32 s3, s1
	s_cbranch_execz .LBB114_9
; %bb.17:                               ;   in Loop: Header=BB114_10 Depth=1
	v_rcp_f32_e32 v38, v38
	s_mul_i32 s20, s2, s33
	s_mul_hi_i32 s2, s2, s33
	s_add_u32 s28, s12, s20
	s_addc_u32 s2, s13, s2
	s_mov_b32 s31, s23
	s_and_b32 s29, s2, 0xffff
	s_waitcnt_depctr 0xfff
	v_mul_f32_e32 v28, v28, v38
	v_mul_f32_e32 v25, v25, v38
	;; [unrolled: 1-line block ×5, first 2 shown]
	v_cvt_i32_f32_e32 v28, v28
	v_cvt_i32_f32_e32 v25, v25
	;; [unrolled: 1-line block ×4, first 2 shown]
	v_mul_f32_e32 v36, v36, v38
	v_mul_f32_e32 v37, v37, v38
	;; [unrolled: 1-line block ×5, first 2 shown]
	v_lshlrev_b16 v28, 8, v28
	v_and_b32_e32 v25, 0xff, v25
	v_lshlrev_b16 v29, 8, v29
	v_and_b32_e32 v24, 0xff, v24
	v_cvt_i32_f32_e32 v36, v36
	v_mul_f32_e32 v35, v35, v38
	v_cvt_i32_f32_e32 v32, v32
	v_mul_f32_e32 v33, v33, v38
	v_cvt_i32_f32_e32 v34, v34
	v_cvt_i32_f32_e32 v26, v26
	;; [unrolled: 1-line block ×3, first 2 shown]
	v_mul_f32_e32 v23, v23, v38
	v_mul_f32_e32 v22, v22, v38
	v_or_b32_e32 v25, v25, v28
	v_and_b32_e32 v28, 0xff, v32
	v_mul_f32_e32 v30, v30, v38
	v_or_b32_e32 v24, v24, v29
	v_mul_f32_e32 v31, v31, v38
	v_cvt_i32_f32_e32 v37, v37
	v_cvt_i32_f32_e32 v33, v33
	v_lshlrev_b16 v27, 8, v27
	v_lshlrev_b32_e32 v24, 16, v24
	v_cvt_i32_f32_e32 v31, v31
	v_and_b32_e32 v26, 0xff, v26
	v_cvt_i32_f32_e32 v23, v23
	v_cvt_i32_f32_e32 v22, v22
	v_and_b32_e32 v25, 0xffff, v25
	v_cvt_i32_f32_e32 v30, v30
	v_and_b32_e32 v32, 0xff, v34
	v_and_b32_e32 v34, 0xff, v36
	v_cvt_i32_f32_e32 v35, v35
	v_or_b32_e32 v26, v26, v27
	v_lshlrev_b16 v23, 8, v23
	v_and_b32_e32 v22, 0xff, v22
	v_lshlrev_b16 v27, 8, v33
	v_lshlrev_b16 v29, 8, v35
	;; [unrolled: 1-line block ×4, first 2 shown]
	v_and_b32_e32 v30, 0xff, v30
	v_or_b32_e32 v22, v22, v23
	v_or_b32_e32 v23, v28, v27
	;; [unrolled: 1-line block ×5, first 2 shown]
	v_and_b32_e32 v26, 0xffff, v26
	v_lshlrev_b32_e32 v22, 16, v22
	v_and_b32_e32 v23, 0xffff, v23
	v_lshlrev_b32_e32 v27, 16, v27
	;; [unrolled: 2-line block ×3, first 2 shown]
	v_or_b32_e32 v25, v25, v24
	v_or_b32_e32 v24, v26, v22
	;; [unrolled: 1-line block ×3, first 2 shown]
	s_delay_alu instid0(VALU_DEP_4)
	v_or_b32_e32 v22, v28, v29
	buffer_store_b128 v[22:25], v0, s[28:31], 0 offen
	;;#ASMSTART
	s_nop 0
	;;#ASMEND
	s_branch .LBB114_9
.LBB114_18:
	s_nop 0
	s_sendmsg sendmsg(MSG_DEALLOC_VGPRS)
	s_endpgm
.LBB114_19:
                                        ; implicit-def: $sgpr4
	s_branch .LBB114_2
	.section	.rodata,"a",@progbits
	.p2align	6, 0x0
	.amdhsa_kernel _ZN5aiter36smooth_per_token_scaled_quant_kernelIDF16_aLi256ELi16ELb1ELb0ELb0ELi1024EEEvPT0_PfPT_S3_PiS6_iiPKiiiiiiiii
		.amdhsa_group_segment_fixed_size 32
		.amdhsa_private_segment_fixed_size 0
		.amdhsa_kernarg_size 96
		.amdhsa_user_sgpr_count 15
		.amdhsa_user_sgpr_dispatch_ptr 0
		.amdhsa_user_sgpr_queue_ptr 0
		.amdhsa_user_sgpr_kernarg_segment_ptr 1
		.amdhsa_user_sgpr_dispatch_id 0
		.amdhsa_user_sgpr_private_segment_size 0
		.amdhsa_wavefront_size32 1
		.amdhsa_uses_dynamic_stack 0
		.amdhsa_enable_private_segment 0
		.amdhsa_system_sgpr_workgroup_id_x 1
		.amdhsa_system_sgpr_workgroup_id_y 0
		.amdhsa_system_sgpr_workgroup_id_z 0
		.amdhsa_system_sgpr_workgroup_info 0
		.amdhsa_system_vgpr_workitem_id 0
		.amdhsa_next_free_vgpr 46
		.amdhsa_next_free_sgpr 40
		.amdhsa_reserve_vcc 1
		.amdhsa_float_round_mode_32 0
		.amdhsa_float_round_mode_16_64 0
		.amdhsa_float_denorm_mode_32 3
		.amdhsa_float_denorm_mode_16_64 3
		.amdhsa_dx10_clamp 1
		.amdhsa_ieee_mode 1
		.amdhsa_fp16_overflow 0
		.amdhsa_workgroup_processor_mode 1
		.amdhsa_memory_ordered 1
		.amdhsa_forward_progress 0
		.amdhsa_shared_vgpr_count 0
		.amdhsa_exception_fp_ieee_invalid_op 0
		.amdhsa_exception_fp_denorm_src 0
		.amdhsa_exception_fp_ieee_div_zero 0
		.amdhsa_exception_fp_ieee_overflow 0
		.amdhsa_exception_fp_ieee_underflow 0
		.amdhsa_exception_fp_ieee_inexact 0
		.amdhsa_exception_int_div_zero 0
	.end_amdhsa_kernel
	.section	.text._ZN5aiter36smooth_per_token_scaled_quant_kernelIDF16_aLi256ELi16ELb1ELb0ELb0ELi1024EEEvPT0_PfPT_S3_PiS6_iiPKiiiiiiiii,"axG",@progbits,_ZN5aiter36smooth_per_token_scaled_quant_kernelIDF16_aLi256ELi16ELb1ELb0ELb0ELi1024EEEvPT0_PfPT_S3_PiS6_iiPKiiiiiiiii,comdat
.Lfunc_end114:
	.size	_ZN5aiter36smooth_per_token_scaled_quant_kernelIDF16_aLi256ELi16ELb1ELb0ELb0ELi1024EEEvPT0_PfPT_S3_PiS6_iiPKiiiiiiiii, .Lfunc_end114-_ZN5aiter36smooth_per_token_scaled_quant_kernelIDF16_aLi256ELi16ELb1ELb0ELb0ELi1024EEEvPT0_PfPT_S3_PiS6_iiPKiiiiiiiii
                                        ; -- End function
	.section	.AMDGPU.csdata,"",@progbits
; Kernel info:
; codeLenInByte = 1928
; NumSgprs: 42
; NumVgprs: 46
; ScratchSize: 0
; MemoryBound: 0
; FloatMode: 240
; IeeeMode: 1
; LDSByteSize: 32 bytes/workgroup (compile time only)
; SGPRBlocks: 5
; VGPRBlocks: 5
; NumSGPRsForWavesPerEU: 42
; NumVGPRsForWavesPerEU: 46
; Occupancy: 16
; WaveLimiterHint : 0
; COMPUTE_PGM_RSRC2:SCRATCH_EN: 0
; COMPUTE_PGM_RSRC2:USER_SGPR: 15
; COMPUTE_PGM_RSRC2:TRAP_HANDLER: 0
; COMPUTE_PGM_RSRC2:TGID_X_EN: 1
; COMPUTE_PGM_RSRC2:TGID_Y_EN: 0
; COMPUTE_PGM_RSRC2:TGID_Z_EN: 0
; COMPUTE_PGM_RSRC2:TIDIG_COMP_CNT: 0
	.section	.text._ZN5aiter36smooth_per_token_scaled_quant_kernelItaLi256ELi16ELb1ELb0ELb0ELi1024EEEvPT0_PfPT_S3_PiS6_iiPKiiiiiiiii,"axG",@progbits,_ZN5aiter36smooth_per_token_scaled_quant_kernelItaLi256ELi16ELb1ELb0ELb0ELi1024EEEvPT0_PfPT_S3_PiS6_iiPKiiiiiiiii,comdat
	.protected	_ZN5aiter36smooth_per_token_scaled_quant_kernelItaLi256ELi16ELb1ELb0ELb0ELi1024EEEvPT0_PfPT_S3_PiS6_iiPKiiiiiiiii ; -- Begin function _ZN5aiter36smooth_per_token_scaled_quant_kernelItaLi256ELi16ELb1ELb0ELb0ELi1024EEEvPT0_PfPT_S3_PiS6_iiPKiiiiiiiii
	.globl	_ZN5aiter36smooth_per_token_scaled_quant_kernelItaLi256ELi16ELb1ELb0ELb0ELi1024EEEvPT0_PfPT_S3_PiS6_iiPKiiiiiiiii
	.p2align	8
	.type	_ZN5aiter36smooth_per_token_scaled_quant_kernelItaLi256ELi16ELb1ELb0ELb0ELi1024EEEvPT0_PfPT_S3_PiS6_iiPKiiiiiiiii,@function
_ZN5aiter36smooth_per_token_scaled_quant_kernelItaLi256ELi16ELb1ELb0ELb0ELi1024EEEvPT0_PfPT_S3_PiS6_iiPKiiiiiiiii: ; @_ZN5aiter36smooth_per_token_scaled_quant_kernelItaLi256ELi16ELb1ELb0ELb0ELi1024EEEvPT0_PfPT_S3_PiS6_iiPKiiiiiiiii
; %bb.0:
	s_clause 0x1
	s_load_b64 s[2:3], s[0:1], 0x38
	s_load_b256 s[4:11], s[0:1], 0x40
	s_waitcnt lgkmcnt(0)
	s_cmp_lg_u64 s[2:3], 0
	s_cbranch_scc0 .LBB115_19
; %bb.1:
	s_load_b32 s2, s[2:3], 0x0
	s_waitcnt lgkmcnt(0)
	s_mul_i32 s4, s2, s4
	s_cbranch_execnz .LBB115_3
.LBB115_2:
	s_mul_i32 s4, s6, s5
.LBB115_3:
	s_load_b64 s[2:3], s[0:1], 0x30
	s_abs_i32 s14, s4
	s_waitcnt lgkmcnt(0)
	s_abs_i32 s11, s2
	s_delay_alu instid0(SALU_CYCLE_1) | instskip(SKIP_1) | instid1(VALU_DEP_1)
	v_cvt_f32_u32_e32 v1, s11
	s_sub_i32 s13, 0, s11
	v_rcp_iflag_f32_e32 v1, v1
	s_waitcnt_depctr 0xfff
	v_mul_f32_e32 v1, 0x4f7ffffe, v1
	s_delay_alu instid0(VALU_DEP_1) | instskip(NEXT) | instid1(VALU_DEP_1)
	v_cvt_u32_f32_e32 v1, v1
	v_readfirstlane_b32 s12, v1
	s_delay_alu instid0(VALU_DEP_1) | instskip(NEXT) | instid1(SALU_CYCLE_1)
	s_mul_i32 s13, s13, s12
	s_mul_hi_u32 s13, s12, s13
	s_delay_alu instid0(SALU_CYCLE_1) | instskip(SKIP_4) | instid1(SALU_CYCLE_1)
	s_add_i32 s12, s12, s13
	s_xor_b32 s13, s4, s2
	s_mul_hi_u32 s12, s14, s12
	s_ashr_i32 s13, s13, 31
	s_mul_i32 s16, s12, s11
	s_sub_i32 s14, s14, s16
	s_add_i32 s16, s12, 1
	s_sub_i32 s17, s14, s11
	s_cmp_ge_u32 s14, s11
	s_cselect_b32 s12, s16, s12
	s_cselect_b32 s14, s17, s14
	s_add_i32 s16, s12, 1
	s_cmp_ge_u32 s14, s11
	s_cselect_b32 s11, s16, s12
	s_delay_alu instid0(SALU_CYCLE_1) | instskip(NEXT) | instid1(SALU_CYCLE_1)
	s_xor_b32 s11, s11, s13
	s_sub_i32 s11, s11, s13
	s_mov_b32 s13, 0
	s_mul_i32 s2, s11, s2
	s_delay_alu instid0(SALU_CYCLE_1) | instskip(NEXT) | instid1(SALU_CYCLE_1)
	s_sub_i32 s4, s4, s2
	s_cmp_lt_u32 s15, s4
	s_cselect_b32 s2, -1, 0
	s_add_i32 s12, s11, 1
	s_cmp_ge_u32 s15, s4
	s_cbranch_scc0 .LBB115_5
; %bb.4:
	s_sub_i32 s14, s15, s4
	s_mul_i32 s4, s4, s12
	s_mul_i32 s14, s14, s11
	s_delay_alu instid0(SALU_CYCLE_1)
	s_add_i32 s4, s14, s4
	s_and_not1_b32 vcc_lo, exec_lo, s13
	s_cbranch_vccz .LBB115_6
	s_branch .LBB115_7
.LBB115_5:
                                        ; implicit-def: $sgpr4
.LBB115_6:
	s_mul_i32 s4, s12, s15
.LBB115_7:
	v_cndmask_b32_e64 v1, 0, 1, s2
	s_delay_alu instid0(VALU_DEP_1) | instskip(NEXT) | instid1(VALU_DEP_1)
	v_readfirstlane_b32 s2, v1
	s_add_i32 s11, s11, s2
	s_delay_alu instid0(SALU_CYCLE_1)
	s_cmp_lt_i32 s11, 1
	s_cbranch_scc1 .LBB115_18
; %bb.8:
	s_abs_i32 s34, s6
	s_abs_i32 s35, s5
	v_cvt_f32_u32_e32 v6, s34
	v_cvt_f32_u32_e32 v7, s35
	v_and_b32_e32 v3, 31, v0
	v_lshrrev_b32_e32 v4, 3, v0
	v_and_b32_e32 v5, 7, v0
	v_rcp_iflag_f32_e32 v6, v6
	v_rcp_iflag_f32_e32 v7, v7
	s_load_b256 s[12:19], s[0:1], 0x0
	s_add_i32 s1, s3, 15
	v_lshlrev_b32_e32 v2, 6, v0
	s_ashr_i32 s0, s1, 31
	v_cmp_eq_u32_e32 vcc_lo, 31, v3
	v_and_b32_e32 v3, 0x7c, v4
	v_lshlrev_b32_e32 v4, 2, v5
	s_lshr_b32 s2, s0, 28
	s_waitcnt_depctr 0xfff
	v_mul_f32_e32 v5, 0x4f7ffffe, v6
	v_dual_mul_f32 v6, 0x4f7ffffe, v7 :: v_dual_lshlrev_b32 v1, 5, v0
	s_add_i32 s1, s1, s2
	s_add_i32 s2, s3, 3
	s_mov_b32 s33, s3
	s_lshl_b32 s22, s3, 1
	s_lshl_b32 s26, s3, 2
	s_ashr_i32 s3, s2, 31
	v_cvt_u32_f32_e32 v5, v5
	s_lshr_b32 s3, s3, 30
	v_cvt_u32_f32_e32 v6, v6
	s_add_i32 s2, s2, s3
	s_sub_i32 s3, 0, s34
	s_and_b32 s30, s2, -4
	v_readfirstlane_b32 s2, v5
	v_readfirstlane_b32 s20, v6
	s_sub_i32 s21, 0, s35
	s_ashr_i32 s1, s1, 4
	v_cmp_eq_u32_e64 s0, 0, v0
	s_mul_i32 s3, s3, s2
	s_mul_i32 s21, s21, s20
	s_mul_hi_u32 s3, s2, s3
	v_cmp_gt_u32_e64 s1, s1, v0
	v_dual_mov_b32 v5, 0 :: v_dual_lshlrev_b32 v0, 4, v0
	s_mov_b32 s23, -1
	s_waitcnt lgkmcnt(0)
	s_and_b32 s19, s19, 0xffff
	s_add_i32 s37, s2, s3
	s_mul_hi_u32 s2, s20, s21
	s_mov_b32 s27, s23
	s_ashr_i32 s36, s6, 31
	s_ashr_i32 s38, s5, 31
	s_add_i32 s39, s20, s2
	s_mov_b32 s24, s18
	s_mov_b32 s25, s19
	s_mov_b32 s18, 0x76543210
	s_mov_b32 s19, s23
                                        ; implicit-def: $vgpr6
                                        ; implicit-def: $vgpr7
                                        ; implicit-def: $vgpr8
                                        ; implicit-def: $vgpr9
                                        ; implicit-def: $vgpr10
                                        ; implicit-def: $vgpr11
                                        ; implicit-def: $vgpr12
                                        ; implicit-def: $vgpr13
                                        ; implicit-def: $vgpr14
                                        ; implicit-def: $vgpr15
                                        ; implicit-def: $vgpr16
                                        ; implicit-def: $vgpr17
                                        ; implicit-def: $vgpr18
                                        ; implicit-def: $vgpr19
                                        ; implicit-def: $vgpr20
                                        ; implicit-def: $vgpr21
	s_branch .LBB115_10
.LBB115_9:                              ;   in Loop: Header=BB115_10 Depth=1
	s_or_b32 exec_lo, exec_lo, s3
	s_add_i32 s11, s11, -1
	s_add_i32 s4, s4, 1
	s_cmp_eq_u32 s11, 0
	s_cbranch_scc1 .LBB115_18
.LBB115_10:                             ; =>This Inner Loop Header: Depth=1
	s_abs_i32 s3, s4
	s_ashr_i32 s28, s4, 31
	s_mul_hi_u32 s2, s3, s37
	s_xor_b32 s21, s28, s36
	s_mul_i32 s20, s2, s34
	s_add_i32 s29, s2, 1
	s_sub_i32 s20, s3, s20
	s_delay_alu instid0(SALU_CYCLE_1)
	s_sub_i32 s31, s20, s34
	s_cmp_ge_u32 s20, s34
	s_cselect_b32 s2, s29, s2
	s_cselect_b32 s20, s31, s20
	s_add_i32 s29, s2, 1
	s_cmp_ge_u32 s20, s34
	s_cselect_b32 s2, s29, s2
	s_delay_alu instid0(SALU_CYCLE_1) | instskip(NEXT) | instid1(SALU_CYCLE_1)
	s_xor_b32 s2, s2, s21
	s_sub_i32 s2, s2, s21
	s_delay_alu instid0(SALU_CYCLE_1) | instskip(SKIP_2) | instid1(SALU_CYCLE_1)
	s_mul_i32 s20, s2, s6
	s_mul_i32 s2, s2, s7
	s_sub_i32 s20, s4, s20
	s_mul_i32 s20, s20, s8
	s_delay_alu instid0(SALU_CYCLE_1) | instskip(NEXT) | instid1(SALU_CYCLE_1)
	s_add_i32 s2, s20, s2
	s_cmp_eq_u32 s2, s19
	s_cbranch_scc1 .LBB115_12
; %bb.11:                               ;   in Loop: Header=BB115_10 Depth=1
	s_mul_hi_i32 s21, s2, s33
	s_mul_i32 s20, s2, s33
	s_delay_alu instid0(SALU_CYCLE_1) | instskip(NEXT) | instid1(SALU_CYCLE_1)
	s_lshl_b64 s[20:21], s[20:21], 1
	s_add_u32 s20, s16, s20
	s_addc_u32 s19, s17, s21
	s_delay_alu instid0(SALU_CYCLE_1)
	s_and_b32 s21, s19, 0xffff
	s_clause 0x1
	buffer_load_b128 v[6:9], v1, s[20:23], 0 offen
	buffer_load_b128 v[10:13], v1, s[20:23], 16 offen
	s_mov_b32 s19, s2
	s_waitcnt vmcnt(1)
	v_and_b32_e32 v14, 0xffff, v6
	v_lshrrev_b32_e32 v15, 16, v6
	v_and_b32_e32 v16, 0xffff, v7
	v_lshrrev_b32_e32 v17, 16, v7
	;; [unrolled: 2-line block ×4, first 2 shown]
	s_waitcnt vmcnt(0)
	v_and_b32_e32 v22, 0xffff, v10
	v_lshrrev_b32_e32 v23, 16, v10
	v_and_b32_e32 v24, 0xffff, v11
	v_lshrrev_b32_e32 v25, 16, v11
	;; [unrolled: 2-line block ×4, first 2 shown]
	v_cvt_f32_u32_e32 v6, v14
	v_cvt_f32_u32_e32 v7, v15
	;; [unrolled: 1-line block ×16, first 2 shown]
.LBB115_12:                             ;   in Loop: Header=BB115_10 Depth=1
	s_clause 0x3
	buffer_load_b128 v[22:25], v2, s[24:27], 0 offen
	buffer_load_b128 v[26:29], v2, s[24:27], 16 offen
	;; [unrolled: 1-line block ×4, first 2 shown]
	s_waitcnt vmcnt(3)
	v_dual_mul_f32 v36, v6, v22 :: v_dual_mul_f32 v37, v7, v23
	v_dual_mul_f32 v30, v8, v24 :: v_dual_mul_f32 v31, v9, v25
	s_waitcnt vmcnt(2)
	v_dual_mul_f32 v32, v10, v26 :: v_dual_mul_f32 v33, v11, v27
	s_delay_alu instid0(VALU_DEP_3) | instskip(SKIP_3) | instid1(VALU_DEP_3)
	v_max3_f32 v22, |v36|, 0x2edbe6ff, |v37|
	v_dual_mul_f32 v34, v12, v28 :: v_dual_mul_f32 v35, v13, v29
	s_waitcnt vmcnt(1)
	v_dual_mul_f32 v26, v14, v38 :: v_dual_mul_f32 v27, v15, v39
	v_max3_f32 v22, v22, |v30|, |v31|
	s_waitcnt vmcnt(0)
	v_dual_mul_f32 v25, v18, v42 :: v_dual_mul_f32 v28, v19, v43
	v_mul_f32_e32 v23, v17, v41
	v_mul_f32_e32 v29, v21, v45
	v_max3_f32 v22, v22, |v32|, |v33|
	s_delay_alu instid0(VALU_DEP_1) | instskip(SKIP_1) | instid1(VALU_DEP_2)
	v_max3_f32 v24, v22, |v34|, |v35|
	v_mul_f32_e32 v22, v16, v40
	v_max3_f32 v24, v24, |v26|, |v27|
	s_delay_alu instid0(VALU_DEP_1) | instskip(SKIP_1) | instid1(VALU_DEP_2)
	v_max3_f32 v38, v24, |v22|, |v23|
	v_mul_f32_e32 v24, v20, v44
	v_max3_f32 v38, v38, |v25|, |v28|
	s_delay_alu instid0(VALU_DEP_1) | instskip(NEXT) | instid1(VALU_DEP_1)
	v_max3_f32 v38, v38, |v24|, |v29|
	v_mov_b32_dpp v39, v38 quad_perm:[1,0,3,2] row_mask:0xf bank_mask:0xf
	s_delay_alu instid0(VALU_DEP_1) | instskip(NEXT) | instid1(VALU_DEP_1)
	v_cmp_gt_f32_e64 s2, v38, v39
	v_cndmask_b32_e64 v38, v39, v38, s2
	s_delay_alu instid0(VALU_DEP_1) | instskip(NEXT) | instid1(VALU_DEP_1)
	v_mov_b32_dpp v39, v38 quad_perm:[2,3,0,1] row_mask:0xf bank_mask:0xf
	v_cmp_gt_f32_e64 s2, v38, v39
	s_delay_alu instid0(VALU_DEP_1) | instskip(NEXT) | instid1(VALU_DEP_1)
	v_cndmask_b32_e64 v38, v39, v38, s2
	v_mov_b32_dpp v39, v38 row_xmask:7 row_mask:0xf bank_mask:0xf
	s_delay_alu instid0(VALU_DEP_1) | instskip(NEXT) | instid1(VALU_DEP_1)
	v_cmp_gt_f32_e64 s2, v38, v39
	v_cndmask_b32_e64 v38, v39, v38, s2
	s_delay_alu instid0(VALU_DEP_1) | instskip(NEXT) | instid1(VALU_DEP_1)
	v_mov_b32_dpp v39, v38 row_xmask:15 row_mask:0xf bank_mask:0xf
	v_cmp_gt_f32_e64 s2, v38, v39
	s_and_saveexec_b32 s20, vcc_lo
	s_cbranch_execz .LBB115_14
; %bb.13:                               ;   in Loop: Header=BB115_10 Depth=1
	s_delay_alu instid0(VALU_DEP_1) | instskip(NEXT) | instid1(VALU_DEP_1)
	v_cndmask_b32_e64 v38, v39, v38, s2
	v_permlanex16_b32 v39, v38, s18, 0xfedcba98 op_sel:[1,1]
	s_delay_alu instid0(VALU_DEP_1) | instskip(NEXT) | instid1(VALU_DEP_1)
	v_cmp_gt_f32_e64 s2, v38, v39
	v_cndmask_b32_e64 v38, v39, v38, s2
	ds_store_b32 v3, v38
.LBB115_14:                             ;   in Loop: Header=BB115_10 Depth=1
	s_or_b32 exec_lo, exec_lo, s20
	s_waitcnt lgkmcnt(0)
	s_waitcnt_vscnt null, 0x0
	s_barrier
	buffer_gl0_inv
	ds_load_b32 v38, v4
	s_mul_hi_u32 s20, s3, s39
	s_xor_b32 s28, s28, s38
	s_mul_i32 s21, s20, s35
	s_waitcnt lgkmcnt(0)
	v_mov_b32_dpp v39, v38 quad_perm:[1,0,3,2] row_mask:0xf bank_mask:0xf
	s_delay_alu instid0(VALU_DEP_1) | instskip(NEXT) | instid1(VALU_DEP_1)
	v_cmp_gt_f32_e64 s2, v38, v39
	v_cndmask_b32_e64 v38, v39, v38, s2
	s_sub_i32 s2, s3, s21
	s_add_i32 s3, s20, 1
	s_sub_i32 s21, s2, s35
	s_cmp_ge_u32 s2, s35
	v_mov_b32_dpp v39, v38 quad_perm:[2,3,0,1] row_mask:0xf bank_mask:0xf
	s_cselect_b32 s3, s3, s20
	s_cselect_b32 s20, s21, s2
	s_delay_alu instid0(VALU_DEP_1) | instskip(NEXT) | instid1(VALU_DEP_1)
	v_cmp_gt_f32_e64 s2, v38, v39
	v_cndmask_b32_e64 v38, v39, v38, s2
	s_add_i32 s2, s3, 1
	s_cmp_ge_u32 s20, s35
	s_cselect_b32 s2, s2, s3
	s_delay_alu instid0(VALU_DEP_1) | instskip(SKIP_1) | instid1(SALU_CYCLE_1)
	v_mov_b32_dpp v39, v38 row_xmask:7 row_mask:0xf bank_mask:0xf
	s_xor_b32 s2, s2, s28
	s_sub_i32 s3, s2, s28
	s_delay_alu instid0(VALU_DEP_1) | instskip(NEXT) | instid1(VALU_DEP_1)
	v_cmp_gt_f32_e64 s2, v38, v39
	v_cndmask_b32_e64 v38, v39, v38, s2
	s_mul_i32 s2, s3, s5
	s_mul_i32 s3, s3, s9
	s_sub_i32 s2, s4, s2
	s_delay_alu instid0(VALU_DEP_1) | instskip(SKIP_1) | instid1(SALU_CYCLE_1)
	v_mul_f32_e32 v38, 0x3c010204, v38
	s_mul_i32 s2, s2, s10
	s_add_i32 s2, s2, s3
	s_and_saveexec_b32 s20, s0
	s_cbranch_execz .LBB115_16
; %bb.15:                               ;   in Loop: Header=BB115_10 Depth=1
	s_ashr_i32 s3, s2, 31
	s_delay_alu instid0(SALU_CYCLE_1) | instskip(NEXT) | instid1(SALU_CYCLE_1)
	s_lshl_b64 s[28:29], s[2:3], 2
	s_add_u32 s28, s14, s28
	s_addc_u32 s29, s15, s29
	global_store_b32 v5, v38, s[28:29]
.LBB115_16:                             ;   in Loop: Header=BB115_10 Depth=1
	s_or_b32 exec_lo, exec_lo, s20
	s_and_saveexec_b32 s3, s1
	s_cbranch_execz .LBB115_9
; %bb.17:                               ;   in Loop: Header=BB115_10 Depth=1
	v_rcp_f32_e32 v38, v38
	s_mul_i32 s20, s2, s33
	s_mul_hi_i32 s2, s2, s33
	s_add_u32 s28, s12, s20
	s_addc_u32 s2, s13, s2
	s_mov_b32 s31, s23
	s_and_b32 s29, s2, 0xffff
	s_waitcnt_depctr 0xfff
	v_mul_f32_e32 v28, v28, v38
	v_mul_f32_e32 v25, v25, v38
	;; [unrolled: 1-line block ×5, first 2 shown]
	v_cvt_i32_f32_e32 v28, v28
	v_cvt_i32_f32_e32 v25, v25
	;; [unrolled: 1-line block ×4, first 2 shown]
	v_mul_f32_e32 v36, v36, v38
	v_mul_f32_e32 v37, v37, v38
	v_mul_f32_e32 v34, v34, v38
	v_mul_f32_e32 v26, v26, v38
	v_mul_f32_e32 v27, v27, v38
	v_lshlrev_b16 v28, 8, v28
	v_and_b32_e32 v25, 0xff, v25
	v_lshlrev_b16 v29, 8, v29
	v_and_b32_e32 v24, 0xff, v24
	v_cvt_i32_f32_e32 v36, v36
	v_mul_f32_e32 v35, v35, v38
	v_cvt_i32_f32_e32 v32, v32
	v_mul_f32_e32 v33, v33, v38
	v_cvt_i32_f32_e32 v34, v34
	v_cvt_i32_f32_e32 v26, v26
	v_cvt_i32_f32_e32 v27, v27
	v_mul_f32_e32 v23, v23, v38
	v_mul_f32_e32 v22, v22, v38
	v_or_b32_e32 v25, v25, v28
	v_and_b32_e32 v28, 0xff, v32
	v_mul_f32_e32 v30, v30, v38
	v_or_b32_e32 v24, v24, v29
	v_mul_f32_e32 v31, v31, v38
	v_cvt_i32_f32_e32 v37, v37
	v_cvt_i32_f32_e32 v33, v33
	v_lshlrev_b16 v27, 8, v27
	v_lshlrev_b32_e32 v24, 16, v24
	v_cvt_i32_f32_e32 v31, v31
	v_and_b32_e32 v26, 0xff, v26
	v_cvt_i32_f32_e32 v23, v23
	v_cvt_i32_f32_e32 v22, v22
	v_and_b32_e32 v25, 0xffff, v25
	v_cvt_i32_f32_e32 v30, v30
	v_and_b32_e32 v32, 0xff, v34
	v_and_b32_e32 v34, 0xff, v36
	v_cvt_i32_f32_e32 v35, v35
	v_or_b32_e32 v26, v26, v27
	v_lshlrev_b16 v23, 8, v23
	v_and_b32_e32 v22, 0xff, v22
	v_lshlrev_b16 v27, 8, v33
	v_lshlrev_b16 v29, 8, v35
	v_lshlrev_b16 v33, 8, v37
	v_lshlrev_b16 v31, 8, v31
	v_and_b32_e32 v30, 0xff, v30
	v_or_b32_e32 v22, v22, v23
	v_or_b32_e32 v23, v28, v27
	;; [unrolled: 1-line block ×5, first 2 shown]
	v_and_b32_e32 v26, 0xffff, v26
	v_lshlrev_b32_e32 v22, 16, v22
	v_and_b32_e32 v23, 0xffff, v23
	v_lshlrev_b32_e32 v27, 16, v27
	;; [unrolled: 2-line block ×3, first 2 shown]
	v_or_b32_e32 v25, v25, v24
	v_or_b32_e32 v24, v26, v22
	;; [unrolled: 1-line block ×3, first 2 shown]
	s_delay_alu instid0(VALU_DEP_4)
	v_or_b32_e32 v22, v28, v29
	buffer_store_b128 v[22:25], v0, s[28:31], 0 offen
	;;#ASMSTART
	s_nop 0
	;;#ASMEND
	s_branch .LBB115_9
.LBB115_18:
	s_nop 0
	s_sendmsg sendmsg(MSG_DEALLOC_VGPRS)
	s_endpgm
.LBB115_19:
                                        ; implicit-def: $sgpr4
	s_branch .LBB115_2
	.section	.rodata,"a",@progbits
	.p2align	6, 0x0
	.amdhsa_kernel _ZN5aiter36smooth_per_token_scaled_quant_kernelItaLi256ELi16ELb1ELb0ELb0ELi1024EEEvPT0_PfPT_S3_PiS6_iiPKiiiiiiiii
		.amdhsa_group_segment_fixed_size 32
		.amdhsa_private_segment_fixed_size 0
		.amdhsa_kernarg_size 96
		.amdhsa_user_sgpr_count 15
		.amdhsa_user_sgpr_dispatch_ptr 0
		.amdhsa_user_sgpr_queue_ptr 0
		.amdhsa_user_sgpr_kernarg_segment_ptr 1
		.amdhsa_user_sgpr_dispatch_id 0
		.amdhsa_user_sgpr_private_segment_size 0
		.amdhsa_wavefront_size32 1
		.amdhsa_uses_dynamic_stack 0
		.amdhsa_enable_private_segment 0
		.amdhsa_system_sgpr_workgroup_id_x 1
		.amdhsa_system_sgpr_workgroup_id_y 0
		.amdhsa_system_sgpr_workgroup_id_z 0
		.amdhsa_system_sgpr_workgroup_info 0
		.amdhsa_system_vgpr_workitem_id 0
		.amdhsa_next_free_vgpr 46
		.amdhsa_next_free_sgpr 40
		.amdhsa_reserve_vcc 1
		.amdhsa_float_round_mode_32 0
		.amdhsa_float_round_mode_16_64 0
		.amdhsa_float_denorm_mode_32 3
		.amdhsa_float_denorm_mode_16_64 3
		.amdhsa_dx10_clamp 1
		.amdhsa_ieee_mode 1
		.amdhsa_fp16_overflow 0
		.amdhsa_workgroup_processor_mode 1
		.amdhsa_memory_ordered 1
		.amdhsa_forward_progress 0
		.amdhsa_shared_vgpr_count 0
		.amdhsa_exception_fp_ieee_invalid_op 0
		.amdhsa_exception_fp_denorm_src 0
		.amdhsa_exception_fp_ieee_div_zero 0
		.amdhsa_exception_fp_ieee_overflow 0
		.amdhsa_exception_fp_ieee_underflow 0
		.amdhsa_exception_fp_ieee_inexact 0
		.amdhsa_exception_int_div_zero 0
	.end_amdhsa_kernel
	.section	.text._ZN5aiter36smooth_per_token_scaled_quant_kernelItaLi256ELi16ELb1ELb0ELb0ELi1024EEEvPT0_PfPT_S3_PiS6_iiPKiiiiiiiii,"axG",@progbits,_ZN5aiter36smooth_per_token_scaled_quant_kernelItaLi256ELi16ELb1ELb0ELb0ELi1024EEEvPT0_PfPT_S3_PiS6_iiPKiiiiiiiii,comdat
.Lfunc_end115:
	.size	_ZN5aiter36smooth_per_token_scaled_quant_kernelItaLi256ELi16ELb1ELb0ELb0ELi1024EEEvPT0_PfPT_S3_PiS6_iiPKiiiiiiiii, .Lfunc_end115-_ZN5aiter36smooth_per_token_scaled_quant_kernelItaLi256ELi16ELb1ELb0ELb0ELi1024EEEvPT0_PfPT_S3_PiS6_iiPKiiiiiiiii
                                        ; -- End function
	.section	.AMDGPU.csdata,"",@progbits
; Kernel info:
; codeLenInByte = 1992
; NumSgprs: 42
; NumVgprs: 46
; ScratchSize: 0
; MemoryBound: 0
; FloatMode: 240
; IeeeMode: 1
; LDSByteSize: 32 bytes/workgroup (compile time only)
; SGPRBlocks: 5
; VGPRBlocks: 5
; NumSGPRsForWavesPerEU: 42
; NumVGPRsForWavesPerEU: 46
; Occupancy: 16
; WaveLimiterHint : 0
; COMPUTE_PGM_RSRC2:SCRATCH_EN: 0
; COMPUTE_PGM_RSRC2:USER_SGPR: 15
; COMPUTE_PGM_RSRC2:TRAP_HANDLER: 0
; COMPUTE_PGM_RSRC2:TGID_X_EN: 1
; COMPUTE_PGM_RSRC2:TGID_Y_EN: 0
; COMPUTE_PGM_RSRC2:TGID_Z_EN: 0
; COMPUTE_PGM_RSRC2:TIDIG_COMP_CNT: 0
	.section	.text._ZN5aiter36smooth_per_token_scaled_quant_kernelIDF16_aLi256ELi16ELb0ELb1ELb1ELi1024EEEvPT0_PfPT_S3_PiS6_iiPKiiiiiiiii,"axG",@progbits,_ZN5aiter36smooth_per_token_scaled_quant_kernelIDF16_aLi256ELi16ELb0ELb1ELb1ELi1024EEEvPT0_PfPT_S3_PiS6_iiPKiiiiiiiii,comdat
	.protected	_ZN5aiter36smooth_per_token_scaled_quant_kernelIDF16_aLi256ELi16ELb0ELb1ELb1ELi1024EEEvPT0_PfPT_S3_PiS6_iiPKiiiiiiiii ; -- Begin function _ZN5aiter36smooth_per_token_scaled_quant_kernelIDF16_aLi256ELi16ELb0ELb1ELb1ELi1024EEEvPT0_PfPT_S3_PiS6_iiPKiiiiiiiii
	.globl	_ZN5aiter36smooth_per_token_scaled_quant_kernelIDF16_aLi256ELi16ELb0ELb1ELb1ELi1024EEEvPT0_PfPT_S3_PiS6_iiPKiiiiiiiii
	.p2align	8
	.type	_ZN5aiter36smooth_per_token_scaled_quant_kernelIDF16_aLi256ELi16ELb0ELb1ELb1ELi1024EEEvPT0_PfPT_S3_PiS6_iiPKiiiiiiiii,@function
_ZN5aiter36smooth_per_token_scaled_quant_kernelIDF16_aLi256ELi16ELb0ELb1ELb1ELi1024EEEvPT0_PfPT_S3_PiS6_iiPKiiiiiiiii: ; @_ZN5aiter36smooth_per_token_scaled_quant_kernelIDF16_aLi256ELi16ELb0ELb1ELb1ELi1024EEEvPT0_PfPT_S3_PiS6_iiPKiiiiiiiii
; %bb.0:
	s_clause 0x2
	s_load_b64 s[2:3], s[0:1], 0x38
	s_load_b64 s[16:17], s[0:1], 0x28
	s_load_b256 s[4:11], s[0:1], 0x40
	s_waitcnt lgkmcnt(0)
	s_cmp_lg_u64 s[2:3], 0
	s_cbranch_scc0 .LBB116_11
; %bb.1:
	s_load_b32 s2, s[2:3], 0x0
	s_waitcnt lgkmcnt(0)
	s_mul_i32 s4, s2, s4
	s_cbranch_execnz .LBB116_3
.LBB116_2:
	s_mul_i32 s4, s6, s5
.LBB116_3:
	s_load_b64 s[2:3], s[0:1], 0x30
	s_lshl_b32 s18, s11, 2
	s_and_b32 s17, s17, 0xffff
	s_mov_b32 s19, -1
	s_abs_i32 s13, s4
	s_waitcnt lgkmcnt(0)
	s_abs_i32 s5, s2
	s_delay_alu instid0(SALU_CYCLE_1) | instskip(SKIP_1) | instid1(VALU_DEP_1)
	v_cvt_f32_u32_e32 v6, s5
	s_sub_i32 s12, 0, s5
	v_rcp_iflag_f32_e32 v6, v6
	s_waitcnt_depctr 0xfff
	v_dual_mul_f32 v6, 0x4f7ffffe, v6 :: v_dual_lshlrev_b32 v1, 2, v0
	s_clause 0x3
	buffer_load_b32 v2, v1, s[16:19], 0 offen
	buffer_load_b32 v3, v1, s[16:19], 0 offen offset:1024
	buffer_load_b32 v4, v1, s[16:19], 0 offen offset:2048
	;; [unrolled: 1-line block ×3, first 2 shown]
	s_waitcnt vmcnt(2)
	ds_store_2addr_stride64_b32 v1, v2, v3 offset1:4
	s_waitcnt vmcnt(0)
	ds_store_2addr_stride64_b32 v1, v4, v5 offset0:8 offset1:12
	v_cvt_u32_f32_e32 v6, v6
	s_delay_alu instid0(VALU_DEP_1) | instskip(NEXT) | instid1(VALU_DEP_1)
	v_readfirstlane_b32 s11, v6
	s_mul_i32 s12, s12, s11
	s_delay_alu instid0(SALU_CYCLE_1) | instskip(NEXT) | instid1(SALU_CYCLE_1)
	s_mul_hi_u32 s12, s11, s12
	s_add_i32 s11, s11, s12
	s_xor_b32 s12, s4, s2
	s_mul_hi_u32 s11, s13, s11
	s_ashr_i32 s12, s12, 31
	s_mul_i32 s14, s11, s5
	s_delay_alu instid0(SALU_CYCLE_1)
	s_sub_i32 s13, s13, s14
	s_add_i32 s14, s11, 1
	s_sub_i32 s16, s13, s5
	s_cmp_ge_u32 s13, s5
	s_cselect_b32 s11, s14, s11
	s_cselect_b32 s13, s16, s13
	s_add_i32 s14, s11, 1
	s_cmp_ge_u32 s13, s5
	s_cselect_b32 s5, s14, s11
	s_delay_alu instid0(SALU_CYCLE_1) | instskip(NEXT) | instid1(SALU_CYCLE_1)
	s_xor_b32 s5, s5, s12
	s_sub_i32 s11, s5, s12
	s_delay_alu instid0(SALU_CYCLE_1) | instskip(NEXT) | instid1(SALU_CYCLE_1)
	s_mul_i32 s2, s11, s2
	s_sub_i32 s12, s4, s2
                                        ; implicit-def: $sgpr4
	s_delay_alu instid0(SALU_CYCLE_1)
	s_cmp_lt_u32 s15, s12
	s_cselect_b32 s2, -1, 0
	s_add_i32 s5, s11, 1
	s_cmp_ge_u32 s15, s12
	s_cbranch_scc0 .LBB116_5
; %bb.4:
	s_sub_i32 s4, s15, s12
	s_mul_i32 s12, s12, s5
	s_mul_i32 s4, s4, s11
	s_mov_b32 s19, 0
	s_add_i32 s4, s4, s12
.LBB116_5:
	s_and_not1_b32 vcc_lo, exec_lo, s19
	s_cbranch_vccnz .LBB116_7
; %bb.6:
	s_mul_i32 s4, s5, s15
.LBB116_7:
	v_cndmask_b32_e64 v1, 0, 1, s2
	s_delay_alu instid0(VALU_DEP_1) | instskip(NEXT) | instid1(VALU_DEP_1)
	v_readfirstlane_b32 s2, v1
	s_add_i32 s11, s11, s2
	s_delay_alu instid0(SALU_CYCLE_1)
	s_cmp_lt_i32 s11, 1
	s_cbranch_scc1 .LBB116_35
; %bb.8:
	s_load_b64 s[12:13], s[0:1], 0x20
	s_ashr_i32 s5, s4, 31
	v_and_b32_e32 v1, 31, v0
	s_lshl_b64 s[14:15], s[4:5], 2
	s_mov_b32 s34, -1
	v_and_b32_e32 v4, 7, v0
	s_mov_b32 s23, s34
	v_cmp_eq_u32_e32 vcc_lo, 31, v1
	v_lshlrev_b32_e32 v16, 5, v0
	v_lshlrev_b32_e32 v17, 6, v0
	v_lshl_or_b32 v19, v4, 2, 0x1000
	v_lshlrev_b32_e32 v21, 4, v0
	s_mov_b32 s41, s3
	s_waitcnt lgkmcnt(0)
	s_add_u32 s20, s12, s14
	s_addc_u32 s2, s13, s15
	s_abs_i32 s33, s6
	s_lshl_b32 s22, s11, 2
	v_cvt_f32_u32_e32 v3, s33
	s_and_b32 s21, s2, 0xffff
	s_load_b256 s[12:19], s[0:1], 0x0
	s_movk_i32 s0, 0x7c
	s_add_i32 s1, s3, 15
	v_rcp_iflag_f32_e32 v3, v3
	v_lshlrev_b32_e32 v22, 2, v1
	v_lshrrev_b32_e32 v1, 3, v0
	s_ashr_i32 s2, s1, 31
	s_lshl_b32 s26, s3, 1
	s_lshr_b32 s2, s2, 28
	s_lshl_b32 s30, s3, 2
	v_and_or_b32 v18, v1, s0, 0x1000
	s_add_i32 s1, s1, s2
	v_cmp_eq_u32_e64 s0, 0, v0
	s_waitcnt_depctr 0xfff
	v_mul_f32_e32 v1, 0x4f7ffffe, v3
	buffer_load_b32 v2, v22, s[20:23], 0 offen
	s_waitcnt vmcnt(0) expcnt(0) lgkmcnt(0)
	s_barrier
	buffer_gl0_inv
	v_cvt_u32_f32_e32 v1, v1
	s_add_i32 s23, s3, 3
	s_ashr_i32 s1, s1, 4
	s_ashr_i32 s2, s23, 31
	v_cmp_gt_u32_e64 s1, s1, v0
	v_readfirstlane_b32 s40, v1
	s_lshr_b32 s2, s2, 30
	s_ashr_i32 s35, s6, 31
	s_add_i32 s23, s23, s2
	s_sub_i32 s2, 0, s33
	s_and_b32 s38, s23, -4
	s_mul_i32 s23, s2, s40
	s_delay_alu instid0(SALU_CYCLE_1) | instskip(NEXT) | instid1(SALU_CYCLE_1)
	s_mul_hi_u32 s23, s40, s23
	s_add_i32 s40, s40, s23
	v_lshlrev_b32_e32 v2, 2, v2
	ds_load_b32 v20, v2
	s_waitcnt lgkmcnt(0)
	v_readlane_b32 s2, v20, 0
	s_delay_alu instid0(VALU_DEP_1)
	s_cmp_lt_i32 s2, 0
	s_cbranch_scc1 .LBB116_12
; %bb.9:
	s_abs_i32 s23, s4
	s_xor_b32 s5, s5, s35
	s_mul_hi_u32 s24, s23, s40
	s_mov_b32 s31, -1
	s_mul_i32 s25, s24, s33
	s_delay_alu instid0(SALU_CYCLE_1)
	s_sub_i32 s23, s23, s25
	s_add_i32 s25, s24, 1
	s_sub_i32 s27, s23, s33
	s_cmp_ge_u32 s23, s33
	s_cselect_b32 s24, s25, s24
	s_cselect_b32 s23, s27, s23
	s_add_i32 s25, s24, 1
	s_cmp_ge_u32 s23, s33
	s_cselect_b32 s23, s25, s24
	s_delay_alu instid0(SALU_CYCLE_1) | instskip(NEXT) | instid1(SALU_CYCLE_1)
	s_xor_b32 s23, s23, s5
	s_sub_i32 s5, s23, s5
	s_delay_alu instid0(SALU_CYCLE_1) | instskip(SKIP_2) | instid1(SALU_CYCLE_1)
	s_mul_i32 s23, s5, s6
	s_mul_i32 s25, s5, s7
	s_sub_i32 s23, s4, s23
	s_mul_i32 s24, s23, s8
	s_delay_alu instid0(SALU_CYCLE_1) | instskip(NEXT) | instid1(SALU_CYCLE_1)
	s_add_i32 s34, s24, s25
	s_cmp_eq_u32 s34, -1
	s_cbranch_scc1 .LBB116_13
; %bb.10:
	s_mul_hi_i32 s25, s34, s41
	s_mul_i32 s24, s34, s41
	s_mov_b32 s27, s31
	s_lshl_b64 s[24:25], s[24:25], 1
	s_delay_alu instid0(SALU_CYCLE_1) | instskip(SKIP_1) | instid1(SALU_CYCLE_1)
	s_add_u32 s24, s16, s24
	s_addc_u32 s25, s17, s25
	s_and_b32 s25, s25, 0xffff
	s_clause 0x1
	buffer_load_b128 v[4:7], v16, s[24:27], 0 offen
	buffer_load_b128 v[12:15], v16, s[24:27], 16 offen
	s_waitcnt vmcnt(1)
	v_cvt_f32_f16_e32 v0, v4
	v_lshrrev_b32_e32 v1, 16, v4
	v_cvt_f32_f16_e32 v2, v5
	v_lshrrev_b32_e32 v3, 16, v5
	;; [unrolled: 2-line block ×4, first 2 shown]
	s_waitcnt vmcnt(0)
	v_cvt_f32_f16_e32 v8, v12
	v_lshrrev_b32_e32 v9, 16, v12
	v_cvt_f32_f16_e32 v10, v13
	v_lshrrev_b32_e32 v11, 16, v13
	;; [unrolled: 2-line block ×4, first 2 shown]
	v_cvt_f32_f16_e32 v1, v1
	v_cvt_f32_f16_e32 v3, v3
	;; [unrolled: 1-line block ×8, first 2 shown]
	s_branch .LBB116_14
.LBB116_11:
                                        ; implicit-def: $sgpr4
	s_branch .LBB116_2
.LBB116_12:
                                        ; implicit-def: $vgpr0_vgpr1_vgpr2_vgpr3_vgpr4_vgpr5_vgpr6_vgpr7_vgpr8_vgpr9_vgpr10_vgpr11_vgpr12_vgpr13_vgpr14_vgpr15
	s_cmp_eq_u32 s11, 1
	s_mov_b32 s5, 1
	s_cbranch_scc0 .LBB116_21
	s_branch .LBB116_35
.LBB116_13:
                                        ; implicit-def: $vgpr0_vgpr1_vgpr2_vgpr3_vgpr4_vgpr5_vgpr6_vgpr7_vgpr8_vgpr9_vgpr10_vgpr11_vgpr12_vgpr13_vgpr14_vgpr15
.LBB116_14:
	s_mul_i32 s24, s2, s3
	s_delay_alu instid0(SALU_CYCLE_1) | instskip(NEXT) | instid1(SALU_CYCLE_1)
	s_ashr_i32 s25, s24, 31
	s_lshl_b64 s[24:25], s[24:25], 2
	s_delay_alu instid0(SALU_CYCLE_1) | instskip(SKIP_1) | instid1(SALU_CYCLE_1)
	s_add_u32 s28, s18, s24
	s_addc_u32 s2, s19, s25
	s_and_b32 s29, s2, 0xffff
	s_clause 0x3
	buffer_load_b128 v[23:26], v17, s[28:31], 0 offen
	buffer_load_b128 v[27:30], v17, s[28:31], 16 offen
	;; [unrolled: 1-line block ×4, first 2 shown]
	s_waitcnt vmcnt(3)
	v_dual_mul_f32 v37, v0, v23 :: v_dual_mul_f32 v38, v1, v24
	v_dual_mul_f32 v31, v2, v25 :: v_dual_mul_f32 v32, v3, v26
	s_waitcnt vmcnt(2)
	v_dual_mul_f32 v33, v4, v27 :: v_dual_mul_f32 v34, v5, v28
	s_delay_alu instid0(VALU_DEP_3) | instskip(SKIP_3) | instid1(VALU_DEP_3)
	v_max3_f32 v23, |v37|, 0x2edbe6ff, |v38|
	v_dual_mul_f32 v35, v6, v29 :: v_dual_mul_f32 v36, v7, v30
	s_waitcnt vmcnt(1)
	v_dual_mul_f32 v28, v8, v39 :: v_dual_mul_f32 v29, v9, v40
	v_max3_f32 v23, v23, |v31|, |v32|
	s_waitcnt vmcnt(0)
	v_mul_f32_e32 v26, v12, v43
	v_dual_mul_f32 v30, v13, v44 :: v_dual_mul_f32 v27, v15, v46
	v_mul_f32_e32 v24, v11, v42
	v_max3_f32 v23, v23, |v33|, |v34|
	s_delay_alu instid0(VALU_DEP_1) | instskip(SKIP_1) | instid1(VALU_DEP_2)
	v_max3_f32 v25, v23, |v35|, |v36|
	v_mul_f32_e32 v23, v10, v41
	v_max3_f32 v25, v25, |v28|, |v29|
	s_delay_alu instid0(VALU_DEP_1) | instskip(SKIP_1) | instid1(VALU_DEP_2)
	v_max3_f32 v39, v25, |v23|, |v24|
	v_mul_f32_e32 v25, v14, v45
	v_max3_f32 v39, v39, |v26|, |v30|
	s_delay_alu instid0(VALU_DEP_1) | instskip(NEXT) | instid1(VALU_DEP_1)
	v_max3_f32 v39, v39, |v25|, |v27|
	v_mov_b32_dpp v40, v39 quad_perm:[1,0,3,2] row_mask:0xf bank_mask:0xf
	s_delay_alu instid0(VALU_DEP_1) | instskip(NEXT) | instid1(VALU_DEP_1)
	v_cmp_gt_f32_e64 s2, v39, v40
	v_cndmask_b32_e64 v39, v40, v39, s2
	s_delay_alu instid0(VALU_DEP_1) | instskip(NEXT) | instid1(VALU_DEP_1)
	v_mov_b32_dpp v40, v39 quad_perm:[2,3,0,1] row_mask:0xf bank_mask:0xf
	v_cmp_gt_f32_e64 s2, v39, v40
	s_delay_alu instid0(VALU_DEP_1) | instskip(NEXT) | instid1(VALU_DEP_1)
	v_cndmask_b32_e64 v39, v40, v39, s2
	v_mov_b32_dpp v40, v39 row_xmask:7 row_mask:0xf bank_mask:0xf
	s_delay_alu instid0(VALU_DEP_1) | instskip(NEXT) | instid1(VALU_DEP_1)
	v_cmp_gt_f32_e64 s2, v39, v40
	v_cndmask_b32_e64 v39, v40, v39, s2
	s_delay_alu instid0(VALU_DEP_1) | instskip(NEXT) | instid1(VALU_DEP_1)
	v_mov_b32_dpp v40, v39 row_xmask:15 row_mask:0xf bank_mask:0xf
	v_cmp_gt_f32_e64 s2, v39, v40
	s_and_saveexec_b32 s24, vcc_lo
	s_cbranch_execz .LBB116_16
; %bb.15:
	s_delay_alu instid0(VALU_DEP_1)
	v_cndmask_b32_e64 v39, v40, v39, s2
	s_mov_b32 s2, 0x76543210
	s_delay_alu instid0(VALU_DEP_1) | instid1(SALU_CYCLE_1)
	v_permlanex16_b32 v40, v39, s2, 0xfedcba98 op_sel:[1,1]
	s_delay_alu instid0(VALU_DEP_1) | instskip(NEXT) | instid1(VALU_DEP_1)
	v_cmp_gt_f32_e64 s2, v39, v40
	v_cndmask_b32_e64 v39, v40, v39, s2
	ds_store_b32 v18, v39
.LBB116_16:
	s_or_b32 exec_lo, exec_lo, s24
	s_waitcnt lgkmcnt(0)
	s_barrier
	buffer_gl0_inv
	ds_load_b32 v39, v19
	s_mul_i32 s5, s5, s9
	s_waitcnt lgkmcnt(0)
	v_mov_b32_dpp v40, v39 quad_perm:[1,0,3,2] row_mask:0xf bank_mask:0xf
	s_delay_alu instid0(VALU_DEP_1) | instskip(NEXT) | instid1(VALU_DEP_1)
	v_cmp_gt_f32_e64 s2, v39, v40
	v_cndmask_b32_e64 v39, v40, v39, s2
	s_delay_alu instid0(VALU_DEP_1) | instskip(NEXT) | instid1(VALU_DEP_1)
	v_mov_b32_dpp v40, v39 quad_perm:[2,3,0,1] row_mask:0xf bank_mask:0xf
	v_cmp_gt_f32_e64 s2, v39, v40
	s_delay_alu instid0(VALU_DEP_1) | instskip(NEXT) | instid1(VALU_DEP_1)
	v_cndmask_b32_e64 v39, v40, v39, s2
	v_mov_b32_dpp v40, v39 row_xmask:7 row_mask:0xf bank_mask:0xf
	s_delay_alu instid0(VALU_DEP_1) | instskip(NEXT) | instid1(VALU_DEP_1)
	v_cmp_gt_f32_e64 s2, v39, v40
	v_cndmask_b32_e64 v39, v40, v39, s2
	s_mul_i32 s2, s23, s10
	s_delay_alu instid0(SALU_CYCLE_1) | instskip(NEXT) | instid1(VALU_DEP_1)
	s_add_i32 s24, s2, s5
	v_mul_f32_e32 v39, 0x3c010204, v39
	s_and_saveexec_b32 s2, s0
	s_cbranch_execz .LBB116_18
; %bb.17:
	s_ashr_i32 s25, s24, 31
	v_mov_b32_e32 v40, 0
	s_lshl_b64 s[28:29], s[24:25], 2
	s_delay_alu instid0(SALU_CYCLE_1)
	s_add_u32 s28, s14, s28
	s_addc_u32 s29, s15, s29
	global_store_b32 v40, v39, s[28:29]
.LBB116_18:
	s_or_b32 exec_lo, exec_lo, s2
	s_and_saveexec_b32 s2, s1
	s_cbranch_execz .LBB116_20
; %bb.19:
	v_rcp_f32_e32 v39, v39
	s_mul_i32 s5, s24, s41
	s_mul_hi_i32 s23, s24, s41
	s_add_u32 s36, s12, s5
	s_addc_u32 s5, s13, s23
	s_mov_b32 s39, -1
	s_and_b32 s37, s5, 0xffff
	s_waitcnt_depctr 0xfff
	v_mul_f32_e32 v30, v30, v39
	v_mul_f32_e32 v26, v26, v39
	;; [unrolled: 1-line block ×5, first 2 shown]
	v_cvt_i32_f32_e32 v30, v30
	v_cvt_i32_f32_e32 v26, v26
	v_mul_f32_e32 v37, v37, v39
	v_mul_f32_e32 v25, v25, v39
	v_cvt_i32_f32_e32 v28, v28
	v_lshlrev_b16 v30, 8, v30
	v_and_b32_e32 v26, 0xff, v26
	v_cvt_i32_f32_e32 v27, v27
	v_cvt_i32_f32_e32 v25, v25
	;; [unrolled: 1-line block ×3, first 2 shown]
	v_mul_f32_e32 v38, v38, v39
	v_or_b32_e32 v26, v26, v30
	v_mul_f32_e32 v33, v33, v39
	v_dual_mul_f32 v31, v31, v39 :: v_dual_and_b32 v28, 0xff, v28
	v_lshlrev_b16 v27, 8, v27
	v_and_b32_e32 v25, 0xff, v25
	v_lshlrev_b16 v29, 8, v29
	v_mul_f32_e32 v24, v24, v39
	v_dual_mul_f32 v23, v23, v39 :: v_dual_and_b32 v26, 0xffff, v26
	v_cvt_i32_f32_e32 v33, v33
	v_mul_f32_e32 v34, v34, v39
	v_or_b32_e32 v25, v25, v27
	v_or_b32_e32 v27, v28, v29
	v_cvt_i32_f32_e32 v24, v24
	v_and_b32_e32 v29, 0xff, v33
	v_cvt_i32_f32_e32 v34, v34
	v_cvt_i32_f32_e32 v23, v23
	v_dual_mul_f32 v32, v32, v39 :: v_dual_lshlrev_b32 v25, 16, v25
	v_lshlrev_b16 v24, 8, v24
	s_delay_alu instid0(VALU_DEP_4) | instskip(NEXT) | instid1(VALU_DEP_4)
	v_lshlrev_b16 v28, 8, v34
	v_and_b32_e32 v23, 0xff, v23
	v_cvt_i32_f32_e32 v37, v37
	v_mul_f32_e32 v36, v36, v39
	v_cvt_i32_f32_e32 v38, v38
	v_cvt_i32_f32_e32 v31, v31
	v_or_b32_e32 v23, v23, v24
	v_or_b32_e32 v24, v29, v28
	v_mul_f32_e32 v35, v35, v39
	v_cvt_i32_f32_e32 v32, v32
	v_lshlrev_b16 v34, 8, v38
	v_and_b32_e32 v31, 0xff, v31
	v_and_b32_e32 v24, 0xffff, v24
	v_cvt_i32_f32_e32 v35, v35
	v_lshlrev_b16 v32, 8, v32
	v_and_b32_e32 v27, 0xffff, v27
	v_lshlrev_b32_e32 v23, 16, v23
	v_or_b32_e32 v26, v26, v25
	v_and_b32_e32 v33, 0xff, v35
	v_and_b32_e32 v35, 0xff, v37
	v_cvt_i32_f32_e32 v36, v36
	v_or_b32_e32 v25, v27, v23
	s_delay_alu instid0(VALU_DEP_3) | instskip(NEXT) | instid1(VALU_DEP_3)
	v_or_b32_e32 v29, v35, v34
	v_lshlrev_b16 v30, 8, v36
	s_delay_alu instid0(VALU_DEP_2) | instskip(NEXT) | instid1(VALU_DEP_2)
	v_and_b32_e32 v29, 0xffff, v29
	v_or_b32_e32 v28, v33, v30
	v_or_b32_e32 v30, v31, v32
	s_delay_alu instid0(VALU_DEP_2) | instskip(NEXT) | instid1(VALU_DEP_2)
	v_lshlrev_b32_e32 v28, 16, v28
	v_lshlrev_b32_e32 v30, 16, v30
	s_delay_alu instid0(VALU_DEP_2) | instskip(NEXT) | instid1(VALU_DEP_2)
	v_or_b32_e32 v24, v24, v28
	v_or_b32_e32 v23, v29, v30
	buffer_store_b128 v[23:26], v21, s[36:39], 0 offen
	;;#ASMSTART
	s_nop 0
	;;#ASMEND
.LBB116_20:
	s_or_b32 exec_lo, exec_lo, s2
	s_cmp_eq_u32 s11, 1
	s_mov_b32 s5, 1
	s_cbranch_scc1 .LBB116_35
.LBB116_21:
	v_dual_mov_b32 v23, 0 :: v_dual_add_nc_u32 v22, 4, v22
	s_mov_b32 s31, -1
	s_mov_b32 s42, 0x76543210
	s_branch .LBB116_24
.LBB116_22:                             ;   in Loop: Header=BB116_24 Depth=1
	s_or_b32 exec_lo, exec_lo, s2
.LBB116_23:                             ;   in Loop: Header=BB116_24 Depth=1
	v_add_nc_u32_e32 v22, 4, v22
	s_add_i32 s5, s5, 1
	s_delay_alu instid0(SALU_CYCLE_1)
	s_cmp_eq_u32 s11, s5
	s_cbranch_scc1 .LBB116_35
.LBB116_24:                             ; =>This Inner Loop Header: Depth=1
	s_and_b32 s2, s5, 31
	s_delay_alu instid0(SALU_CYCLE_1)
	s_cmp_lg_u32 s2, 0
	s_cbranch_scc1 .LBB116_26
; %bb.25:                               ;   in Loop: Header=BB116_24 Depth=1
	s_mov_b32 s23, s31
	buffer_load_b32 v20, v22, s[20:23], 0 offen
	s_waitcnt vmcnt(0) expcnt(0) lgkmcnt(55)
	v_lshlrev_b32_e32 v20, 2, v20
	ds_load_b32 v20, v20
.LBB116_26:                             ;   in Loop: Header=BB116_24 Depth=1
	s_waitcnt lgkmcnt(0)
	v_readlane_b32 s2, v20, s2
	s_delay_alu instid0(VALU_DEP_1)
	s_cmp_lt_i32 s2, 0
	s_cbranch_scc1 .LBB116_23
; %bb.27:                               ;   in Loop: Header=BB116_24 Depth=1
	s_add_i32 s24, s4, s5
	s_delay_alu instid0(SALU_CYCLE_1) | instskip(SKIP_4) | instid1(SALU_CYCLE_1)
	s_abs_i32 s23, s24
	s_ashr_i32 s27, s24, 31
	s_mul_hi_u32 s25, s23, s40
	s_xor_b32 s27, s27, s35
	s_mul_i32 s28, s25, s33
	s_sub_i32 s23, s23, s28
	s_add_i32 s28, s25, 1
	s_sub_i32 s29, s23, s33
	s_cmp_ge_u32 s23, s33
	s_cselect_b32 s25, s28, s25
	s_cselect_b32 s23, s29, s23
	s_add_i32 s28, s25, 1
	s_cmp_ge_u32 s23, s33
	s_cselect_b32 s23, s28, s25
	s_delay_alu instid0(SALU_CYCLE_1) | instskip(NEXT) | instid1(SALU_CYCLE_1)
	s_xor_b32 s23, s23, s27
	s_sub_i32 s23, s23, s27
	s_delay_alu instid0(SALU_CYCLE_1) | instskip(NEXT) | instid1(SALU_CYCLE_1)
	s_mul_i32 s25, s23, s6
	s_sub_i32 s36, s24, s25
	s_mul_i32 s24, s23, s7
	s_mul_i32 s28, s36, s8
	s_delay_alu instid0(SALU_CYCLE_1) | instskip(NEXT) | instid1(SALU_CYCLE_1)
	s_add_i32 s28, s28, s24
	s_cmp_eq_u32 s28, s34
	s_cbranch_scc1 .LBB116_29
; %bb.28:                               ;   in Loop: Header=BB116_24 Depth=1
	s_mul_hi_i32 s25, s28, s41
	s_mul_i32 s24, s28, s41
	s_mov_b32 s27, s31
	s_lshl_b64 s[24:25], s[24:25], 1
	s_mov_b32 s34, s28
	s_add_u32 s24, s16, s24
	s_addc_u32 s25, s17, s25
	s_delay_alu instid0(SALU_CYCLE_1)
	s_and_b32 s25, s25, 0xffff
	s_clause 0x1
	buffer_load_b128 v[4:7], v16, s[24:27], 0 offen
	buffer_load_b128 v[12:15], v16, s[24:27], 16 offen
	s_waitcnt vmcnt(1)
	v_cvt_f32_f16_e32 v0, v4
	v_lshrrev_b32_e32 v1, 16, v4
	v_cvt_f32_f16_e32 v2, v5
	v_lshrrev_b32_e32 v3, 16, v5
	;; [unrolled: 2-line block ×4, first 2 shown]
	s_waitcnt vmcnt(0)
	v_cvt_f32_f16_e32 v8, v12
	v_lshrrev_b32_e32 v9, 16, v12
	v_cvt_f32_f16_e32 v10, v13
	v_lshrrev_b32_e32 v11, 16, v13
	;; [unrolled: 2-line block ×4, first 2 shown]
	v_cvt_f32_f16_e32 v1, v1
	v_cvt_f32_f16_e32 v3, v3
	;; [unrolled: 1-line block ×8, first 2 shown]
.LBB116_29:                             ;   in Loop: Header=BB116_24 Depth=1
	s_mul_i32 s24, s2, s3
	s_delay_alu instid0(SALU_CYCLE_1) | instskip(NEXT) | instid1(SALU_CYCLE_1)
	s_ashr_i32 s25, s24, 31
	s_lshl_b64 s[24:25], s[24:25], 2
	s_delay_alu instid0(SALU_CYCLE_1) | instskip(SKIP_1) | instid1(SALU_CYCLE_1)
	s_add_u32 s28, s18, s24
	s_addc_u32 s2, s19, s25
	s_and_b32 s29, s2, 0xffff
	s_clause 0x3
	buffer_load_b128 v[24:27], v17, s[28:31], 0 offen
	buffer_load_b128 v[28:31], v17, s[28:31], 16 offen
	;; [unrolled: 1-line block ×4, first 2 shown]
	s_waitcnt vmcnt(3)
	v_dual_mul_f32 v38, v0, v24 :: v_dual_mul_f32 v39, v1, v25
	v_dual_mul_f32 v32, v2, v26 :: v_dual_mul_f32 v33, v3, v27
	s_waitcnt vmcnt(2)
	v_dual_mul_f32 v34, v4, v28 :: v_dual_mul_f32 v35, v5, v29
	s_delay_alu instid0(VALU_DEP_3) | instskip(SKIP_3) | instid1(VALU_DEP_3)
	v_max3_f32 v24, |v38|, 0x2edbe6ff, |v39|
	v_dual_mul_f32 v36, v6, v30 :: v_dual_mul_f32 v37, v7, v31
	s_waitcnt vmcnt(1)
	v_dual_mul_f32 v29, v8, v40 :: v_dual_mul_f32 v30, v9, v41
	v_max3_f32 v24, v24, |v32|, |v33|
	s_waitcnt vmcnt(0)
	v_mul_f32_e32 v27, v12, v44
	v_dual_mul_f32 v31, v13, v45 :: v_dual_mul_f32 v28, v15, v47
	v_mul_f32_e32 v25, v11, v43
	v_max3_f32 v24, v24, |v34|, |v35|
	s_delay_alu instid0(VALU_DEP_1) | instskip(SKIP_1) | instid1(VALU_DEP_2)
	v_max3_f32 v26, v24, |v36|, |v37|
	v_mul_f32_e32 v24, v10, v42
	v_max3_f32 v26, v26, |v29|, |v30|
	s_delay_alu instid0(VALU_DEP_1) | instskip(SKIP_1) | instid1(VALU_DEP_2)
	v_max3_f32 v40, v26, |v24|, |v25|
	v_mul_f32_e32 v26, v14, v46
	v_max3_f32 v40, v40, |v27|, |v31|
	s_delay_alu instid0(VALU_DEP_1) | instskip(NEXT) | instid1(VALU_DEP_1)
	v_max3_f32 v40, v40, |v26|, |v28|
	v_mov_b32_dpp v41, v40 quad_perm:[1,0,3,2] row_mask:0xf bank_mask:0xf
	s_delay_alu instid0(VALU_DEP_1) | instskip(NEXT) | instid1(VALU_DEP_1)
	v_cmp_gt_f32_e64 s2, v40, v41
	v_cndmask_b32_e64 v40, v41, v40, s2
	s_delay_alu instid0(VALU_DEP_1) | instskip(NEXT) | instid1(VALU_DEP_1)
	v_mov_b32_dpp v41, v40 quad_perm:[2,3,0,1] row_mask:0xf bank_mask:0xf
	v_cmp_gt_f32_e64 s2, v40, v41
	s_delay_alu instid0(VALU_DEP_1) | instskip(NEXT) | instid1(VALU_DEP_1)
	v_cndmask_b32_e64 v40, v41, v40, s2
	v_mov_b32_dpp v41, v40 row_xmask:7 row_mask:0xf bank_mask:0xf
	s_delay_alu instid0(VALU_DEP_1) | instskip(NEXT) | instid1(VALU_DEP_1)
	v_cmp_gt_f32_e64 s2, v40, v41
	v_cndmask_b32_e64 v40, v41, v40, s2
	s_delay_alu instid0(VALU_DEP_1) | instskip(NEXT) | instid1(VALU_DEP_1)
	v_mov_b32_dpp v41, v40 row_xmask:15 row_mask:0xf bank_mask:0xf
	v_cmp_gt_f32_e64 s2, v40, v41
	s_and_saveexec_b32 s24, vcc_lo
	s_cbranch_execz .LBB116_31
; %bb.30:                               ;   in Loop: Header=BB116_24 Depth=1
	s_delay_alu instid0(VALU_DEP_1) | instskip(NEXT) | instid1(VALU_DEP_1)
	v_cndmask_b32_e64 v40, v41, v40, s2
	v_permlanex16_b32 v41, v40, s42, 0xfedcba98 op_sel:[1,1]
	s_delay_alu instid0(VALU_DEP_1) | instskip(NEXT) | instid1(VALU_DEP_1)
	v_cmp_gt_f32_e64 s2, v40, v41
	v_cndmask_b32_e64 v40, v41, v40, s2
	ds_store_b32 v18, v40
.LBB116_31:                             ;   in Loop: Header=BB116_24 Depth=1
	s_or_b32 exec_lo, exec_lo, s24
	s_waitcnt lgkmcnt(0)
	s_waitcnt_vscnt null, 0x0
	s_barrier
	buffer_gl0_inv
	ds_load_b32 v40, v19
	s_mul_i32 s23, s23, s9
	s_waitcnt lgkmcnt(0)
	v_mov_b32_dpp v41, v40 quad_perm:[1,0,3,2] row_mask:0xf bank_mask:0xf
	s_delay_alu instid0(VALU_DEP_1) | instskip(NEXT) | instid1(VALU_DEP_1)
	v_cmp_gt_f32_e64 s2, v40, v41
	v_cndmask_b32_e64 v40, v41, v40, s2
	s_delay_alu instid0(VALU_DEP_1) | instskip(NEXT) | instid1(VALU_DEP_1)
	v_mov_b32_dpp v41, v40 quad_perm:[2,3,0,1] row_mask:0xf bank_mask:0xf
	v_cmp_gt_f32_e64 s2, v40, v41
	s_delay_alu instid0(VALU_DEP_1) | instskip(NEXT) | instid1(VALU_DEP_1)
	v_cndmask_b32_e64 v40, v41, v40, s2
	v_mov_b32_dpp v41, v40 row_xmask:7 row_mask:0xf bank_mask:0xf
	s_delay_alu instid0(VALU_DEP_1) | instskip(NEXT) | instid1(VALU_DEP_1)
	v_cmp_gt_f32_e64 s2, v40, v41
	v_cndmask_b32_e64 v40, v41, v40, s2
	s_mul_i32 s2, s36, s10
	s_delay_alu instid0(SALU_CYCLE_1) | instskip(NEXT) | instid1(VALU_DEP_1)
	s_add_i32 s24, s2, s23
	v_mul_f32_e32 v40, 0x3c010204, v40
	s_and_saveexec_b32 s2, s0
	s_cbranch_execz .LBB116_33
; %bb.32:                               ;   in Loop: Header=BB116_24 Depth=1
	s_ashr_i32 s25, s24, 31
	s_delay_alu instid0(SALU_CYCLE_1) | instskip(NEXT) | instid1(SALU_CYCLE_1)
	s_lshl_b64 s[28:29], s[24:25], 2
	s_add_u32 s28, s14, s28
	s_addc_u32 s29, s15, s29
	global_store_b32 v23, v40, s[28:29]
.LBB116_33:                             ;   in Loop: Header=BB116_24 Depth=1
	s_or_b32 exec_lo, exec_lo, s2
	s_and_saveexec_b32 s2, s1
	s_cbranch_execz .LBB116_22
; %bb.34:                               ;   in Loop: Header=BB116_24 Depth=1
	v_rcp_f32_e32 v40, v40
	s_mul_i32 s23, s24, s41
	s_mul_hi_i32 s24, s24, s41
	s_add_u32 s36, s12, s23
	s_addc_u32 s23, s13, s24
	s_mov_b32 s39, s31
	s_and_b32 s37, s23, 0xffff
	s_waitcnt_depctr 0xfff
	v_mul_f32_e32 v31, v31, v40
	v_mul_f32_e32 v27, v27, v40
	;; [unrolled: 1-line block ×5, first 2 shown]
	v_cvt_i32_f32_e32 v31, v31
	v_cvt_i32_f32_e32 v27, v27
	v_mul_f32_e32 v38, v38, v40
	v_mul_f32_e32 v26, v26, v40
	v_cvt_i32_f32_e32 v29, v29
	v_lshlrev_b16 v31, 8, v31
	v_and_b32_e32 v27, 0xff, v27
	v_cvt_i32_f32_e32 v28, v28
	v_cvt_i32_f32_e32 v26, v26
	;; [unrolled: 1-line block ×3, first 2 shown]
	v_mul_f32_e32 v39, v39, v40
	v_or_b32_e32 v27, v27, v31
	v_mul_f32_e32 v34, v34, v40
	v_dual_mul_f32 v32, v32, v40 :: v_dual_and_b32 v29, 0xff, v29
	v_lshlrev_b16 v28, 8, v28
	v_and_b32_e32 v26, 0xff, v26
	v_lshlrev_b16 v30, 8, v30
	v_mul_f32_e32 v25, v25, v40
	v_dual_mul_f32 v24, v24, v40 :: v_dual_and_b32 v27, 0xffff, v27
	v_cvt_i32_f32_e32 v34, v34
	v_mul_f32_e32 v35, v35, v40
	v_or_b32_e32 v26, v26, v28
	v_or_b32_e32 v28, v29, v30
	v_cvt_i32_f32_e32 v25, v25
	v_and_b32_e32 v30, 0xff, v34
	v_cvt_i32_f32_e32 v35, v35
	v_cvt_i32_f32_e32 v24, v24
	v_dual_mul_f32 v33, v33, v40 :: v_dual_lshlrev_b32 v26, 16, v26
	v_lshlrev_b16 v25, 8, v25
	s_delay_alu instid0(VALU_DEP_4) | instskip(NEXT) | instid1(VALU_DEP_4)
	v_lshlrev_b16 v29, 8, v35
	v_and_b32_e32 v24, 0xff, v24
	v_cvt_i32_f32_e32 v38, v38
	v_mul_f32_e32 v37, v37, v40
	v_cvt_i32_f32_e32 v39, v39
	v_cvt_i32_f32_e32 v32, v32
	v_or_b32_e32 v24, v24, v25
	v_or_b32_e32 v25, v30, v29
	v_mul_f32_e32 v36, v36, v40
	v_cvt_i32_f32_e32 v33, v33
	v_lshlrev_b16 v35, 8, v39
	v_and_b32_e32 v32, 0xff, v32
	v_and_b32_e32 v25, 0xffff, v25
	v_cvt_i32_f32_e32 v36, v36
	v_lshlrev_b16 v33, 8, v33
	v_and_b32_e32 v28, 0xffff, v28
	v_lshlrev_b32_e32 v24, 16, v24
	v_or_b32_e32 v27, v27, v26
	v_and_b32_e32 v34, 0xff, v36
	v_and_b32_e32 v36, 0xff, v38
	v_cvt_i32_f32_e32 v37, v37
	v_or_b32_e32 v26, v28, v24
	s_delay_alu instid0(VALU_DEP_3) | instskip(NEXT) | instid1(VALU_DEP_3)
	v_or_b32_e32 v30, v36, v35
	v_lshlrev_b16 v31, 8, v37
	s_delay_alu instid0(VALU_DEP_2) | instskip(NEXT) | instid1(VALU_DEP_2)
	v_and_b32_e32 v30, 0xffff, v30
	v_or_b32_e32 v29, v34, v31
	v_or_b32_e32 v31, v32, v33
	s_delay_alu instid0(VALU_DEP_2) | instskip(NEXT) | instid1(VALU_DEP_2)
	v_lshlrev_b32_e32 v29, 16, v29
	v_lshlrev_b32_e32 v31, 16, v31
	s_delay_alu instid0(VALU_DEP_2) | instskip(NEXT) | instid1(VALU_DEP_2)
	v_or_b32_e32 v25, v25, v29
	v_or_b32_e32 v24, v30, v31
	buffer_store_b128 v[24:27], v21, s[36:39], 0 offen
	;;#ASMSTART
	s_nop 0
	;;#ASMEND
	s_branch .LBB116_22
.LBB116_35:
	s_nop 0
	s_sendmsg sendmsg(MSG_DEALLOC_VGPRS)
	s_endpgm
	.section	.rodata,"a",@progbits
	.p2align	6, 0x0
	.amdhsa_kernel _ZN5aiter36smooth_per_token_scaled_quant_kernelIDF16_aLi256ELi16ELb0ELb1ELb1ELi1024EEEvPT0_PfPT_S3_PiS6_iiPKiiiiiiiii
		.amdhsa_group_segment_fixed_size 4128
		.amdhsa_private_segment_fixed_size 0
		.amdhsa_kernarg_size 96
		.amdhsa_user_sgpr_count 15
		.amdhsa_user_sgpr_dispatch_ptr 0
		.amdhsa_user_sgpr_queue_ptr 0
		.amdhsa_user_sgpr_kernarg_segment_ptr 1
		.amdhsa_user_sgpr_dispatch_id 0
		.amdhsa_user_sgpr_private_segment_size 0
		.amdhsa_wavefront_size32 1
		.amdhsa_uses_dynamic_stack 0
		.amdhsa_enable_private_segment 0
		.amdhsa_system_sgpr_workgroup_id_x 1
		.amdhsa_system_sgpr_workgroup_id_y 0
		.amdhsa_system_sgpr_workgroup_id_z 0
		.amdhsa_system_sgpr_workgroup_info 0
		.amdhsa_system_vgpr_workitem_id 0
		.amdhsa_next_free_vgpr 48
		.amdhsa_next_free_sgpr 43
		.amdhsa_reserve_vcc 1
		.amdhsa_float_round_mode_32 0
		.amdhsa_float_round_mode_16_64 0
		.amdhsa_float_denorm_mode_32 3
		.amdhsa_float_denorm_mode_16_64 3
		.amdhsa_dx10_clamp 1
		.amdhsa_ieee_mode 1
		.amdhsa_fp16_overflow 0
		.amdhsa_workgroup_processor_mode 1
		.amdhsa_memory_ordered 1
		.amdhsa_forward_progress 0
		.amdhsa_shared_vgpr_count 0
		.amdhsa_exception_fp_ieee_invalid_op 0
		.amdhsa_exception_fp_denorm_src 0
		.amdhsa_exception_fp_ieee_div_zero 0
		.amdhsa_exception_fp_ieee_overflow 0
		.amdhsa_exception_fp_ieee_underflow 0
		.amdhsa_exception_fp_ieee_inexact 0
		.amdhsa_exception_int_div_zero 0
	.end_amdhsa_kernel
	.section	.text._ZN5aiter36smooth_per_token_scaled_quant_kernelIDF16_aLi256ELi16ELb0ELb1ELb1ELi1024EEEvPT0_PfPT_S3_PiS6_iiPKiiiiiiiii,"axG",@progbits,_ZN5aiter36smooth_per_token_scaled_quant_kernelIDF16_aLi256ELi16ELb0ELb1ELb1ELi1024EEEvPT0_PfPT_S3_PiS6_iiPKiiiiiiiii,comdat
.Lfunc_end116:
	.size	_ZN5aiter36smooth_per_token_scaled_quant_kernelIDF16_aLi256ELi16ELb0ELb1ELb1ELi1024EEEvPT0_PfPT_S3_PiS6_iiPKiiiiiiiii, .Lfunc_end116-_ZN5aiter36smooth_per_token_scaled_quant_kernelIDF16_aLi256ELi16ELb0ELb1ELb1ELi1024EEEvPT0_PfPT_S3_PiS6_iiPKiiiiiiiii
                                        ; -- End function
	.section	.AMDGPU.csdata,"",@progbits
; Kernel info:
; codeLenInByte = 3488
; NumSgprs: 45
; NumVgprs: 48
; ScratchSize: 0
; MemoryBound: 0
; FloatMode: 240
; IeeeMode: 1
; LDSByteSize: 4128 bytes/workgroup (compile time only)
; SGPRBlocks: 5
; VGPRBlocks: 5
; NumSGPRsForWavesPerEU: 45
; NumVGPRsForWavesPerEU: 48
; Occupancy: 16
; WaveLimiterHint : 0
; COMPUTE_PGM_RSRC2:SCRATCH_EN: 0
; COMPUTE_PGM_RSRC2:USER_SGPR: 15
; COMPUTE_PGM_RSRC2:TRAP_HANDLER: 0
; COMPUTE_PGM_RSRC2:TGID_X_EN: 1
; COMPUTE_PGM_RSRC2:TGID_Y_EN: 0
; COMPUTE_PGM_RSRC2:TGID_Z_EN: 0
; COMPUTE_PGM_RSRC2:TIDIG_COMP_CNT: 0
	.section	.text._ZN5aiter36smooth_per_token_scaled_quant_kernelItaLi256ELi16ELb0ELb1ELb1ELi1024EEEvPT0_PfPT_S3_PiS6_iiPKiiiiiiiii,"axG",@progbits,_ZN5aiter36smooth_per_token_scaled_quant_kernelItaLi256ELi16ELb0ELb1ELb1ELi1024EEEvPT0_PfPT_S3_PiS6_iiPKiiiiiiiii,comdat
	.protected	_ZN5aiter36smooth_per_token_scaled_quant_kernelItaLi256ELi16ELb0ELb1ELb1ELi1024EEEvPT0_PfPT_S3_PiS6_iiPKiiiiiiiii ; -- Begin function _ZN5aiter36smooth_per_token_scaled_quant_kernelItaLi256ELi16ELb0ELb1ELb1ELi1024EEEvPT0_PfPT_S3_PiS6_iiPKiiiiiiiii
	.globl	_ZN5aiter36smooth_per_token_scaled_quant_kernelItaLi256ELi16ELb0ELb1ELb1ELi1024EEEvPT0_PfPT_S3_PiS6_iiPKiiiiiiiii
	.p2align	8
	.type	_ZN5aiter36smooth_per_token_scaled_quant_kernelItaLi256ELi16ELb0ELb1ELb1ELi1024EEEvPT0_PfPT_S3_PiS6_iiPKiiiiiiiii,@function
_ZN5aiter36smooth_per_token_scaled_quant_kernelItaLi256ELi16ELb0ELb1ELb1ELi1024EEEvPT0_PfPT_S3_PiS6_iiPKiiiiiiiii: ; @_ZN5aiter36smooth_per_token_scaled_quant_kernelItaLi256ELi16ELb0ELb1ELb1ELi1024EEEvPT0_PfPT_S3_PiS6_iiPKiiiiiiiii
; %bb.0:
	s_clause 0x2
	s_load_b64 s[2:3], s[0:1], 0x38
	s_load_b64 s[16:17], s[0:1], 0x28
	s_load_b256 s[4:11], s[0:1], 0x40
	s_waitcnt lgkmcnt(0)
	s_cmp_lg_u64 s[2:3], 0
	s_cbranch_scc0 .LBB117_11
; %bb.1:
	s_load_b32 s2, s[2:3], 0x0
	s_waitcnt lgkmcnt(0)
	s_mul_i32 s4, s2, s4
	s_cbranch_execnz .LBB117_3
.LBB117_2:
	s_mul_i32 s4, s6, s5
.LBB117_3:
	s_load_b64 s[2:3], s[0:1], 0x30
	s_lshl_b32 s18, s11, 2
	s_and_b32 s17, s17, 0xffff
	s_mov_b32 s19, -1
	s_abs_i32 s13, s4
	s_waitcnt lgkmcnt(0)
	s_abs_i32 s5, s2
	s_delay_alu instid0(SALU_CYCLE_1) | instskip(SKIP_1) | instid1(VALU_DEP_1)
	v_cvt_f32_u32_e32 v6, s5
	s_sub_i32 s12, 0, s5
	v_rcp_iflag_f32_e32 v6, v6
	s_waitcnt_depctr 0xfff
	v_dual_mul_f32 v6, 0x4f7ffffe, v6 :: v_dual_lshlrev_b32 v1, 2, v0
	s_clause 0x3
	buffer_load_b32 v2, v1, s[16:19], 0 offen
	buffer_load_b32 v3, v1, s[16:19], 0 offen offset:1024
	buffer_load_b32 v4, v1, s[16:19], 0 offen offset:2048
	;; [unrolled: 1-line block ×3, first 2 shown]
	s_waitcnt vmcnt(2)
	ds_store_2addr_stride64_b32 v1, v2, v3 offset1:4
	s_waitcnt vmcnt(0)
	ds_store_2addr_stride64_b32 v1, v4, v5 offset0:8 offset1:12
	v_cvt_u32_f32_e32 v6, v6
	s_delay_alu instid0(VALU_DEP_1) | instskip(NEXT) | instid1(VALU_DEP_1)
	v_readfirstlane_b32 s11, v6
	s_mul_i32 s12, s12, s11
	s_delay_alu instid0(SALU_CYCLE_1) | instskip(NEXT) | instid1(SALU_CYCLE_1)
	s_mul_hi_u32 s12, s11, s12
	s_add_i32 s11, s11, s12
	s_xor_b32 s12, s4, s2
	s_mul_hi_u32 s11, s13, s11
	s_ashr_i32 s12, s12, 31
	s_mul_i32 s14, s11, s5
	s_delay_alu instid0(SALU_CYCLE_1)
	s_sub_i32 s13, s13, s14
	s_add_i32 s14, s11, 1
	s_sub_i32 s16, s13, s5
	s_cmp_ge_u32 s13, s5
	s_cselect_b32 s11, s14, s11
	s_cselect_b32 s13, s16, s13
	s_add_i32 s14, s11, 1
	s_cmp_ge_u32 s13, s5
	s_cselect_b32 s5, s14, s11
	s_delay_alu instid0(SALU_CYCLE_1) | instskip(NEXT) | instid1(SALU_CYCLE_1)
	s_xor_b32 s5, s5, s12
	s_sub_i32 s11, s5, s12
	s_delay_alu instid0(SALU_CYCLE_1) | instskip(NEXT) | instid1(SALU_CYCLE_1)
	s_mul_i32 s2, s11, s2
	s_sub_i32 s12, s4, s2
                                        ; implicit-def: $sgpr4
	s_delay_alu instid0(SALU_CYCLE_1)
	s_cmp_lt_u32 s15, s12
	s_cselect_b32 s2, -1, 0
	s_add_i32 s5, s11, 1
	s_cmp_ge_u32 s15, s12
	s_cbranch_scc0 .LBB117_5
; %bb.4:
	s_sub_i32 s4, s15, s12
	s_mul_i32 s12, s12, s5
	s_mul_i32 s4, s4, s11
	s_mov_b32 s19, 0
	s_add_i32 s4, s4, s12
.LBB117_5:
	s_and_not1_b32 vcc_lo, exec_lo, s19
	s_cbranch_vccnz .LBB117_7
; %bb.6:
	s_mul_i32 s4, s5, s15
.LBB117_7:
	v_cndmask_b32_e64 v1, 0, 1, s2
	s_delay_alu instid0(VALU_DEP_1) | instskip(NEXT) | instid1(VALU_DEP_1)
	v_readfirstlane_b32 s2, v1
	s_add_i32 s11, s11, s2
	s_delay_alu instid0(SALU_CYCLE_1)
	s_cmp_lt_i32 s11, 1
	s_cbranch_scc1 .LBB117_35
; %bb.8:
	s_load_b64 s[12:13], s[0:1], 0x20
	s_ashr_i32 s5, s4, 31
	v_and_b32_e32 v1, 31, v0
	s_lshl_b64 s[14:15], s[4:5], 2
	s_mov_b32 s41, -1
	v_and_b32_e32 v4, 7, v0
	s_mov_b32 s23, s41
	v_cmp_eq_u32_e32 vcc_lo, 31, v1
	v_lshlrev_b32_e32 v16, 5, v0
	v_lshlrev_b32_e32 v17, 6, v0
	v_lshl_or_b32 v19, v4, 2, 0x1000
	v_lshlrev_b32_e32 v21, 4, v0
	s_mov_b32 s40, s3
	s_waitcnt lgkmcnt(0)
	s_add_u32 s20, s12, s14
	s_addc_u32 s2, s13, s15
	s_abs_i32 s33, s6
	s_lshl_b32 s22, s11, 2
	v_cvt_f32_u32_e32 v3, s33
	s_and_b32 s21, s2, 0xffff
	s_load_b256 s[12:19], s[0:1], 0x0
	s_movk_i32 s0, 0x7c
	s_add_i32 s1, s3, 15
	v_rcp_iflag_f32_e32 v3, v3
	v_lshlrev_b32_e32 v22, 2, v1
	v_lshrrev_b32_e32 v1, 3, v0
	s_ashr_i32 s2, s1, 31
	s_lshl_b32 s26, s3, 1
	s_lshr_b32 s2, s2, 28
	s_lshl_b32 s30, s3, 2
	v_and_or_b32 v18, v1, s0, 0x1000
	s_add_i32 s1, s1, s2
	v_cmp_eq_u32_e64 s0, 0, v0
	s_waitcnt_depctr 0xfff
	v_mul_f32_e32 v1, 0x4f7ffffe, v3
	buffer_load_b32 v2, v22, s[20:23], 0 offen
	s_waitcnt vmcnt(0) expcnt(0) lgkmcnt(0)
	s_barrier
	buffer_gl0_inv
	v_cvt_u32_f32_e32 v1, v1
	s_add_i32 s23, s3, 3
	s_ashr_i32 s1, s1, 4
	s_ashr_i32 s2, s23, 31
	v_cmp_gt_u32_e64 s1, s1, v0
	v_readfirstlane_b32 s35, v1
	s_lshr_b32 s2, s2, 30
	s_ashr_i32 s34, s6, 31
	s_add_i32 s23, s23, s2
	s_sub_i32 s2, 0, s33
	s_and_b32 s38, s23, -4
	s_mul_i32 s23, s2, s35
	s_delay_alu instid0(SALU_CYCLE_1) | instskip(NEXT) | instid1(SALU_CYCLE_1)
	s_mul_hi_u32 s23, s35, s23
	s_add_i32 s35, s35, s23
	v_lshlrev_b32_e32 v2, 2, v2
	ds_load_b32 v20, v2
	s_waitcnt lgkmcnt(0)
	v_readlane_b32 s2, v20, 0
	s_delay_alu instid0(VALU_DEP_1)
	s_cmp_lt_i32 s2, 0
	s_cbranch_scc1 .LBB117_12
; %bb.9:
	s_abs_i32 s23, s4
	s_xor_b32 s5, s5, s34
	s_mul_hi_u32 s24, s23, s35
	s_mov_b32 s31, -1
	s_mul_i32 s25, s24, s33
	s_delay_alu instid0(SALU_CYCLE_1)
	s_sub_i32 s23, s23, s25
	s_add_i32 s25, s24, 1
	s_sub_i32 s27, s23, s33
	s_cmp_ge_u32 s23, s33
	s_cselect_b32 s24, s25, s24
	s_cselect_b32 s23, s27, s23
	s_add_i32 s25, s24, 1
	s_cmp_ge_u32 s23, s33
	s_cselect_b32 s23, s25, s24
	s_delay_alu instid0(SALU_CYCLE_1) | instskip(NEXT) | instid1(SALU_CYCLE_1)
	s_xor_b32 s23, s23, s5
	s_sub_i32 s5, s23, s5
	s_delay_alu instid0(SALU_CYCLE_1) | instskip(SKIP_2) | instid1(SALU_CYCLE_1)
	s_mul_i32 s23, s5, s6
	s_mul_i32 s25, s5, s7
	s_sub_i32 s23, s4, s23
	s_mul_i32 s24, s23, s8
	s_delay_alu instid0(SALU_CYCLE_1) | instskip(NEXT) | instid1(SALU_CYCLE_1)
	s_add_i32 s41, s24, s25
	s_cmp_eq_u32 s41, -1
	s_cbranch_scc1 .LBB117_13
; %bb.10:
	s_mul_hi_i32 s25, s41, s40
	s_mul_i32 s24, s41, s40
	s_mov_b32 s27, s31
	s_lshl_b64 s[24:25], s[24:25], 1
	s_delay_alu instid0(SALU_CYCLE_1) | instskip(SKIP_1) | instid1(SALU_CYCLE_1)
	s_add_u32 s24, s16, s24
	s_addc_u32 s25, s17, s25
	s_and_b32 s25, s25, 0xffff
	s_clause 0x1
	buffer_load_b128 v[0:3], v16, s[24:27], 0 offen
	buffer_load_b128 v[4:7], v16, s[24:27], 16 offen
	s_waitcnt vmcnt(1)
	v_lshrrev_b32_e32 v8, 16, v0
	v_and_b32_e32 v0, 0xffff, v0
	v_lshrrev_b32_e32 v9, 16, v1
	v_and_b32_e32 v10, 0xffff, v1
	;; [unrolled: 2-line block ×4, first 2 shown]
	s_waitcnt vmcnt(0)
	v_lshrrev_b32_e32 v15, 16, v4
	v_and_b32_e32 v23, 0xffff, v4
	v_lshrrev_b32_e32 v24, 16, v5
	v_and_b32_e32 v25, 0xffff, v5
	;; [unrolled: 2-line block ×4, first 2 shown]
	v_cvt_f32_u32_e32 v1, v8
	v_cvt_f32_u32_e32 v0, v0
	;; [unrolled: 1-line block ×16, first 2 shown]
	s_branch .LBB117_14
.LBB117_11:
                                        ; implicit-def: $sgpr4
	s_branch .LBB117_2
.LBB117_12:
                                        ; implicit-def: $vgpr0_vgpr1_vgpr2_vgpr3_vgpr4_vgpr5_vgpr6_vgpr7_vgpr8_vgpr9_vgpr10_vgpr11_vgpr12_vgpr13_vgpr14_vgpr15
	s_cmp_eq_u32 s11, 1
	s_mov_b32 s5, 1
	s_cbranch_scc0 .LBB117_21
	s_branch .LBB117_35
.LBB117_13:
                                        ; implicit-def: $vgpr0_vgpr1_vgpr2_vgpr3_vgpr4_vgpr5_vgpr6_vgpr7_vgpr8_vgpr9_vgpr10_vgpr11_vgpr12_vgpr13_vgpr14_vgpr15
.LBB117_14:
	s_mul_i32 s24, s2, s3
	s_delay_alu instid0(SALU_CYCLE_1) | instskip(NEXT) | instid1(SALU_CYCLE_1)
	s_ashr_i32 s25, s24, 31
	s_lshl_b64 s[24:25], s[24:25], 2
	s_delay_alu instid0(SALU_CYCLE_1) | instskip(SKIP_1) | instid1(SALU_CYCLE_1)
	s_add_u32 s28, s18, s24
	s_addc_u32 s2, s19, s25
	s_and_b32 s29, s2, 0xffff
	s_clause 0x3
	buffer_load_b128 v[23:26], v17, s[28:31], 0 offen
	buffer_load_b128 v[27:30], v17, s[28:31], 16 offen
	;; [unrolled: 1-line block ×4, first 2 shown]
	s_waitcnt vmcnt(3)
	v_dual_mul_f32 v37, v0, v23 :: v_dual_mul_f32 v38, v1, v24
	v_dual_mul_f32 v31, v2, v25 :: v_dual_mul_f32 v32, v3, v26
	s_waitcnt vmcnt(2)
	v_dual_mul_f32 v33, v4, v27 :: v_dual_mul_f32 v34, v5, v28
	s_delay_alu instid0(VALU_DEP_3) | instskip(SKIP_3) | instid1(VALU_DEP_3)
	v_max3_f32 v23, |v37|, 0x2edbe6ff, |v38|
	v_dual_mul_f32 v35, v6, v29 :: v_dual_mul_f32 v36, v7, v30
	s_waitcnt vmcnt(1)
	v_dual_mul_f32 v28, v8, v39 :: v_dual_mul_f32 v29, v9, v40
	v_max3_f32 v23, v23, |v31|, |v32|
	s_waitcnt vmcnt(0)
	v_mul_f32_e32 v26, v12, v43
	v_dual_mul_f32 v30, v13, v44 :: v_dual_mul_f32 v27, v15, v46
	v_mul_f32_e32 v24, v11, v42
	v_max3_f32 v23, v23, |v33|, |v34|
	s_delay_alu instid0(VALU_DEP_1) | instskip(SKIP_1) | instid1(VALU_DEP_2)
	v_max3_f32 v25, v23, |v35|, |v36|
	v_mul_f32_e32 v23, v10, v41
	v_max3_f32 v25, v25, |v28|, |v29|
	s_delay_alu instid0(VALU_DEP_1) | instskip(SKIP_1) | instid1(VALU_DEP_2)
	v_max3_f32 v39, v25, |v23|, |v24|
	v_mul_f32_e32 v25, v14, v45
	v_max3_f32 v39, v39, |v26|, |v30|
	s_delay_alu instid0(VALU_DEP_1) | instskip(NEXT) | instid1(VALU_DEP_1)
	v_max3_f32 v39, v39, |v25|, |v27|
	v_mov_b32_dpp v40, v39 quad_perm:[1,0,3,2] row_mask:0xf bank_mask:0xf
	s_delay_alu instid0(VALU_DEP_1) | instskip(NEXT) | instid1(VALU_DEP_1)
	v_cmp_gt_f32_e64 s2, v39, v40
	v_cndmask_b32_e64 v39, v40, v39, s2
	s_delay_alu instid0(VALU_DEP_1) | instskip(NEXT) | instid1(VALU_DEP_1)
	v_mov_b32_dpp v40, v39 quad_perm:[2,3,0,1] row_mask:0xf bank_mask:0xf
	v_cmp_gt_f32_e64 s2, v39, v40
	s_delay_alu instid0(VALU_DEP_1) | instskip(NEXT) | instid1(VALU_DEP_1)
	v_cndmask_b32_e64 v39, v40, v39, s2
	v_mov_b32_dpp v40, v39 row_xmask:7 row_mask:0xf bank_mask:0xf
	s_delay_alu instid0(VALU_DEP_1) | instskip(NEXT) | instid1(VALU_DEP_1)
	v_cmp_gt_f32_e64 s2, v39, v40
	v_cndmask_b32_e64 v39, v40, v39, s2
	s_delay_alu instid0(VALU_DEP_1) | instskip(NEXT) | instid1(VALU_DEP_1)
	v_mov_b32_dpp v40, v39 row_xmask:15 row_mask:0xf bank_mask:0xf
	v_cmp_gt_f32_e64 s2, v39, v40
	s_and_saveexec_b32 s24, vcc_lo
	s_cbranch_execz .LBB117_16
; %bb.15:
	s_delay_alu instid0(VALU_DEP_1)
	v_cndmask_b32_e64 v39, v40, v39, s2
	s_mov_b32 s2, 0x76543210
	s_delay_alu instid0(VALU_DEP_1) | instid1(SALU_CYCLE_1)
	v_permlanex16_b32 v40, v39, s2, 0xfedcba98 op_sel:[1,1]
	s_delay_alu instid0(VALU_DEP_1) | instskip(NEXT) | instid1(VALU_DEP_1)
	v_cmp_gt_f32_e64 s2, v39, v40
	v_cndmask_b32_e64 v39, v40, v39, s2
	ds_store_b32 v18, v39
.LBB117_16:
	s_or_b32 exec_lo, exec_lo, s24
	s_waitcnt lgkmcnt(0)
	s_barrier
	buffer_gl0_inv
	ds_load_b32 v39, v19
	s_mul_i32 s5, s5, s9
	s_waitcnt lgkmcnt(0)
	v_mov_b32_dpp v40, v39 quad_perm:[1,0,3,2] row_mask:0xf bank_mask:0xf
	s_delay_alu instid0(VALU_DEP_1) | instskip(NEXT) | instid1(VALU_DEP_1)
	v_cmp_gt_f32_e64 s2, v39, v40
	v_cndmask_b32_e64 v39, v40, v39, s2
	s_delay_alu instid0(VALU_DEP_1) | instskip(NEXT) | instid1(VALU_DEP_1)
	v_mov_b32_dpp v40, v39 quad_perm:[2,3,0,1] row_mask:0xf bank_mask:0xf
	v_cmp_gt_f32_e64 s2, v39, v40
	s_delay_alu instid0(VALU_DEP_1) | instskip(NEXT) | instid1(VALU_DEP_1)
	v_cndmask_b32_e64 v39, v40, v39, s2
	v_mov_b32_dpp v40, v39 row_xmask:7 row_mask:0xf bank_mask:0xf
	s_delay_alu instid0(VALU_DEP_1) | instskip(NEXT) | instid1(VALU_DEP_1)
	v_cmp_gt_f32_e64 s2, v39, v40
	v_cndmask_b32_e64 v39, v40, v39, s2
	s_mul_i32 s2, s23, s10
	s_delay_alu instid0(SALU_CYCLE_1) | instskip(NEXT) | instid1(VALU_DEP_1)
	s_add_i32 s24, s2, s5
	v_mul_f32_e32 v39, 0x3c010204, v39
	s_and_saveexec_b32 s2, s0
	s_cbranch_execz .LBB117_18
; %bb.17:
	s_ashr_i32 s25, s24, 31
	v_mov_b32_e32 v40, 0
	s_lshl_b64 s[28:29], s[24:25], 2
	s_delay_alu instid0(SALU_CYCLE_1)
	s_add_u32 s28, s14, s28
	s_addc_u32 s29, s15, s29
	global_store_b32 v40, v39, s[28:29]
.LBB117_18:
	s_or_b32 exec_lo, exec_lo, s2
	s_and_saveexec_b32 s2, s1
	s_cbranch_execz .LBB117_20
; %bb.19:
	v_rcp_f32_e32 v39, v39
	s_mul_i32 s5, s24, s40
	s_mul_hi_i32 s23, s24, s40
	s_add_u32 s36, s12, s5
	s_addc_u32 s5, s13, s23
	s_mov_b32 s39, -1
	s_and_b32 s37, s5, 0xffff
	s_waitcnt_depctr 0xfff
	v_mul_f32_e32 v30, v30, v39
	v_mul_f32_e32 v26, v26, v39
	;; [unrolled: 1-line block ×5, first 2 shown]
	v_cvt_i32_f32_e32 v30, v30
	v_cvt_i32_f32_e32 v26, v26
	v_mul_f32_e32 v37, v37, v39
	v_mul_f32_e32 v25, v25, v39
	v_cvt_i32_f32_e32 v28, v28
	v_lshlrev_b16 v30, 8, v30
	v_and_b32_e32 v26, 0xff, v26
	v_cvt_i32_f32_e32 v27, v27
	v_cvt_i32_f32_e32 v25, v25
	;; [unrolled: 1-line block ×3, first 2 shown]
	v_mul_f32_e32 v38, v38, v39
	v_or_b32_e32 v26, v26, v30
	v_mul_f32_e32 v33, v33, v39
	v_dual_mul_f32 v31, v31, v39 :: v_dual_and_b32 v28, 0xff, v28
	v_lshlrev_b16 v27, 8, v27
	v_and_b32_e32 v25, 0xff, v25
	v_lshlrev_b16 v29, 8, v29
	v_mul_f32_e32 v24, v24, v39
	v_dual_mul_f32 v23, v23, v39 :: v_dual_and_b32 v26, 0xffff, v26
	v_cvt_i32_f32_e32 v33, v33
	v_mul_f32_e32 v34, v34, v39
	v_or_b32_e32 v25, v25, v27
	v_or_b32_e32 v27, v28, v29
	v_cvt_i32_f32_e32 v24, v24
	v_and_b32_e32 v29, 0xff, v33
	v_cvt_i32_f32_e32 v34, v34
	v_cvt_i32_f32_e32 v23, v23
	v_dual_mul_f32 v32, v32, v39 :: v_dual_lshlrev_b32 v25, 16, v25
	v_lshlrev_b16 v24, 8, v24
	s_delay_alu instid0(VALU_DEP_4) | instskip(NEXT) | instid1(VALU_DEP_4)
	v_lshlrev_b16 v28, 8, v34
	v_and_b32_e32 v23, 0xff, v23
	v_cvt_i32_f32_e32 v37, v37
	v_mul_f32_e32 v36, v36, v39
	v_cvt_i32_f32_e32 v38, v38
	v_cvt_i32_f32_e32 v31, v31
	v_or_b32_e32 v23, v23, v24
	v_or_b32_e32 v24, v29, v28
	v_mul_f32_e32 v35, v35, v39
	v_cvt_i32_f32_e32 v32, v32
	v_lshlrev_b16 v34, 8, v38
	v_and_b32_e32 v31, 0xff, v31
	v_and_b32_e32 v24, 0xffff, v24
	v_cvt_i32_f32_e32 v35, v35
	v_lshlrev_b16 v32, 8, v32
	v_and_b32_e32 v27, 0xffff, v27
	v_lshlrev_b32_e32 v23, 16, v23
	v_or_b32_e32 v26, v26, v25
	v_and_b32_e32 v33, 0xff, v35
	v_and_b32_e32 v35, 0xff, v37
	v_cvt_i32_f32_e32 v36, v36
	v_or_b32_e32 v25, v27, v23
	s_delay_alu instid0(VALU_DEP_3) | instskip(NEXT) | instid1(VALU_DEP_3)
	v_or_b32_e32 v29, v35, v34
	v_lshlrev_b16 v30, 8, v36
	s_delay_alu instid0(VALU_DEP_2) | instskip(NEXT) | instid1(VALU_DEP_2)
	v_and_b32_e32 v29, 0xffff, v29
	v_or_b32_e32 v28, v33, v30
	v_or_b32_e32 v30, v31, v32
	s_delay_alu instid0(VALU_DEP_2) | instskip(NEXT) | instid1(VALU_DEP_2)
	v_lshlrev_b32_e32 v28, 16, v28
	v_lshlrev_b32_e32 v30, 16, v30
	s_delay_alu instid0(VALU_DEP_2) | instskip(NEXT) | instid1(VALU_DEP_2)
	v_or_b32_e32 v24, v24, v28
	v_or_b32_e32 v23, v29, v30
	buffer_store_b128 v[23:26], v21, s[36:39], 0 offen
	;;#ASMSTART
	s_nop 0
	;;#ASMEND
.LBB117_20:
	s_or_b32 exec_lo, exec_lo, s2
	s_cmp_eq_u32 s11, 1
	s_mov_b32 s5, 1
	s_cbranch_scc1 .LBB117_35
.LBB117_21:
	v_dual_mov_b32 v23, 0 :: v_dual_add_nc_u32 v22, 4, v22
	s_mov_b32 s31, -1
	s_mov_b32 s42, 0x76543210
	s_branch .LBB117_24
.LBB117_22:                             ;   in Loop: Header=BB117_24 Depth=1
	s_or_b32 exec_lo, exec_lo, s2
.LBB117_23:                             ;   in Loop: Header=BB117_24 Depth=1
	v_add_nc_u32_e32 v22, 4, v22
	s_add_i32 s5, s5, 1
	s_delay_alu instid0(SALU_CYCLE_1)
	s_cmp_eq_u32 s11, s5
	s_cbranch_scc1 .LBB117_35
.LBB117_24:                             ; =>This Inner Loop Header: Depth=1
	s_and_b32 s2, s5, 31
	s_delay_alu instid0(SALU_CYCLE_1)
	s_cmp_lg_u32 s2, 0
	s_cbranch_scc1 .LBB117_26
; %bb.25:                               ;   in Loop: Header=BB117_24 Depth=1
	s_mov_b32 s23, s31
	buffer_load_b32 v20, v22, s[20:23], 0 offen
	s_waitcnt vmcnt(0) expcnt(0) lgkmcnt(55)
	v_lshlrev_b32_e32 v20, 2, v20
	ds_load_b32 v20, v20
.LBB117_26:                             ;   in Loop: Header=BB117_24 Depth=1
	s_waitcnt lgkmcnt(0)
	v_readlane_b32 s2, v20, s2
	s_delay_alu instid0(VALU_DEP_1)
	s_cmp_lt_i32 s2, 0
	s_cbranch_scc1 .LBB117_23
; %bb.27:                               ;   in Loop: Header=BB117_24 Depth=1
	s_add_i32 s24, s4, s5
	s_delay_alu instid0(SALU_CYCLE_1) | instskip(SKIP_4) | instid1(SALU_CYCLE_1)
	s_abs_i32 s23, s24
	s_ashr_i32 s27, s24, 31
	s_mul_hi_u32 s25, s23, s35
	s_xor_b32 s27, s27, s34
	s_mul_i32 s28, s25, s33
	s_sub_i32 s23, s23, s28
	s_add_i32 s28, s25, 1
	s_sub_i32 s29, s23, s33
	s_cmp_ge_u32 s23, s33
	s_cselect_b32 s25, s28, s25
	s_cselect_b32 s23, s29, s23
	s_add_i32 s28, s25, 1
	s_cmp_ge_u32 s23, s33
	s_cselect_b32 s23, s28, s25
	s_delay_alu instid0(SALU_CYCLE_1) | instskip(NEXT) | instid1(SALU_CYCLE_1)
	s_xor_b32 s23, s23, s27
	s_sub_i32 s23, s23, s27
	s_delay_alu instid0(SALU_CYCLE_1) | instskip(NEXT) | instid1(SALU_CYCLE_1)
	s_mul_i32 s25, s23, s6
	s_sub_i32 s36, s24, s25
	s_mul_i32 s24, s23, s7
	s_mul_i32 s28, s36, s8
	s_delay_alu instid0(SALU_CYCLE_1) | instskip(NEXT) | instid1(SALU_CYCLE_1)
	s_add_i32 s28, s28, s24
	s_cmp_eq_u32 s28, s41
	s_cbranch_scc1 .LBB117_29
; %bb.28:                               ;   in Loop: Header=BB117_24 Depth=1
	s_mul_hi_i32 s25, s28, s40
	s_mul_i32 s24, s28, s40
	s_mov_b32 s27, s31
	s_lshl_b64 s[24:25], s[24:25], 1
	s_mov_b32 s41, s28
	s_add_u32 s24, s16, s24
	s_addc_u32 s25, s17, s25
	s_delay_alu instid0(SALU_CYCLE_1)
	s_and_b32 s25, s25, 0xffff
	s_clause 0x1
	buffer_load_b128 v[0:3], v16, s[24:27], 0 offen
	buffer_load_b128 v[4:7], v16, s[24:27], 16 offen
	s_waitcnt vmcnt(1)
	v_lshrrev_b32_e32 v8, 16, v0
	v_and_b32_e32 v0, 0xffff, v0
	v_lshrrev_b32_e32 v9, 16, v1
	v_and_b32_e32 v10, 0xffff, v1
	;; [unrolled: 2-line block ×4, first 2 shown]
	s_waitcnt vmcnt(0)
	v_lshrrev_b32_e32 v15, 16, v4
	v_and_b32_e32 v24, 0xffff, v4
	v_lshrrev_b32_e32 v25, 16, v5
	v_and_b32_e32 v26, 0xffff, v5
	;; [unrolled: 2-line block ×4, first 2 shown]
	v_cvt_f32_u32_e32 v1, v8
	v_cvt_f32_u32_e32 v0, v0
	;; [unrolled: 1-line block ×16, first 2 shown]
.LBB117_29:                             ;   in Loop: Header=BB117_24 Depth=1
	s_mul_i32 s24, s2, s3
	s_delay_alu instid0(SALU_CYCLE_1) | instskip(NEXT) | instid1(SALU_CYCLE_1)
	s_ashr_i32 s25, s24, 31
	s_lshl_b64 s[24:25], s[24:25], 2
	s_delay_alu instid0(SALU_CYCLE_1) | instskip(SKIP_1) | instid1(SALU_CYCLE_1)
	s_add_u32 s28, s18, s24
	s_addc_u32 s2, s19, s25
	s_and_b32 s29, s2, 0xffff
	s_clause 0x3
	buffer_load_b128 v[24:27], v17, s[28:31], 0 offen
	buffer_load_b128 v[28:31], v17, s[28:31], 16 offen
	;; [unrolled: 1-line block ×4, first 2 shown]
	s_waitcnt vmcnt(3)
	v_dual_mul_f32 v38, v0, v24 :: v_dual_mul_f32 v39, v1, v25
	v_dual_mul_f32 v32, v2, v26 :: v_dual_mul_f32 v33, v3, v27
	s_waitcnt vmcnt(2)
	v_dual_mul_f32 v34, v4, v28 :: v_dual_mul_f32 v35, v5, v29
	s_delay_alu instid0(VALU_DEP_3) | instskip(SKIP_3) | instid1(VALU_DEP_3)
	v_max3_f32 v24, |v38|, 0x2edbe6ff, |v39|
	v_dual_mul_f32 v36, v6, v30 :: v_dual_mul_f32 v37, v7, v31
	s_waitcnt vmcnt(1)
	v_dual_mul_f32 v29, v8, v40 :: v_dual_mul_f32 v30, v9, v41
	v_max3_f32 v24, v24, |v32|, |v33|
	s_waitcnt vmcnt(0)
	v_mul_f32_e32 v27, v12, v44
	v_dual_mul_f32 v31, v13, v45 :: v_dual_mul_f32 v28, v15, v47
	v_mul_f32_e32 v25, v11, v43
	v_max3_f32 v24, v24, |v34|, |v35|
	s_delay_alu instid0(VALU_DEP_1) | instskip(SKIP_1) | instid1(VALU_DEP_2)
	v_max3_f32 v26, v24, |v36|, |v37|
	v_mul_f32_e32 v24, v10, v42
	v_max3_f32 v26, v26, |v29|, |v30|
	s_delay_alu instid0(VALU_DEP_1) | instskip(SKIP_1) | instid1(VALU_DEP_2)
	v_max3_f32 v40, v26, |v24|, |v25|
	v_mul_f32_e32 v26, v14, v46
	v_max3_f32 v40, v40, |v27|, |v31|
	s_delay_alu instid0(VALU_DEP_1) | instskip(NEXT) | instid1(VALU_DEP_1)
	v_max3_f32 v40, v40, |v26|, |v28|
	v_mov_b32_dpp v41, v40 quad_perm:[1,0,3,2] row_mask:0xf bank_mask:0xf
	s_delay_alu instid0(VALU_DEP_1) | instskip(NEXT) | instid1(VALU_DEP_1)
	v_cmp_gt_f32_e64 s2, v40, v41
	v_cndmask_b32_e64 v40, v41, v40, s2
	s_delay_alu instid0(VALU_DEP_1) | instskip(NEXT) | instid1(VALU_DEP_1)
	v_mov_b32_dpp v41, v40 quad_perm:[2,3,0,1] row_mask:0xf bank_mask:0xf
	v_cmp_gt_f32_e64 s2, v40, v41
	s_delay_alu instid0(VALU_DEP_1) | instskip(NEXT) | instid1(VALU_DEP_1)
	v_cndmask_b32_e64 v40, v41, v40, s2
	v_mov_b32_dpp v41, v40 row_xmask:7 row_mask:0xf bank_mask:0xf
	s_delay_alu instid0(VALU_DEP_1) | instskip(NEXT) | instid1(VALU_DEP_1)
	v_cmp_gt_f32_e64 s2, v40, v41
	v_cndmask_b32_e64 v40, v41, v40, s2
	s_delay_alu instid0(VALU_DEP_1) | instskip(NEXT) | instid1(VALU_DEP_1)
	v_mov_b32_dpp v41, v40 row_xmask:15 row_mask:0xf bank_mask:0xf
	v_cmp_gt_f32_e64 s2, v40, v41
	s_and_saveexec_b32 s24, vcc_lo
	s_cbranch_execz .LBB117_31
; %bb.30:                               ;   in Loop: Header=BB117_24 Depth=1
	s_delay_alu instid0(VALU_DEP_1) | instskip(NEXT) | instid1(VALU_DEP_1)
	v_cndmask_b32_e64 v40, v41, v40, s2
	v_permlanex16_b32 v41, v40, s42, 0xfedcba98 op_sel:[1,1]
	s_delay_alu instid0(VALU_DEP_1) | instskip(NEXT) | instid1(VALU_DEP_1)
	v_cmp_gt_f32_e64 s2, v40, v41
	v_cndmask_b32_e64 v40, v41, v40, s2
	ds_store_b32 v18, v40
.LBB117_31:                             ;   in Loop: Header=BB117_24 Depth=1
	s_or_b32 exec_lo, exec_lo, s24
	s_waitcnt lgkmcnt(0)
	s_waitcnt_vscnt null, 0x0
	s_barrier
	buffer_gl0_inv
	ds_load_b32 v40, v19
	s_mul_i32 s23, s23, s9
	s_waitcnt lgkmcnt(0)
	v_mov_b32_dpp v41, v40 quad_perm:[1,0,3,2] row_mask:0xf bank_mask:0xf
	s_delay_alu instid0(VALU_DEP_1) | instskip(NEXT) | instid1(VALU_DEP_1)
	v_cmp_gt_f32_e64 s2, v40, v41
	v_cndmask_b32_e64 v40, v41, v40, s2
	s_delay_alu instid0(VALU_DEP_1) | instskip(NEXT) | instid1(VALU_DEP_1)
	v_mov_b32_dpp v41, v40 quad_perm:[2,3,0,1] row_mask:0xf bank_mask:0xf
	v_cmp_gt_f32_e64 s2, v40, v41
	s_delay_alu instid0(VALU_DEP_1) | instskip(NEXT) | instid1(VALU_DEP_1)
	v_cndmask_b32_e64 v40, v41, v40, s2
	v_mov_b32_dpp v41, v40 row_xmask:7 row_mask:0xf bank_mask:0xf
	s_delay_alu instid0(VALU_DEP_1) | instskip(NEXT) | instid1(VALU_DEP_1)
	v_cmp_gt_f32_e64 s2, v40, v41
	v_cndmask_b32_e64 v40, v41, v40, s2
	s_mul_i32 s2, s36, s10
	s_delay_alu instid0(SALU_CYCLE_1) | instskip(NEXT) | instid1(VALU_DEP_1)
	s_add_i32 s24, s2, s23
	v_mul_f32_e32 v40, 0x3c010204, v40
	s_and_saveexec_b32 s2, s0
	s_cbranch_execz .LBB117_33
; %bb.32:                               ;   in Loop: Header=BB117_24 Depth=1
	s_ashr_i32 s25, s24, 31
	s_delay_alu instid0(SALU_CYCLE_1) | instskip(NEXT) | instid1(SALU_CYCLE_1)
	s_lshl_b64 s[28:29], s[24:25], 2
	s_add_u32 s28, s14, s28
	s_addc_u32 s29, s15, s29
	global_store_b32 v23, v40, s[28:29]
.LBB117_33:                             ;   in Loop: Header=BB117_24 Depth=1
	s_or_b32 exec_lo, exec_lo, s2
	s_and_saveexec_b32 s2, s1
	s_cbranch_execz .LBB117_22
; %bb.34:                               ;   in Loop: Header=BB117_24 Depth=1
	v_rcp_f32_e32 v40, v40
	s_mul_i32 s23, s24, s40
	s_mul_hi_i32 s24, s24, s40
	s_add_u32 s36, s12, s23
	s_addc_u32 s23, s13, s24
	s_mov_b32 s39, s31
	s_and_b32 s37, s23, 0xffff
	s_waitcnt_depctr 0xfff
	v_mul_f32_e32 v31, v31, v40
	v_mul_f32_e32 v27, v27, v40
	;; [unrolled: 1-line block ×5, first 2 shown]
	v_cvt_i32_f32_e32 v31, v31
	v_cvt_i32_f32_e32 v27, v27
	v_mul_f32_e32 v38, v38, v40
	v_mul_f32_e32 v26, v26, v40
	v_cvt_i32_f32_e32 v29, v29
	v_lshlrev_b16 v31, 8, v31
	v_and_b32_e32 v27, 0xff, v27
	v_cvt_i32_f32_e32 v28, v28
	v_cvt_i32_f32_e32 v26, v26
	;; [unrolled: 1-line block ×3, first 2 shown]
	v_mul_f32_e32 v39, v39, v40
	v_or_b32_e32 v27, v27, v31
	v_mul_f32_e32 v34, v34, v40
	v_dual_mul_f32 v32, v32, v40 :: v_dual_and_b32 v29, 0xff, v29
	v_lshlrev_b16 v28, 8, v28
	v_and_b32_e32 v26, 0xff, v26
	v_lshlrev_b16 v30, 8, v30
	v_mul_f32_e32 v25, v25, v40
	v_dual_mul_f32 v24, v24, v40 :: v_dual_and_b32 v27, 0xffff, v27
	v_cvt_i32_f32_e32 v34, v34
	v_mul_f32_e32 v35, v35, v40
	v_or_b32_e32 v26, v26, v28
	v_or_b32_e32 v28, v29, v30
	v_cvt_i32_f32_e32 v25, v25
	v_and_b32_e32 v30, 0xff, v34
	v_cvt_i32_f32_e32 v35, v35
	v_cvt_i32_f32_e32 v24, v24
	v_dual_mul_f32 v33, v33, v40 :: v_dual_lshlrev_b32 v26, 16, v26
	v_lshlrev_b16 v25, 8, v25
	s_delay_alu instid0(VALU_DEP_4) | instskip(NEXT) | instid1(VALU_DEP_4)
	v_lshlrev_b16 v29, 8, v35
	v_and_b32_e32 v24, 0xff, v24
	v_cvt_i32_f32_e32 v38, v38
	v_mul_f32_e32 v37, v37, v40
	v_cvt_i32_f32_e32 v39, v39
	v_cvt_i32_f32_e32 v32, v32
	v_or_b32_e32 v24, v24, v25
	v_or_b32_e32 v25, v30, v29
	v_mul_f32_e32 v36, v36, v40
	v_cvt_i32_f32_e32 v33, v33
	v_lshlrev_b16 v35, 8, v39
	v_and_b32_e32 v32, 0xff, v32
	v_and_b32_e32 v25, 0xffff, v25
	v_cvt_i32_f32_e32 v36, v36
	v_lshlrev_b16 v33, 8, v33
	v_and_b32_e32 v28, 0xffff, v28
	v_lshlrev_b32_e32 v24, 16, v24
	v_or_b32_e32 v27, v27, v26
	v_and_b32_e32 v34, 0xff, v36
	v_and_b32_e32 v36, 0xff, v38
	v_cvt_i32_f32_e32 v37, v37
	v_or_b32_e32 v26, v28, v24
	s_delay_alu instid0(VALU_DEP_3) | instskip(NEXT) | instid1(VALU_DEP_3)
	v_or_b32_e32 v30, v36, v35
	v_lshlrev_b16 v31, 8, v37
	s_delay_alu instid0(VALU_DEP_2) | instskip(NEXT) | instid1(VALU_DEP_2)
	v_and_b32_e32 v30, 0xffff, v30
	v_or_b32_e32 v29, v34, v31
	v_or_b32_e32 v31, v32, v33
	s_delay_alu instid0(VALU_DEP_2) | instskip(NEXT) | instid1(VALU_DEP_2)
	v_lshlrev_b32_e32 v29, 16, v29
	v_lshlrev_b32_e32 v31, 16, v31
	s_delay_alu instid0(VALU_DEP_2) | instskip(NEXT) | instid1(VALU_DEP_2)
	v_or_b32_e32 v25, v25, v29
	v_or_b32_e32 v24, v30, v31
	buffer_store_b128 v[24:27], v21, s[36:39], 0 offen
	;;#ASMSTART
	s_nop 0
	;;#ASMEND
	s_branch .LBB117_22
.LBB117_35:
	s_nop 0
	s_sendmsg sendmsg(MSG_DEALLOC_VGPRS)
	s_endpgm
	.section	.rodata,"a",@progbits
	.p2align	6, 0x0
	.amdhsa_kernel _ZN5aiter36smooth_per_token_scaled_quant_kernelItaLi256ELi16ELb0ELb1ELb1ELi1024EEEvPT0_PfPT_S3_PiS6_iiPKiiiiiiiii
		.amdhsa_group_segment_fixed_size 4128
		.amdhsa_private_segment_fixed_size 0
		.amdhsa_kernarg_size 96
		.amdhsa_user_sgpr_count 15
		.amdhsa_user_sgpr_dispatch_ptr 0
		.amdhsa_user_sgpr_queue_ptr 0
		.amdhsa_user_sgpr_kernarg_segment_ptr 1
		.amdhsa_user_sgpr_dispatch_id 0
		.amdhsa_user_sgpr_private_segment_size 0
		.amdhsa_wavefront_size32 1
		.amdhsa_uses_dynamic_stack 0
		.amdhsa_enable_private_segment 0
		.amdhsa_system_sgpr_workgroup_id_x 1
		.amdhsa_system_sgpr_workgroup_id_y 0
		.amdhsa_system_sgpr_workgroup_id_z 0
		.amdhsa_system_sgpr_workgroup_info 0
		.amdhsa_system_vgpr_workitem_id 0
		.amdhsa_next_free_vgpr 48
		.amdhsa_next_free_sgpr 43
		.amdhsa_reserve_vcc 1
		.amdhsa_float_round_mode_32 0
		.amdhsa_float_round_mode_16_64 0
		.amdhsa_float_denorm_mode_32 3
		.amdhsa_float_denorm_mode_16_64 3
		.amdhsa_dx10_clamp 1
		.amdhsa_ieee_mode 1
		.amdhsa_fp16_overflow 0
		.amdhsa_workgroup_processor_mode 1
		.amdhsa_memory_ordered 1
		.amdhsa_forward_progress 0
		.amdhsa_shared_vgpr_count 0
		.amdhsa_exception_fp_ieee_invalid_op 0
		.amdhsa_exception_fp_denorm_src 0
		.amdhsa_exception_fp_ieee_div_zero 0
		.amdhsa_exception_fp_ieee_overflow 0
		.amdhsa_exception_fp_ieee_underflow 0
		.amdhsa_exception_fp_ieee_inexact 0
		.amdhsa_exception_int_div_zero 0
	.end_amdhsa_kernel
	.section	.text._ZN5aiter36smooth_per_token_scaled_quant_kernelItaLi256ELi16ELb0ELb1ELb1ELi1024EEEvPT0_PfPT_S3_PiS6_iiPKiiiiiiiii,"axG",@progbits,_ZN5aiter36smooth_per_token_scaled_quant_kernelItaLi256ELi16ELb0ELb1ELb1ELi1024EEEvPT0_PfPT_S3_PiS6_iiPKiiiiiiiii,comdat
.Lfunc_end117:
	.size	_ZN5aiter36smooth_per_token_scaled_quant_kernelItaLi256ELi16ELb0ELb1ELb1ELi1024EEEvPT0_PfPT_S3_PiS6_iiPKiiiiiiiii, .Lfunc_end117-_ZN5aiter36smooth_per_token_scaled_quant_kernelItaLi256ELi16ELb0ELb1ELb1ELi1024EEEvPT0_PfPT_S3_PiS6_iiPKiiiiiiiii
                                        ; -- End function
	.section	.AMDGPU.csdata,"",@progbits
; Kernel info:
; codeLenInByte = 3616
; NumSgprs: 45
; NumVgprs: 48
; ScratchSize: 0
; MemoryBound: 0
; FloatMode: 240
; IeeeMode: 1
; LDSByteSize: 4128 bytes/workgroup (compile time only)
; SGPRBlocks: 5
; VGPRBlocks: 5
; NumSGPRsForWavesPerEU: 45
; NumVGPRsForWavesPerEU: 48
; Occupancy: 16
; WaveLimiterHint : 0
; COMPUTE_PGM_RSRC2:SCRATCH_EN: 0
; COMPUTE_PGM_RSRC2:USER_SGPR: 15
; COMPUTE_PGM_RSRC2:TRAP_HANDLER: 0
; COMPUTE_PGM_RSRC2:TGID_X_EN: 1
; COMPUTE_PGM_RSRC2:TGID_Y_EN: 0
; COMPUTE_PGM_RSRC2:TGID_Z_EN: 0
; COMPUTE_PGM_RSRC2:TIDIG_COMP_CNT: 0
	.section	.text._ZN5aiter36smooth_per_token_scaled_quant_kernelIDF16_aLi256ELi16ELb0ELb1ELb0ELi1024EEEvPT0_PfPT_S3_PiS6_iiPKiiiiiiiii,"axG",@progbits,_ZN5aiter36smooth_per_token_scaled_quant_kernelIDF16_aLi256ELi16ELb0ELb1ELb0ELi1024EEEvPT0_PfPT_S3_PiS6_iiPKiiiiiiiii,comdat
	.protected	_ZN5aiter36smooth_per_token_scaled_quant_kernelIDF16_aLi256ELi16ELb0ELb1ELb0ELi1024EEEvPT0_PfPT_S3_PiS6_iiPKiiiiiiiii ; -- Begin function _ZN5aiter36smooth_per_token_scaled_quant_kernelIDF16_aLi256ELi16ELb0ELb1ELb0ELi1024EEEvPT0_PfPT_S3_PiS6_iiPKiiiiiiiii
	.globl	_ZN5aiter36smooth_per_token_scaled_quant_kernelIDF16_aLi256ELi16ELb0ELb1ELb0ELi1024EEEvPT0_PfPT_S3_PiS6_iiPKiiiiiiiii
	.p2align	8
	.type	_ZN5aiter36smooth_per_token_scaled_quant_kernelIDF16_aLi256ELi16ELb0ELb1ELb0ELi1024EEEvPT0_PfPT_S3_PiS6_iiPKiiiiiiiii,@function
_ZN5aiter36smooth_per_token_scaled_quant_kernelIDF16_aLi256ELi16ELb0ELb1ELb0ELi1024EEEvPT0_PfPT_S3_PiS6_iiPKiiiiiiiii: ; @_ZN5aiter36smooth_per_token_scaled_quant_kernelIDF16_aLi256ELi16ELb0ELb1ELb0ELi1024EEEvPT0_PfPT_S3_PiS6_iiPKiiiiiiiii
; %bb.0:
	s_clause 0x1
	s_load_b64 s[2:3], s[0:1], 0x38
	s_load_b256 s[4:11], s[0:1], 0x40
	s_waitcnt lgkmcnt(0)
	s_cmp_lg_u64 s[2:3], 0
	s_cbranch_scc0 .LBB118_11
; %bb.1:
	s_load_b32 s2, s[2:3], 0x0
	s_waitcnt lgkmcnt(0)
	s_mul_i32 s4, s2, s4
	s_cbranch_execnz .LBB118_3
.LBB118_2:
	s_mul_i32 s4, s6, s5
.LBB118_3:
	s_load_b64 s[2:3], s[0:1], 0x30
	s_abs_i32 s13, s4
	s_waitcnt lgkmcnt(0)
	s_abs_i32 s5, s2
	s_delay_alu instid0(SALU_CYCLE_1) | instskip(SKIP_1) | instid1(VALU_DEP_1)
	v_cvt_f32_u32_e32 v1, s5
	s_sub_i32 s12, 0, s5
	v_rcp_iflag_f32_e32 v1, v1
	s_waitcnt_depctr 0xfff
	v_mul_f32_e32 v1, 0x4f7ffffe, v1
	s_delay_alu instid0(VALU_DEP_1) | instskip(NEXT) | instid1(VALU_DEP_1)
	v_cvt_u32_f32_e32 v1, v1
	v_readfirstlane_b32 s11, v1
	s_delay_alu instid0(VALU_DEP_1) | instskip(NEXT) | instid1(SALU_CYCLE_1)
	s_mul_i32 s12, s12, s11
	s_mul_hi_u32 s12, s11, s12
	s_delay_alu instid0(SALU_CYCLE_1) | instskip(SKIP_4) | instid1(SALU_CYCLE_1)
	s_add_i32 s11, s11, s12
	s_xor_b32 s12, s4, s2
	s_mul_hi_u32 s11, s13, s11
	s_ashr_i32 s12, s12, 31
	s_mul_i32 s14, s11, s5
	s_sub_i32 s13, s13, s14
	s_add_i32 s14, s11, 1
	s_sub_i32 s16, s13, s5
	s_cmp_ge_u32 s13, s5
	s_cselect_b32 s11, s14, s11
	s_cselect_b32 s13, s16, s13
	s_add_i32 s14, s11, 1
	s_cmp_ge_u32 s13, s5
	s_cselect_b32 s5, s14, s11
	s_delay_alu instid0(SALU_CYCLE_1) | instskip(NEXT) | instid1(SALU_CYCLE_1)
	s_xor_b32 s5, s5, s12
	s_sub_i32 s11, s5, s12
	s_mov_b32 s12, 0
	s_mul_i32 s2, s11, s2
	s_delay_alu instid0(SALU_CYCLE_1) | instskip(NEXT) | instid1(SALU_CYCLE_1)
	s_sub_i32 s4, s4, s2
	s_cmp_lt_u32 s15, s4
	s_cselect_b32 s2, -1, 0
	s_add_i32 s5, s11, 1
	s_cmp_ge_u32 s15, s4
	s_cbranch_scc0 .LBB118_5
; %bb.4:
	s_sub_i32 s13, s15, s4
	s_mul_i32 s4, s4, s5
	s_mul_i32 s13, s13, s11
	s_delay_alu instid0(SALU_CYCLE_1)
	s_add_i32 s4, s13, s4
	s_and_not1_b32 vcc_lo, exec_lo, s12
	s_cbranch_vccz .LBB118_6
	s_branch .LBB118_7
.LBB118_5:
                                        ; implicit-def: $sgpr4
.LBB118_6:
	s_mul_i32 s4, s5, s15
.LBB118_7:
	v_cndmask_b32_e64 v1, 0, 1, s2
	s_delay_alu instid0(VALU_DEP_1) | instskip(NEXT) | instid1(VALU_DEP_1)
	v_readfirstlane_b32 s2, v1
	s_add_i32 s11, s11, s2
	s_delay_alu instid0(SALU_CYCLE_1)
	s_cmp_lt_i32 s11, 1
	s_cbranch_scc1 .LBB118_35
; %bb.8:
	s_load_b64 s[12:13], s[0:1], 0x20
	s_ashr_i32 s5, s4, 31
	v_and_b32_e32 v1, 31, v0
	s_lshl_b64 s[14:15], s[4:5], 2
	s_mov_b32 s41, -1
	v_lshrrev_b32_e32 v3, 3, v0
	s_mov_b32 s23, s41
	v_cmp_eq_u32_e32 vcc_lo, 31, v1
	v_and_b32_e32 v4, 7, v0
	v_lshlrev_b32_e32 v17, 5, v0
	v_lshlrev_b32_e32 v18, 6, v0
	v_and_b32_e32 v19, 0x7c, v3
	v_lshlrev_b32_e32 v21, 4, v0
	v_lshlrev_b32_e32 v20, 2, v4
	s_mov_b32 s34, s3
	s_waitcnt lgkmcnt(0)
	s_add_u32 s20, s12, s14
	s_addc_u32 s2, s13, s15
	s_abs_i32 s33, s6
	s_lshl_b32 s22, s11, 2
	v_cvt_f32_u32_e32 v2, s33
	s_and_b32 s21, s2, 0xffff
	s_load_b256 s[12:19], s[0:1], 0x0
	s_add_i32 s1, s3, 15
	v_cmp_eq_u32_e64 s0, 0, v0
	v_rcp_iflag_f32_e32 v2, v2
	v_lshlrev_b32_e32 v22, 2, v1
	s_ashr_i32 s2, s1, 31
	s_lshl_b32 s26, s3, 1
	s_lshr_b32 s2, s2, 28
	s_lshl_b32 s30, s3, 2
	s_add_i32 s1, s1, s2
	s_ashr_i32 s35, s6, 31
	s_ashr_i32 s1, s1, 4
	s_waitcnt_depctr 0xfff
	v_mul_f32_e32 v1, 0x4f7ffffe, v2
	buffer_load_b32 v16, v22, s[20:23], 0 offen
	s_add_i32 s23, s3, 3
	v_cmp_gt_u32_e64 s1, s1, v0
	s_ashr_i32 s2, s23, 31
	v_cvt_u32_f32_e32 v1, v1
	s_lshr_b32 s2, s2, 30
	s_waitcnt vmcnt(3) expcnt(0) lgkmcnt(55)
	s_add_i32 s23, s23, s2
	s_sub_i32 s2, 0, s33
	v_readfirstlane_b32 s40, v1
	s_and_b32 s38, s23, -4
	s_waitcnt vmcnt(0) lgkmcnt(0)
	s_barrier
	buffer_gl0_inv
	s_mul_i32 s23, s2, s40
	s_delay_alu instid0(SALU_CYCLE_1) | instskip(NEXT) | instid1(SALU_CYCLE_1)
	s_mul_hi_u32 s23, s40, s23
	s_add_i32 s40, s40, s23
	v_readlane_b32 s2, v16, 0
	s_delay_alu instid0(VALU_DEP_1)
	s_cmp_lt_i32 s2, 0
	s_cbranch_scc1 .LBB118_12
; %bb.9:
	s_abs_i32 s23, s4
	s_xor_b32 s5, s5, s35
	s_mul_hi_u32 s24, s23, s40
	s_mov_b32 s31, -1
	s_mul_i32 s25, s24, s33
	s_delay_alu instid0(SALU_CYCLE_1)
	s_sub_i32 s23, s23, s25
	s_add_i32 s25, s24, 1
	s_sub_i32 s27, s23, s33
	s_cmp_ge_u32 s23, s33
	s_cselect_b32 s24, s25, s24
	s_cselect_b32 s23, s27, s23
	s_add_i32 s25, s24, 1
	s_cmp_ge_u32 s23, s33
	s_cselect_b32 s23, s25, s24
	s_delay_alu instid0(SALU_CYCLE_1) | instskip(NEXT) | instid1(SALU_CYCLE_1)
	s_xor_b32 s23, s23, s5
	s_sub_i32 s5, s23, s5
	s_delay_alu instid0(SALU_CYCLE_1) | instskip(SKIP_2) | instid1(SALU_CYCLE_1)
	s_mul_i32 s23, s5, s6
	s_mul_i32 s25, s5, s7
	s_sub_i32 s23, s4, s23
	s_mul_i32 s24, s23, s8
	s_delay_alu instid0(SALU_CYCLE_1) | instskip(NEXT) | instid1(SALU_CYCLE_1)
	s_add_i32 s41, s24, s25
	s_cmp_eq_u32 s41, -1
	s_cbranch_scc1 .LBB118_13
; %bb.10:
	s_mul_hi_i32 s25, s41, s34
	s_mul_i32 s24, s41, s34
	s_mov_b32 s27, s31
	s_lshl_b64 s[24:25], s[24:25], 1
	s_delay_alu instid0(SALU_CYCLE_1) | instskip(SKIP_1) | instid1(SALU_CYCLE_1)
	s_add_u32 s24, s16, s24
	s_addc_u32 s25, s17, s25
	s_and_b32 s25, s25, 0xffff
	s_clause 0x1
	buffer_load_b128 v[4:7], v17, s[24:27], 0 offen
	buffer_load_b128 v[12:15], v17, s[24:27], 16 offen
	s_waitcnt vmcnt(1)
	v_cvt_f32_f16_e32 v0, v4
	v_lshrrev_b32_e32 v1, 16, v4
	v_cvt_f32_f16_e32 v2, v5
	v_lshrrev_b32_e32 v3, 16, v5
	;; [unrolled: 2-line block ×4, first 2 shown]
	s_waitcnt vmcnt(0)
	v_cvt_f32_f16_e32 v8, v12
	v_lshrrev_b32_e32 v9, 16, v12
	v_cvt_f32_f16_e32 v10, v13
	v_lshrrev_b32_e32 v11, 16, v13
	;; [unrolled: 2-line block ×4, first 2 shown]
	v_cvt_f32_f16_e32 v1, v1
	v_cvt_f32_f16_e32 v3, v3
	;; [unrolled: 1-line block ×8, first 2 shown]
	s_branch .LBB118_14
.LBB118_11:
                                        ; implicit-def: $sgpr4
	s_branch .LBB118_2
.LBB118_12:
                                        ; implicit-def: $vgpr0_vgpr1_vgpr2_vgpr3_vgpr4_vgpr5_vgpr6_vgpr7_vgpr8_vgpr9_vgpr10_vgpr11_vgpr12_vgpr13_vgpr14_vgpr15
	s_cmp_eq_u32 s11, 1
	s_mov_b32 s5, 1
	s_cbranch_scc0 .LBB118_21
	s_branch .LBB118_35
.LBB118_13:
                                        ; implicit-def: $vgpr0_vgpr1_vgpr2_vgpr3_vgpr4_vgpr5_vgpr6_vgpr7_vgpr8_vgpr9_vgpr10_vgpr11_vgpr12_vgpr13_vgpr14_vgpr15
.LBB118_14:
	s_mul_i32 s24, s2, s3
	s_delay_alu instid0(SALU_CYCLE_1) | instskip(NEXT) | instid1(SALU_CYCLE_1)
	s_ashr_i32 s25, s24, 31
	s_lshl_b64 s[24:25], s[24:25], 2
	s_delay_alu instid0(SALU_CYCLE_1) | instskip(SKIP_1) | instid1(SALU_CYCLE_1)
	s_add_u32 s28, s18, s24
	s_addc_u32 s2, s19, s25
	s_and_b32 s29, s2, 0xffff
	s_clause 0x3
	buffer_load_b128 v[23:26], v18, s[28:31], 0 offen
	buffer_load_b128 v[27:30], v18, s[28:31], 16 offen
	buffer_load_b128 v[39:42], v18, s[28:31], 32 offen
	buffer_load_b128 v[43:46], v18, s[28:31], 48 offen
	s_waitcnt vmcnt(3)
	v_dual_mul_f32 v37, v0, v23 :: v_dual_mul_f32 v38, v1, v24
	v_dual_mul_f32 v31, v2, v25 :: v_dual_mul_f32 v32, v3, v26
	s_waitcnt vmcnt(2)
	v_dual_mul_f32 v33, v4, v27 :: v_dual_mul_f32 v34, v5, v28
	s_delay_alu instid0(VALU_DEP_3) | instskip(SKIP_3) | instid1(VALU_DEP_3)
	v_max3_f32 v23, |v37|, 0x2edbe6ff, |v38|
	v_dual_mul_f32 v35, v6, v29 :: v_dual_mul_f32 v36, v7, v30
	s_waitcnt vmcnt(1)
	v_dual_mul_f32 v28, v8, v39 :: v_dual_mul_f32 v29, v9, v40
	v_max3_f32 v23, v23, |v31|, |v32|
	s_waitcnt vmcnt(0)
	v_mul_f32_e32 v26, v12, v43
	v_dual_mul_f32 v30, v13, v44 :: v_dual_mul_f32 v27, v15, v46
	v_mul_f32_e32 v24, v11, v42
	v_max3_f32 v23, v23, |v33|, |v34|
	s_delay_alu instid0(VALU_DEP_1) | instskip(SKIP_1) | instid1(VALU_DEP_2)
	v_max3_f32 v25, v23, |v35|, |v36|
	v_mul_f32_e32 v23, v10, v41
	v_max3_f32 v25, v25, |v28|, |v29|
	s_delay_alu instid0(VALU_DEP_1) | instskip(SKIP_1) | instid1(VALU_DEP_2)
	v_max3_f32 v39, v25, |v23|, |v24|
	v_mul_f32_e32 v25, v14, v45
	v_max3_f32 v39, v39, |v26|, |v30|
	s_delay_alu instid0(VALU_DEP_1) | instskip(NEXT) | instid1(VALU_DEP_1)
	v_max3_f32 v39, v39, |v25|, |v27|
	v_mov_b32_dpp v40, v39 quad_perm:[1,0,3,2] row_mask:0xf bank_mask:0xf
	s_delay_alu instid0(VALU_DEP_1) | instskip(NEXT) | instid1(VALU_DEP_1)
	v_cmp_gt_f32_e64 s2, v39, v40
	v_cndmask_b32_e64 v39, v40, v39, s2
	s_delay_alu instid0(VALU_DEP_1) | instskip(NEXT) | instid1(VALU_DEP_1)
	v_mov_b32_dpp v40, v39 quad_perm:[2,3,0,1] row_mask:0xf bank_mask:0xf
	v_cmp_gt_f32_e64 s2, v39, v40
	s_delay_alu instid0(VALU_DEP_1) | instskip(NEXT) | instid1(VALU_DEP_1)
	v_cndmask_b32_e64 v39, v40, v39, s2
	v_mov_b32_dpp v40, v39 row_xmask:7 row_mask:0xf bank_mask:0xf
	s_delay_alu instid0(VALU_DEP_1) | instskip(NEXT) | instid1(VALU_DEP_1)
	v_cmp_gt_f32_e64 s2, v39, v40
	v_cndmask_b32_e64 v39, v40, v39, s2
	s_delay_alu instid0(VALU_DEP_1) | instskip(NEXT) | instid1(VALU_DEP_1)
	v_mov_b32_dpp v40, v39 row_xmask:15 row_mask:0xf bank_mask:0xf
	v_cmp_gt_f32_e64 s2, v39, v40
	s_and_saveexec_b32 s24, vcc_lo
	s_cbranch_execz .LBB118_16
; %bb.15:
	s_delay_alu instid0(VALU_DEP_1)
	v_cndmask_b32_e64 v39, v40, v39, s2
	s_mov_b32 s2, 0x76543210
	s_delay_alu instid0(VALU_DEP_1) | instid1(SALU_CYCLE_1)
	v_permlanex16_b32 v40, v39, s2, 0xfedcba98 op_sel:[1,1]
	s_delay_alu instid0(VALU_DEP_1) | instskip(NEXT) | instid1(VALU_DEP_1)
	v_cmp_gt_f32_e64 s2, v39, v40
	v_cndmask_b32_e64 v39, v40, v39, s2
	ds_store_b32 v19, v39
.LBB118_16:
	s_or_b32 exec_lo, exec_lo, s24
	s_waitcnt lgkmcnt(0)
	s_barrier
	buffer_gl0_inv
	ds_load_b32 v39, v20
	s_mul_i32 s5, s5, s9
	s_waitcnt lgkmcnt(0)
	v_mov_b32_dpp v40, v39 quad_perm:[1,0,3,2] row_mask:0xf bank_mask:0xf
	s_delay_alu instid0(VALU_DEP_1) | instskip(NEXT) | instid1(VALU_DEP_1)
	v_cmp_gt_f32_e64 s2, v39, v40
	v_cndmask_b32_e64 v39, v40, v39, s2
	s_delay_alu instid0(VALU_DEP_1) | instskip(NEXT) | instid1(VALU_DEP_1)
	v_mov_b32_dpp v40, v39 quad_perm:[2,3,0,1] row_mask:0xf bank_mask:0xf
	v_cmp_gt_f32_e64 s2, v39, v40
	s_delay_alu instid0(VALU_DEP_1) | instskip(NEXT) | instid1(VALU_DEP_1)
	v_cndmask_b32_e64 v39, v40, v39, s2
	v_mov_b32_dpp v40, v39 row_xmask:7 row_mask:0xf bank_mask:0xf
	s_delay_alu instid0(VALU_DEP_1) | instskip(NEXT) | instid1(VALU_DEP_1)
	v_cmp_gt_f32_e64 s2, v39, v40
	v_cndmask_b32_e64 v39, v40, v39, s2
	s_mul_i32 s2, s23, s10
	s_delay_alu instid0(SALU_CYCLE_1) | instskip(NEXT) | instid1(VALU_DEP_1)
	s_add_i32 s24, s2, s5
	v_mul_f32_e32 v39, 0x3c010204, v39
	s_and_saveexec_b32 s2, s0
	s_cbranch_execz .LBB118_18
; %bb.17:
	s_ashr_i32 s25, s24, 31
	v_mov_b32_e32 v40, 0
	s_lshl_b64 s[28:29], s[24:25], 2
	s_delay_alu instid0(SALU_CYCLE_1)
	s_add_u32 s28, s14, s28
	s_addc_u32 s29, s15, s29
	global_store_b32 v40, v39, s[28:29]
.LBB118_18:
	s_or_b32 exec_lo, exec_lo, s2
	s_and_saveexec_b32 s2, s1
	s_cbranch_execz .LBB118_20
; %bb.19:
	v_rcp_f32_e32 v39, v39
	s_mul_i32 s5, s24, s34
	s_mul_hi_i32 s23, s24, s34
	s_add_u32 s36, s12, s5
	s_addc_u32 s5, s13, s23
	s_mov_b32 s39, -1
	s_and_b32 s37, s5, 0xffff
	s_waitcnt_depctr 0xfff
	v_mul_f32_e32 v30, v30, v39
	v_mul_f32_e32 v26, v26, v39
	;; [unrolled: 1-line block ×5, first 2 shown]
	v_cvt_i32_f32_e32 v30, v30
	v_cvt_i32_f32_e32 v26, v26
	v_mul_f32_e32 v37, v37, v39
	v_mul_f32_e32 v25, v25, v39
	v_cvt_i32_f32_e32 v28, v28
	v_lshlrev_b16 v30, 8, v30
	v_and_b32_e32 v26, 0xff, v26
	v_cvt_i32_f32_e32 v27, v27
	v_cvt_i32_f32_e32 v25, v25
	v_cvt_i32_f32_e32 v29, v29
	v_mul_f32_e32 v38, v38, v39
	v_or_b32_e32 v26, v26, v30
	v_mul_f32_e32 v33, v33, v39
	v_dual_mul_f32 v31, v31, v39 :: v_dual_and_b32 v28, 0xff, v28
	v_lshlrev_b16 v27, 8, v27
	v_and_b32_e32 v25, 0xff, v25
	v_lshlrev_b16 v29, 8, v29
	v_mul_f32_e32 v24, v24, v39
	v_dual_mul_f32 v23, v23, v39 :: v_dual_and_b32 v26, 0xffff, v26
	v_cvt_i32_f32_e32 v33, v33
	v_mul_f32_e32 v34, v34, v39
	v_or_b32_e32 v25, v25, v27
	v_or_b32_e32 v27, v28, v29
	v_cvt_i32_f32_e32 v24, v24
	v_and_b32_e32 v29, 0xff, v33
	v_cvt_i32_f32_e32 v34, v34
	v_cvt_i32_f32_e32 v23, v23
	v_dual_mul_f32 v32, v32, v39 :: v_dual_lshlrev_b32 v25, 16, v25
	v_lshlrev_b16 v24, 8, v24
	s_delay_alu instid0(VALU_DEP_4) | instskip(NEXT) | instid1(VALU_DEP_4)
	v_lshlrev_b16 v28, 8, v34
	v_and_b32_e32 v23, 0xff, v23
	v_cvt_i32_f32_e32 v37, v37
	v_mul_f32_e32 v36, v36, v39
	v_cvt_i32_f32_e32 v38, v38
	v_cvt_i32_f32_e32 v31, v31
	v_or_b32_e32 v23, v23, v24
	v_or_b32_e32 v24, v29, v28
	v_mul_f32_e32 v35, v35, v39
	v_cvt_i32_f32_e32 v32, v32
	v_lshlrev_b16 v34, 8, v38
	v_and_b32_e32 v31, 0xff, v31
	v_and_b32_e32 v24, 0xffff, v24
	v_cvt_i32_f32_e32 v35, v35
	v_lshlrev_b16 v32, 8, v32
	v_and_b32_e32 v27, 0xffff, v27
	v_lshlrev_b32_e32 v23, 16, v23
	v_or_b32_e32 v26, v26, v25
	v_and_b32_e32 v33, 0xff, v35
	v_and_b32_e32 v35, 0xff, v37
	v_cvt_i32_f32_e32 v36, v36
	v_or_b32_e32 v25, v27, v23
	s_delay_alu instid0(VALU_DEP_3) | instskip(NEXT) | instid1(VALU_DEP_3)
	v_or_b32_e32 v29, v35, v34
	v_lshlrev_b16 v30, 8, v36
	s_delay_alu instid0(VALU_DEP_2) | instskip(NEXT) | instid1(VALU_DEP_2)
	v_and_b32_e32 v29, 0xffff, v29
	v_or_b32_e32 v28, v33, v30
	v_or_b32_e32 v30, v31, v32
	s_delay_alu instid0(VALU_DEP_2) | instskip(NEXT) | instid1(VALU_DEP_2)
	v_lshlrev_b32_e32 v28, 16, v28
	v_lshlrev_b32_e32 v30, 16, v30
	s_delay_alu instid0(VALU_DEP_2) | instskip(NEXT) | instid1(VALU_DEP_2)
	v_or_b32_e32 v24, v24, v28
	v_or_b32_e32 v23, v29, v30
	buffer_store_b128 v[23:26], v21, s[36:39], 0 offen
	;;#ASMSTART
	s_nop 0
	;;#ASMEND
.LBB118_20:
	s_or_b32 exec_lo, exec_lo, s2
	s_cmp_eq_u32 s11, 1
	s_mov_b32 s5, 1
	s_cbranch_scc1 .LBB118_35
.LBB118_21:
	v_dual_mov_b32 v23, 0 :: v_dual_add_nc_u32 v22, 4, v22
	s_mov_b32 s31, -1
	s_mov_b32 s42, 0x76543210
	s_branch .LBB118_24
.LBB118_22:                             ;   in Loop: Header=BB118_24 Depth=1
	s_or_b32 exec_lo, exec_lo, s2
.LBB118_23:                             ;   in Loop: Header=BB118_24 Depth=1
	v_add_nc_u32_e32 v22, 4, v22
	s_add_i32 s5, s5, 1
	s_delay_alu instid0(SALU_CYCLE_1)
	s_cmp_eq_u32 s11, s5
	s_cbranch_scc1 .LBB118_35
.LBB118_24:                             ; =>This Inner Loop Header: Depth=1
	s_and_b32 s2, s5, 31
	s_delay_alu instid0(SALU_CYCLE_1)
	s_cmp_lg_u32 s2, 0
	s_cbranch_scc1 .LBB118_26
; %bb.25:                               ;   in Loop: Header=BB118_24 Depth=1
	s_mov_b32 s23, s31
	buffer_load_b32 v16, v22, s[20:23], 0 offen
	s_waitcnt vmcnt(3) expcnt(0) lgkmcnt(55)
.LBB118_26:                             ;   in Loop: Header=BB118_24 Depth=1
	s_waitcnt vmcnt(0)
	v_readlane_b32 s2, v16, s2
	s_delay_alu instid0(VALU_DEP_1)
	s_cmp_lt_i32 s2, 0
	s_cbranch_scc1 .LBB118_23
; %bb.27:                               ;   in Loop: Header=BB118_24 Depth=1
	s_add_i32 s24, s4, s5
	s_delay_alu instid0(SALU_CYCLE_1) | instskip(SKIP_4) | instid1(SALU_CYCLE_1)
	s_abs_i32 s23, s24
	s_ashr_i32 s27, s24, 31
	s_mul_hi_u32 s25, s23, s40
	s_xor_b32 s27, s27, s35
	s_mul_i32 s28, s25, s33
	s_sub_i32 s23, s23, s28
	s_add_i32 s28, s25, 1
	s_sub_i32 s29, s23, s33
	s_cmp_ge_u32 s23, s33
	s_cselect_b32 s25, s28, s25
	s_cselect_b32 s23, s29, s23
	s_add_i32 s28, s25, 1
	s_cmp_ge_u32 s23, s33
	s_cselect_b32 s23, s28, s25
	s_delay_alu instid0(SALU_CYCLE_1) | instskip(NEXT) | instid1(SALU_CYCLE_1)
	s_xor_b32 s23, s23, s27
	s_sub_i32 s23, s23, s27
	s_delay_alu instid0(SALU_CYCLE_1) | instskip(NEXT) | instid1(SALU_CYCLE_1)
	s_mul_i32 s25, s23, s6
	s_sub_i32 s36, s24, s25
	s_mul_i32 s24, s23, s7
	s_mul_i32 s28, s36, s8
	s_delay_alu instid0(SALU_CYCLE_1) | instskip(NEXT) | instid1(SALU_CYCLE_1)
	s_add_i32 s28, s28, s24
	s_cmp_eq_u32 s28, s41
	s_cbranch_scc1 .LBB118_29
; %bb.28:                               ;   in Loop: Header=BB118_24 Depth=1
	s_mul_hi_i32 s25, s28, s34
	s_mul_i32 s24, s28, s34
	s_mov_b32 s27, s31
	s_lshl_b64 s[24:25], s[24:25], 1
	s_mov_b32 s41, s28
	s_add_u32 s24, s16, s24
	s_addc_u32 s25, s17, s25
	s_delay_alu instid0(SALU_CYCLE_1)
	s_and_b32 s25, s25, 0xffff
	s_clause 0x1
	buffer_load_b128 v[4:7], v17, s[24:27], 0 offen
	buffer_load_b128 v[12:15], v17, s[24:27], 16 offen
	s_waitcnt vmcnt(1)
	v_cvt_f32_f16_e32 v0, v4
	v_lshrrev_b32_e32 v1, 16, v4
	v_cvt_f32_f16_e32 v2, v5
	v_lshrrev_b32_e32 v3, 16, v5
	;; [unrolled: 2-line block ×4, first 2 shown]
	s_waitcnt vmcnt(0)
	v_cvt_f32_f16_e32 v8, v12
	v_lshrrev_b32_e32 v9, 16, v12
	v_cvt_f32_f16_e32 v10, v13
	v_lshrrev_b32_e32 v11, 16, v13
	;; [unrolled: 2-line block ×4, first 2 shown]
	v_cvt_f32_f16_e32 v1, v1
	v_cvt_f32_f16_e32 v3, v3
	;; [unrolled: 1-line block ×8, first 2 shown]
.LBB118_29:                             ;   in Loop: Header=BB118_24 Depth=1
	s_mul_i32 s24, s2, s3
	s_delay_alu instid0(SALU_CYCLE_1) | instskip(NEXT) | instid1(SALU_CYCLE_1)
	s_ashr_i32 s25, s24, 31
	s_lshl_b64 s[24:25], s[24:25], 2
	s_delay_alu instid0(SALU_CYCLE_1) | instskip(SKIP_1) | instid1(SALU_CYCLE_1)
	s_add_u32 s28, s18, s24
	s_addc_u32 s2, s19, s25
	s_and_b32 s29, s2, 0xffff
	s_clause 0x3
	buffer_load_b128 v[24:27], v18, s[28:31], 0 offen
	buffer_load_b128 v[28:31], v18, s[28:31], 16 offen
	;; [unrolled: 1-line block ×4, first 2 shown]
	s_waitcnt vmcnt(3)
	v_dual_mul_f32 v38, v0, v24 :: v_dual_mul_f32 v39, v1, v25
	v_dual_mul_f32 v32, v2, v26 :: v_dual_mul_f32 v33, v3, v27
	s_waitcnt vmcnt(2)
	v_dual_mul_f32 v34, v4, v28 :: v_dual_mul_f32 v35, v5, v29
	s_delay_alu instid0(VALU_DEP_3) | instskip(SKIP_3) | instid1(VALU_DEP_3)
	v_max3_f32 v24, |v38|, 0x2edbe6ff, |v39|
	v_dual_mul_f32 v36, v6, v30 :: v_dual_mul_f32 v37, v7, v31
	s_waitcnt vmcnt(1)
	v_dual_mul_f32 v29, v8, v40 :: v_dual_mul_f32 v30, v9, v41
	v_max3_f32 v24, v24, |v32|, |v33|
	s_waitcnt vmcnt(0)
	v_mul_f32_e32 v27, v12, v44
	v_dual_mul_f32 v31, v13, v45 :: v_dual_mul_f32 v28, v15, v47
	v_mul_f32_e32 v25, v11, v43
	v_max3_f32 v24, v24, |v34|, |v35|
	s_delay_alu instid0(VALU_DEP_1) | instskip(SKIP_1) | instid1(VALU_DEP_2)
	v_max3_f32 v26, v24, |v36|, |v37|
	v_mul_f32_e32 v24, v10, v42
	v_max3_f32 v26, v26, |v29|, |v30|
	s_delay_alu instid0(VALU_DEP_1) | instskip(SKIP_1) | instid1(VALU_DEP_2)
	v_max3_f32 v40, v26, |v24|, |v25|
	v_mul_f32_e32 v26, v14, v46
	v_max3_f32 v40, v40, |v27|, |v31|
	s_delay_alu instid0(VALU_DEP_1) | instskip(NEXT) | instid1(VALU_DEP_1)
	v_max3_f32 v40, v40, |v26|, |v28|
	v_mov_b32_dpp v41, v40 quad_perm:[1,0,3,2] row_mask:0xf bank_mask:0xf
	s_delay_alu instid0(VALU_DEP_1) | instskip(NEXT) | instid1(VALU_DEP_1)
	v_cmp_gt_f32_e64 s2, v40, v41
	v_cndmask_b32_e64 v40, v41, v40, s2
	s_delay_alu instid0(VALU_DEP_1) | instskip(NEXT) | instid1(VALU_DEP_1)
	v_mov_b32_dpp v41, v40 quad_perm:[2,3,0,1] row_mask:0xf bank_mask:0xf
	v_cmp_gt_f32_e64 s2, v40, v41
	s_delay_alu instid0(VALU_DEP_1) | instskip(NEXT) | instid1(VALU_DEP_1)
	v_cndmask_b32_e64 v40, v41, v40, s2
	v_mov_b32_dpp v41, v40 row_xmask:7 row_mask:0xf bank_mask:0xf
	s_delay_alu instid0(VALU_DEP_1) | instskip(NEXT) | instid1(VALU_DEP_1)
	v_cmp_gt_f32_e64 s2, v40, v41
	v_cndmask_b32_e64 v40, v41, v40, s2
	s_delay_alu instid0(VALU_DEP_1) | instskip(NEXT) | instid1(VALU_DEP_1)
	v_mov_b32_dpp v41, v40 row_xmask:15 row_mask:0xf bank_mask:0xf
	v_cmp_gt_f32_e64 s2, v40, v41
	s_and_saveexec_b32 s24, vcc_lo
	s_cbranch_execz .LBB118_31
; %bb.30:                               ;   in Loop: Header=BB118_24 Depth=1
	s_delay_alu instid0(VALU_DEP_1) | instskip(NEXT) | instid1(VALU_DEP_1)
	v_cndmask_b32_e64 v40, v41, v40, s2
	v_permlanex16_b32 v41, v40, s42, 0xfedcba98 op_sel:[1,1]
	s_delay_alu instid0(VALU_DEP_1) | instskip(NEXT) | instid1(VALU_DEP_1)
	v_cmp_gt_f32_e64 s2, v40, v41
	v_cndmask_b32_e64 v40, v41, v40, s2
	ds_store_b32 v19, v40
.LBB118_31:                             ;   in Loop: Header=BB118_24 Depth=1
	s_or_b32 exec_lo, exec_lo, s24
	s_waitcnt lgkmcnt(0)
	s_waitcnt_vscnt null, 0x0
	s_barrier
	buffer_gl0_inv
	ds_load_b32 v40, v20
	s_mul_i32 s23, s23, s9
	s_waitcnt lgkmcnt(0)
	v_mov_b32_dpp v41, v40 quad_perm:[1,0,3,2] row_mask:0xf bank_mask:0xf
	s_delay_alu instid0(VALU_DEP_1) | instskip(NEXT) | instid1(VALU_DEP_1)
	v_cmp_gt_f32_e64 s2, v40, v41
	v_cndmask_b32_e64 v40, v41, v40, s2
	s_delay_alu instid0(VALU_DEP_1) | instskip(NEXT) | instid1(VALU_DEP_1)
	v_mov_b32_dpp v41, v40 quad_perm:[2,3,0,1] row_mask:0xf bank_mask:0xf
	v_cmp_gt_f32_e64 s2, v40, v41
	s_delay_alu instid0(VALU_DEP_1) | instskip(NEXT) | instid1(VALU_DEP_1)
	v_cndmask_b32_e64 v40, v41, v40, s2
	v_mov_b32_dpp v41, v40 row_xmask:7 row_mask:0xf bank_mask:0xf
	s_delay_alu instid0(VALU_DEP_1) | instskip(NEXT) | instid1(VALU_DEP_1)
	v_cmp_gt_f32_e64 s2, v40, v41
	v_cndmask_b32_e64 v40, v41, v40, s2
	s_mul_i32 s2, s36, s10
	s_delay_alu instid0(SALU_CYCLE_1) | instskip(NEXT) | instid1(VALU_DEP_1)
	s_add_i32 s24, s2, s23
	v_mul_f32_e32 v40, 0x3c010204, v40
	s_and_saveexec_b32 s2, s0
	s_cbranch_execz .LBB118_33
; %bb.32:                               ;   in Loop: Header=BB118_24 Depth=1
	s_ashr_i32 s25, s24, 31
	s_delay_alu instid0(SALU_CYCLE_1) | instskip(NEXT) | instid1(SALU_CYCLE_1)
	s_lshl_b64 s[28:29], s[24:25], 2
	s_add_u32 s28, s14, s28
	s_addc_u32 s29, s15, s29
	global_store_b32 v23, v40, s[28:29]
.LBB118_33:                             ;   in Loop: Header=BB118_24 Depth=1
	s_or_b32 exec_lo, exec_lo, s2
	s_and_saveexec_b32 s2, s1
	s_cbranch_execz .LBB118_22
; %bb.34:                               ;   in Loop: Header=BB118_24 Depth=1
	v_rcp_f32_e32 v40, v40
	s_mul_i32 s23, s24, s34
	s_mul_hi_i32 s24, s24, s34
	s_add_u32 s36, s12, s23
	s_addc_u32 s23, s13, s24
	s_mov_b32 s39, s31
	s_and_b32 s37, s23, 0xffff
	s_waitcnt_depctr 0xfff
	v_mul_f32_e32 v31, v31, v40
	v_mul_f32_e32 v27, v27, v40
	;; [unrolled: 1-line block ×5, first 2 shown]
	v_cvt_i32_f32_e32 v31, v31
	v_cvt_i32_f32_e32 v27, v27
	v_mul_f32_e32 v38, v38, v40
	v_mul_f32_e32 v26, v26, v40
	v_cvt_i32_f32_e32 v29, v29
	v_lshlrev_b16 v31, 8, v31
	v_and_b32_e32 v27, 0xff, v27
	v_cvt_i32_f32_e32 v28, v28
	v_cvt_i32_f32_e32 v26, v26
	;; [unrolled: 1-line block ×3, first 2 shown]
	v_mul_f32_e32 v39, v39, v40
	v_or_b32_e32 v27, v27, v31
	v_mul_f32_e32 v34, v34, v40
	v_dual_mul_f32 v32, v32, v40 :: v_dual_and_b32 v29, 0xff, v29
	v_lshlrev_b16 v28, 8, v28
	v_and_b32_e32 v26, 0xff, v26
	v_lshlrev_b16 v30, 8, v30
	v_mul_f32_e32 v25, v25, v40
	v_dual_mul_f32 v24, v24, v40 :: v_dual_and_b32 v27, 0xffff, v27
	v_cvt_i32_f32_e32 v34, v34
	v_mul_f32_e32 v35, v35, v40
	v_or_b32_e32 v26, v26, v28
	v_or_b32_e32 v28, v29, v30
	v_cvt_i32_f32_e32 v25, v25
	v_and_b32_e32 v30, 0xff, v34
	v_cvt_i32_f32_e32 v35, v35
	v_cvt_i32_f32_e32 v24, v24
	v_dual_mul_f32 v33, v33, v40 :: v_dual_lshlrev_b32 v26, 16, v26
	v_lshlrev_b16 v25, 8, v25
	s_delay_alu instid0(VALU_DEP_4) | instskip(NEXT) | instid1(VALU_DEP_4)
	v_lshlrev_b16 v29, 8, v35
	v_and_b32_e32 v24, 0xff, v24
	v_cvt_i32_f32_e32 v38, v38
	v_mul_f32_e32 v37, v37, v40
	v_cvt_i32_f32_e32 v39, v39
	v_cvt_i32_f32_e32 v32, v32
	v_or_b32_e32 v24, v24, v25
	v_or_b32_e32 v25, v30, v29
	v_mul_f32_e32 v36, v36, v40
	v_cvt_i32_f32_e32 v33, v33
	v_lshlrev_b16 v35, 8, v39
	v_and_b32_e32 v32, 0xff, v32
	v_and_b32_e32 v25, 0xffff, v25
	v_cvt_i32_f32_e32 v36, v36
	v_lshlrev_b16 v33, 8, v33
	v_and_b32_e32 v28, 0xffff, v28
	v_lshlrev_b32_e32 v24, 16, v24
	v_or_b32_e32 v27, v27, v26
	v_and_b32_e32 v34, 0xff, v36
	v_and_b32_e32 v36, 0xff, v38
	v_cvt_i32_f32_e32 v37, v37
	v_or_b32_e32 v26, v28, v24
	s_delay_alu instid0(VALU_DEP_3) | instskip(NEXT) | instid1(VALU_DEP_3)
	v_or_b32_e32 v30, v36, v35
	v_lshlrev_b16 v31, 8, v37
	s_delay_alu instid0(VALU_DEP_2) | instskip(NEXT) | instid1(VALU_DEP_2)
	v_and_b32_e32 v30, 0xffff, v30
	v_or_b32_e32 v29, v34, v31
	v_or_b32_e32 v31, v32, v33
	s_delay_alu instid0(VALU_DEP_2) | instskip(NEXT) | instid1(VALU_DEP_2)
	v_lshlrev_b32_e32 v29, 16, v29
	v_lshlrev_b32_e32 v31, 16, v31
	s_delay_alu instid0(VALU_DEP_2) | instskip(NEXT) | instid1(VALU_DEP_2)
	v_or_b32_e32 v25, v25, v29
	v_or_b32_e32 v24, v30, v31
	buffer_store_b128 v[24:27], v21, s[36:39], 0 offen
	;;#ASMSTART
	s_nop 0
	;;#ASMEND
	s_branch .LBB118_22
.LBB118_35:
	s_nop 0
	s_sendmsg sendmsg(MSG_DEALLOC_VGPRS)
	s_endpgm
	.section	.rodata,"a",@progbits
	.p2align	6, 0x0
	.amdhsa_kernel _ZN5aiter36smooth_per_token_scaled_quant_kernelIDF16_aLi256ELi16ELb0ELb1ELb0ELi1024EEEvPT0_PfPT_S3_PiS6_iiPKiiiiiiiii
		.amdhsa_group_segment_fixed_size 32
		.amdhsa_private_segment_fixed_size 0
		.amdhsa_kernarg_size 96
		.amdhsa_user_sgpr_count 15
		.amdhsa_user_sgpr_dispatch_ptr 0
		.amdhsa_user_sgpr_queue_ptr 0
		.amdhsa_user_sgpr_kernarg_segment_ptr 1
		.amdhsa_user_sgpr_dispatch_id 0
		.amdhsa_user_sgpr_private_segment_size 0
		.amdhsa_wavefront_size32 1
		.amdhsa_uses_dynamic_stack 0
		.amdhsa_enable_private_segment 0
		.amdhsa_system_sgpr_workgroup_id_x 1
		.amdhsa_system_sgpr_workgroup_id_y 0
		.amdhsa_system_sgpr_workgroup_id_z 0
		.amdhsa_system_sgpr_workgroup_info 0
		.amdhsa_system_vgpr_workitem_id 0
		.amdhsa_next_free_vgpr 48
		.amdhsa_next_free_sgpr 43
		.amdhsa_reserve_vcc 1
		.amdhsa_float_round_mode_32 0
		.amdhsa_float_round_mode_16_64 0
		.amdhsa_float_denorm_mode_32 3
		.amdhsa_float_denorm_mode_16_64 3
		.amdhsa_dx10_clamp 1
		.amdhsa_ieee_mode 1
		.amdhsa_fp16_overflow 0
		.amdhsa_workgroup_processor_mode 1
		.amdhsa_memory_ordered 1
		.amdhsa_forward_progress 0
		.amdhsa_shared_vgpr_count 0
		.amdhsa_exception_fp_ieee_invalid_op 0
		.amdhsa_exception_fp_denorm_src 0
		.amdhsa_exception_fp_ieee_div_zero 0
		.amdhsa_exception_fp_ieee_overflow 0
		.amdhsa_exception_fp_ieee_underflow 0
		.amdhsa_exception_fp_ieee_inexact 0
		.amdhsa_exception_int_div_zero 0
	.end_amdhsa_kernel
	.section	.text._ZN5aiter36smooth_per_token_scaled_quant_kernelIDF16_aLi256ELi16ELb0ELb1ELb0ELi1024EEEvPT0_PfPT_S3_PiS6_iiPKiiiiiiiii,"axG",@progbits,_ZN5aiter36smooth_per_token_scaled_quant_kernelIDF16_aLi256ELi16ELb0ELb1ELb0ELi1024EEEvPT0_PfPT_S3_PiS6_iiPKiiiiiiiii,comdat
.Lfunc_end118:
	.size	_ZN5aiter36smooth_per_token_scaled_quant_kernelIDF16_aLi256ELi16ELb0ELb1ELb0ELi1024EEEvPT0_PfPT_S3_PiS6_iiPKiiiiiiiii, .Lfunc_end118-_ZN5aiter36smooth_per_token_scaled_quant_kernelIDF16_aLi256ELi16ELb0ELb1ELb0ELi1024EEEvPT0_PfPT_S3_PiS6_iiPKiiiiiiiii
                                        ; -- End function
	.section	.AMDGPU.csdata,"",@progbits
; Kernel info:
; codeLenInByte = 3364
; NumSgprs: 45
; NumVgprs: 48
; ScratchSize: 0
; MemoryBound: 0
; FloatMode: 240
; IeeeMode: 1
; LDSByteSize: 32 bytes/workgroup (compile time only)
; SGPRBlocks: 5
; VGPRBlocks: 5
; NumSGPRsForWavesPerEU: 45
; NumVGPRsForWavesPerEU: 48
; Occupancy: 16
; WaveLimiterHint : 0
; COMPUTE_PGM_RSRC2:SCRATCH_EN: 0
; COMPUTE_PGM_RSRC2:USER_SGPR: 15
; COMPUTE_PGM_RSRC2:TRAP_HANDLER: 0
; COMPUTE_PGM_RSRC2:TGID_X_EN: 1
; COMPUTE_PGM_RSRC2:TGID_Y_EN: 0
; COMPUTE_PGM_RSRC2:TGID_Z_EN: 0
; COMPUTE_PGM_RSRC2:TIDIG_COMP_CNT: 0
	.section	.text._ZN5aiter36smooth_per_token_scaled_quant_kernelItaLi256ELi16ELb0ELb1ELb0ELi1024EEEvPT0_PfPT_S3_PiS6_iiPKiiiiiiiii,"axG",@progbits,_ZN5aiter36smooth_per_token_scaled_quant_kernelItaLi256ELi16ELb0ELb1ELb0ELi1024EEEvPT0_PfPT_S3_PiS6_iiPKiiiiiiiii,comdat
	.protected	_ZN5aiter36smooth_per_token_scaled_quant_kernelItaLi256ELi16ELb0ELb1ELb0ELi1024EEEvPT0_PfPT_S3_PiS6_iiPKiiiiiiiii ; -- Begin function _ZN5aiter36smooth_per_token_scaled_quant_kernelItaLi256ELi16ELb0ELb1ELb0ELi1024EEEvPT0_PfPT_S3_PiS6_iiPKiiiiiiiii
	.globl	_ZN5aiter36smooth_per_token_scaled_quant_kernelItaLi256ELi16ELb0ELb1ELb0ELi1024EEEvPT0_PfPT_S3_PiS6_iiPKiiiiiiiii
	.p2align	8
	.type	_ZN5aiter36smooth_per_token_scaled_quant_kernelItaLi256ELi16ELb0ELb1ELb0ELi1024EEEvPT0_PfPT_S3_PiS6_iiPKiiiiiiiii,@function
_ZN5aiter36smooth_per_token_scaled_quant_kernelItaLi256ELi16ELb0ELb1ELb0ELi1024EEEvPT0_PfPT_S3_PiS6_iiPKiiiiiiiii: ; @_ZN5aiter36smooth_per_token_scaled_quant_kernelItaLi256ELi16ELb0ELb1ELb0ELi1024EEEvPT0_PfPT_S3_PiS6_iiPKiiiiiiiii
; %bb.0:
	s_clause 0x1
	s_load_b64 s[2:3], s[0:1], 0x38
	s_load_b256 s[4:11], s[0:1], 0x40
	s_waitcnt lgkmcnt(0)
	s_cmp_lg_u64 s[2:3], 0
	s_cbranch_scc0 .LBB119_11
; %bb.1:
	s_load_b32 s2, s[2:3], 0x0
	s_waitcnt lgkmcnt(0)
	s_mul_i32 s4, s2, s4
	s_cbranch_execnz .LBB119_3
.LBB119_2:
	s_mul_i32 s4, s6, s5
.LBB119_3:
	s_load_b64 s[2:3], s[0:1], 0x30
	s_abs_i32 s13, s4
	s_waitcnt lgkmcnt(0)
	s_abs_i32 s5, s2
	s_delay_alu instid0(SALU_CYCLE_1) | instskip(SKIP_1) | instid1(VALU_DEP_1)
	v_cvt_f32_u32_e32 v1, s5
	s_sub_i32 s12, 0, s5
	v_rcp_iflag_f32_e32 v1, v1
	s_waitcnt_depctr 0xfff
	v_mul_f32_e32 v1, 0x4f7ffffe, v1
	s_delay_alu instid0(VALU_DEP_1) | instskip(NEXT) | instid1(VALU_DEP_1)
	v_cvt_u32_f32_e32 v1, v1
	v_readfirstlane_b32 s11, v1
	s_delay_alu instid0(VALU_DEP_1) | instskip(NEXT) | instid1(SALU_CYCLE_1)
	s_mul_i32 s12, s12, s11
	s_mul_hi_u32 s12, s11, s12
	s_delay_alu instid0(SALU_CYCLE_1) | instskip(SKIP_4) | instid1(SALU_CYCLE_1)
	s_add_i32 s11, s11, s12
	s_xor_b32 s12, s4, s2
	s_mul_hi_u32 s11, s13, s11
	s_ashr_i32 s12, s12, 31
	s_mul_i32 s14, s11, s5
	s_sub_i32 s13, s13, s14
	s_add_i32 s14, s11, 1
	s_sub_i32 s16, s13, s5
	s_cmp_ge_u32 s13, s5
	s_cselect_b32 s11, s14, s11
	s_cselect_b32 s13, s16, s13
	s_add_i32 s14, s11, 1
	s_cmp_ge_u32 s13, s5
	s_cselect_b32 s5, s14, s11
	s_delay_alu instid0(SALU_CYCLE_1) | instskip(NEXT) | instid1(SALU_CYCLE_1)
	s_xor_b32 s5, s5, s12
	s_sub_i32 s11, s5, s12
	s_mov_b32 s12, 0
	s_mul_i32 s2, s11, s2
	s_delay_alu instid0(SALU_CYCLE_1) | instskip(NEXT) | instid1(SALU_CYCLE_1)
	s_sub_i32 s4, s4, s2
	s_cmp_lt_u32 s15, s4
	s_cselect_b32 s2, -1, 0
	s_add_i32 s5, s11, 1
	s_cmp_ge_u32 s15, s4
	s_cbranch_scc0 .LBB119_5
; %bb.4:
	s_sub_i32 s13, s15, s4
	s_mul_i32 s4, s4, s5
	s_mul_i32 s13, s13, s11
	s_delay_alu instid0(SALU_CYCLE_1)
	s_add_i32 s4, s13, s4
	s_and_not1_b32 vcc_lo, exec_lo, s12
	s_cbranch_vccz .LBB119_6
	s_branch .LBB119_7
.LBB119_5:
                                        ; implicit-def: $sgpr4
.LBB119_6:
	s_mul_i32 s4, s5, s15
.LBB119_7:
	v_cndmask_b32_e64 v1, 0, 1, s2
	s_delay_alu instid0(VALU_DEP_1) | instskip(NEXT) | instid1(VALU_DEP_1)
	v_readfirstlane_b32 s2, v1
	s_add_i32 s11, s11, s2
	s_delay_alu instid0(SALU_CYCLE_1)
	s_cmp_lt_i32 s11, 1
	s_cbranch_scc1 .LBB119_35
; %bb.8:
	s_load_b64 s[12:13], s[0:1], 0x20
	s_ashr_i32 s5, s4, 31
	v_and_b32_e32 v1, 31, v0
	s_lshl_b64 s[14:15], s[4:5], 2
	s_mov_b32 s41, -1
	v_lshrrev_b32_e32 v3, 3, v0
	s_mov_b32 s23, s41
	v_cmp_eq_u32_e32 vcc_lo, 31, v1
	v_and_b32_e32 v4, 7, v0
	v_lshlrev_b32_e32 v17, 5, v0
	v_lshlrev_b32_e32 v18, 6, v0
	v_and_b32_e32 v19, 0x7c, v3
	v_lshlrev_b32_e32 v21, 4, v0
	v_lshlrev_b32_e32 v20, 2, v4
	s_mov_b32 s34, s3
	s_waitcnt lgkmcnt(0)
	s_add_u32 s20, s12, s14
	s_addc_u32 s2, s13, s15
	s_abs_i32 s33, s6
	s_lshl_b32 s22, s11, 2
	v_cvt_f32_u32_e32 v2, s33
	s_and_b32 s21, s2, 0xffff
	s_load_b256 s[12:19], s[0:1], 0x0
	s_add_i32 s1, s3, 15
	v_cmp_eq_u32_e64 s0, 0, v0
	v_rcp_iflag_f32_e32 v2, v2
	v_lshlrev_b32_e32 v22, 2, v1
	s_ashr_i32 s2, s1, 31
	s_lshl_b32 s26, s3, 1
	s_lshr_b32 s2, s2, 28
	s_lshl_b32 s30, s3, 2
	s_add_i32 s1, s1, s2
	s_ashr_i32 s35, s6, 31
	s_ashr_i32 s1, s1, 4
	s_waitcnt_depctr 0xfff
	v_mul_f32_e32 v1, 0x4f7ffffe, v2
	buffer_load_b32 v16, v22, s[20:23], 0 offen
	s_add_i32 s23, s3, 3
	v_cmp_gt_u32_e64 s1, s1, v0
	s_ashr_i32 s2, s23, 31
	v_cvt_u32_f32_e32 v1, v1
	s_lshr_b32 s2, s2, 30
	s_waitcnt vmcnt(3) expcnt(0) lgkmcnt(55)
	s_add_i32 s23, s23, s2
	s_sub_i32 s2, 0, s33
	v_readfirstlane_b32 s40, v1
	s_and_b32 s38, s23, -4
	s_waitcnt vmcnt(0) lgkmcnt(0)
	s_barrier
	buffer_gl0_inv
	s_mul_i32 s23, s2, s40
	s_delay_alu instid0(SALU_CYCLE_1) | instskip(NEXT) | instid1(SALU_CYCLE_1)
	s_mul_hi_u32 s23, s40, s23
	s_add_i32 s40, s40, s23
	v_readlane_b32 s2, v16, 0
	s_delay_alu instid0(VALU_DEP_1)
	s_cmp_lt_i32 s2, 0
	s_cbranch_scc1 .LBB119_12
; %bb.9:
	s_abs_i32 s23, s4
	s_xor_b32 s5, s5, s35
	s_mul_hi_u32 s24, s23, s40
	s_mov_b32 s31, -1
	s_mul_i32 s25, s24, s33
	s_delay_alu instid0(SALU_CYCLE_1)
	s_sub_i32 s23, s23, s25
	s_add_i32 s25, s24, 1
	s_sub_i32 s27, s23, s33
	s_cmp_ge_u32 s23, s33
	s_cselect_b32 s24, s25, s24
	s_cselect_b32 s23, s27, s23
	s_add_i32 s25, s24, 1
	s_cmp_ge_u32 s23, s33
	s_cselect_b32 s23, s25, s24
	s_delay_alu instid0(SALU_CYCLE_1) | instskip(NEXT) | instid1(SALU_CYCLE_1)
	s_xor_b32 s23, s23, s5
	s_sub_i32 s5, s23, s5
	s_delay_alu instid0(SALU_CYCLE_1) | instskip(SKIP_2) | instid1(SALU_CYCLE_1)
	s_mul_i32 s23, s5, s6
	s_mul_i32 s25, s5, s7
	s_sub_i32 s23, s4, s23
	s_mul_i32 s24, s23, s8
	s_delay_alu instid0(SALU_CYCLE_1) | instskip(NEXT) | instid1(SALU_CYCLE_1)
	s_add_i32 s41, s24, s25
	s_cmp_eq_u32 s41, -1
	s_cbranch_scc1 .LBB119_13
; %bb.10:
	s_mul_hi_i32 s25, s41, s34
	s_mul_i32 s24, s41, s34
	s_mov_b32 s27, s31
	s_lshl_b64 s[24:25], s[24:25], 1
	s_delay_alu instid0(SALU_CYCLE_1) | instskip(SKIP_1) | instid1(SALU_CYCLE_1)
	s_add_u32 s24, s16, s24
	s_addc_u32 s25, s17, s25
	s_and_b32 s25, s25, 0xffff
	s_clause 0x1
	buffer_load_b128 v[0:3], v17, s[24:27], 0 offen
	buffer_load_b128 v[4:7], v17, s[24:27], 16 offen
	s_waitcnt vmcnt(1)
	v_lshrrev_b32_e32 v8, 16, v0
	v_and_b32_e32 v0, 0xffff, v0
	v_lshrrev_b32_e32 v9, 16, v1
	v_and_b32_e32 v10, 0xffff, v1
	;; [unrolled: 2-line block ×4, first 2 shown]
	s_waitcnt vmcnt(0)
	v_lshrrev_b32_e32 v15, 16, v4
	v_and_b32_e32 v23, 0xffff, v4
	v_lshrrev_b32_e32 v24, 16, v5
	v_and_b32_e32 v25, 0xffff, v5
	;; [unrolled: 2-line block ×4, first 2 shown]
	v_cvt_f32_u32_e32 v1, v8
	v_cvt_f32_u32_e32 v0, v0
	;; [unrolled: 1-line block ×16, first 2 shown]
	s_branch .LBB119_14
.LBB119_11:
                                        ; implicit-def: $sgpr4
	s_branch .LBB119_2
.LBB119_12:
                                        ; implicit-def: $vgpr0_vgpr1_vgpr2_vgpr3_vgpr4_vgpr5_vgpr6_vgpr7_vgpr8_vgpr9_vgpr10_vgpr11_vgpr12_vgpr13_vgpr14_vgpr15
	s_cmp_eq_u32 s11, 1
	s_mov_b32 s5, 1
	s_cbranch_scc0 .LBB119_21
	s_branch .LBB119_35
.LBB119_13:
                                        ; implicit-def: $vgpr0_vgpr1_vgpr2_vgpr3_vgpr4_vgpr5_vgpr6_vgpr7_vgpr8_vgpr9_vgpr10_vgpr11_vgpr12_vgpr13_vgpr14_vgpr15
.LBB119_14:
	s_mul_i32 s24, s2, s3
	s_delay_alu instid0(SALU_CYCLE_1) | instskip(NEXT) | instid1(SALU_CYCLE_1)
	s_ashr_i32 s25, s24, 31
	s_lshl_b64 s[24:25], s[24:25], 2
	s_delay_alu instid0(SALU_CYCLE_1) | instskip(SKIP_1) | instid1(SALU_CYCLE_1)
	s_add_u32 s28, s18, s24
	s_addc_u32 s2, s19, s25
	s_and_b32 s29, s2, 0xffff
	s_clause 0x3
	buffer_load_b128 v[23:26], v18, s[28:31], 0 offen
	buffer_load_b128 v[27:30], v18, s[28:31], 16 offen
	;; [unrolled: 1-line block ×4, first 2 shown]
	s_waitcnt vmcnt(3)
	v_dual_mul_f32 v37, v0, v23 :: v_dual_mul_f32 v38, v1, v24
	v_dual_mul_f32 v31, v2, v25 :: v_dual_mul_f32 v32, v3, v26
	s_waitcnt vmcnt(2)
	v_dual_mul_f32 v33, v4, v27 :: v_dual_mul_f32 v34, v5, v28
	s_delay_alu instid0(VALU_DEP_3) | instskip(SKIP_3) | instid1(VALU_DEP_3)
	v_max3_f32 v23, |v37|, 0x2edbe6ff, |v38|
	v_dual_mul_f32 v35, v6, v29 :: v_dual_mul_f32 v36, v7, v30
	s_waitcnt vmcnt(1)
	v_dual_mul_f32 v28, v8, v39 :: v_dual_mul_f32 v29, v9, v40
	v_max3_f32 v23, v23, |v31|, |v32|
	s_waitcnt vmcnt(0)
	v_mul_f32_e32 v26, v12, v43
	v_dual_mul_f32 v30, v13, v44 :: v_dual_mul_f32 v27, v15, v46
	v_mul_f32_e32 v24, v11, v42
	v_max3_f32 v23, v23, |v33|, |v34|
	s_delay_alu instid0(VALU_DEP_1) | instskip(SKIP_1) | instid1(VALU_DEP_2)
	v_max3_f32 v25, v23, |v35|, |v36|
	v_mul_f32_e32 v23, v10, v41
	v_max3_f32 v25, v25, |v28|, |v29|
	s_delay_alu instid0(VALU_DEP_1) | instskip(SKIP_1) | instid1(VALU_DEP_2)
	v_max3_f32 v39, v25, |v23|, |v24|
	v_mul_f32_e32 v25, v14, v45
	v_max3_f32 v39, v39, |v26|, |v30|
	s_delay_alu instid0(VALU_DEP_1) | instskip(NEXT) | instid1(VALU_DEP_1)
	v_max3_f32 v39, v39, |v25|, |v27|
	v_mov_b32_dpp v40, v39 quad_perm:[1,0,3,2] row_mask:0xf bank_mask:0xf
	s_delay_alu instid0(VALU_DEP_1) | instskip(NEXT) | instid1(VALU_DEP_1)
	v_cmp_gt_f32_e64 s2, v39, v40
	v_cndmask_b32_e64 v39, v40, v39, s2
	s_delay_alu instid0(VALU_DEP_1) | instskip(NEXT) | instid1(VALU_DEP_1)
	v_mov_b32_dpp v40, v39 quad_perm:[2,3,0,1] row_mask:0xf bank_mask:0xf
	v_cmp_gt_f32_e64 s2, v39, v40
	s_delay_alu instid0(VALU_DEP_1) | instskip(NEXT) | instid1(VALU_DEP_1)
	v_cndmask_b32_e64 v39, v40, v39, s2
	v_mov_b32_dpp v40, v39 row_xmask:7 row_mask:0xf bank_mask:0xf
	s_delay_alu instid0(VALU_DEP_1) | instskip(NEXT) | instid1(VALU_DEP_1)
	v_cmp_gt_f32_e64 s2, v39, v40
	v_cndmask_b32_e64 v39, v40, v39, s2
	s_delay_alu instid0(VALU_DEP_1) | instskip(NEXT) | instid1(VALU_DEP_1)
	v_mov_b32_dpp v40, v39 row_xmask:15 row_mask:0xf bank_mask:0xf
	v_cmp_gt_f32_e64 s2, v39, v40
	s_and_saveexec_b32 s24, vcc_lo
	s_cbranch_execz .LBB119_16
; %bb.15:
	s_delay_alu instid0(VALU_DEP_1)
	v_cndmask_b32_e64 v39, v40, v39, s2
	s_mov_b32 s2, 0x76543210
	s_delay_alu instid0(VALU_DEP_1) | instid1(SALU_CYCLE_1)
	v_permlanex16_b32 v40, v39, s2, 0xfedcba98 op_sel:[1,1]
	s_delay_alu instid0(VALU_DEP_1) | instskip(NEXT) | instid1(VALU_DEP_1)
	v_cmp_gt_f32_e64 s2, v39, v40
	v_cndmask_b32_e64 v39, v40, v39, s2
	ds_store_b32 v19, v39
.LBB119_16:
	s_or_b32 exec_lo, exec_lo, s24
	s_waitcnt lgkmcnt(0)
	s_barrier
	buffer_gl0_inv
	ds_load_b32 v39, v20
	s_mul_i32 s5, s5, s9
	s_waitcnt lgkmcnt(0)
	v_mov_b32_dpp v40, v39 quad_perm:[1,0,3,2] row_mask:0xf bank_mask:0xf
	s_delay_alu instid0(VALU_DEP_1) | instskip(NEXT) | instid1(VALU_DEP_1)
	v_cmp_gt_f32_e64 s2, v39, v40
	v_cndmask_b32_e64 v39, v40, v39, s2
	s_delay_alu instid0(VALU_DEP_1) | instskip(NEXT) | instid1(VALU_DEP_1)
	v_mov_b32_dpp v40, v39 quad_perm:[2,3,0,1] row_mask:0xf bank_mask:0xf
	v_cmp_gt_f32_e64 s2, v39, v40
	s_delay_alu instid0(VALU_DEP_1) | instskip(NEXT) | instid1(VALU_DEP_1)
	v_cndmask_b32_e64 v39, v40, v39, s2
	v_mov_b32_dpp v40, v39 row_xmask:7 row_mask:0xf bank_mask:0xf
	s_delay_alu instid0(VALU_DEP_1) | instskip(NEXT) | instid1(VALU_DEP_1)
	v_cmp_gt_f32_e64 s2, v39, v40
	v_cndmask_b32_e64 v39, v40, v39, s2
	s_mul_i32 s2, s23, s10
	s_delay_alu instid0(SALU_CYCLE_1) | instskip(NEXT) | instid1(VALU_DEP_1)
	s_add_i32 s24, s2, s5
	v_mul_f32_e32 v39, 0x3c010204, v39
	s_and_saveexec_b32 s2, s0
	s_cbranch_execz .LBB119_18
; %bb.17:
	s_ashr_i32 s25, s24, 31
	v_mov_b32_e32 v40, 0
	s_lshl_b64 s[28:29], s[24:25], 2
	s_delay_alu instid0(SALU_CYCLE_1)
	s_add_u32 s28, s14, s28
	s_addc_u32 s29, s15, s29
	global_store_b32 v40, v39, s[28:29]
.LBB119_18:
	s_or_b32 exec_lo, exec_lo, s2
	s_and_saveexec_b32 s2, s1
	s_cbranch_execz .LBB119_20
; %bb.19:
	v_rcp_f32_e32 v39, v39
	s_mul_i32 s5, s24, s34
	s_mul_hi_i32 s23, s24, s34
	s_add_u32 s36, s12, s5
	s_addc_u32 s5, s13, s23
	s_mov_b32 s39, -1
	s_and_b32 s37, s5, 0xffff
	s_waitcnt_depctr 0xfff
	v_mul_f32_e32 v30, v30, v39
	v_mul_f32_e32 v26, v26, v39
	;; [unrolled: 1-line block ×5, first 2 shown]
	v_cvt_i32_f32_e32 v30, v30
	v_cvt_i32_f32_e32 v26, v26
	v_mul_f32_e32 v37, v37, v39
	v_mul_f32_e32 v25, v25, v39
	v_cvt_i32_f32_e32 v28, v28
	v_lshlrev_b16 v30, 8, v30
	v_and_b32_e32 v26, 0xff, v26
	v_cvt_i32_f32_e32 v27, v27
	v_cvt_i32_f32_e32 v25, v25
	;; [unrolled: 1-line block ×3, first 2 shown]
	v_mul_f32_e32 v38, v38, v39
	v_or_b32_e32 v26, v26, v30
	v_mul_f32_e32 v33, v33, v39
	v_dual_mul_f32 v31, v31, v39 :: v_dual_and_b32 v28, 0xff, v28
	v_lshlrev_b16 v27, 8, v27
	v_and_b32_e32 v25, 0xff, v25
	v_lshlrev_b16 v29, 8, v29
	v_mul_f32_e32 v24, v24, v39
	v_dual_mul_f32 v23, v23, v39 :: v_dual_and_b32 v26, 0xffff, v26
	v_cvt_i32_f32_e32 v33, v33
	v_mul_f32_e32 v34, v34, v39
	v_or_b32_e32 v25, v25, v27
	v_or_b32_e32 v27, v28, v29
	v_cvt_i32_f32_e32 v24, v24
	v_and_b32_e32 v29, 0xff, v33
	v_cvt_i32_f32_e32 v34, v34
	v_cvt_i32_f32_e32 v23, v23
	v_dual_mul_f32 v32, v32, v39 :: v_dual_lshlrev_b32 v25, 16, v25
	v_lshlrev_b16 v24, 8, v24
	s_delay_alu instid0(VALU_DEP_4) | instskip(NEXT) | instid1(VALU_DEP_4)
	v_lshlrev_b16 v28, 8, v34
	v_and_b32_e32 v23, 0xff, v23
	v_cvt_i32_f32_e32 v37, v37
	v_mul_f32_e32 v36, v36, v39
	v_cvt_i32_f32_e32 v38, v38
	v_cvt_i32_f32_e32 v31, v31
	v_or_b32_e32 v23, v23, v24
	v_or_b32_e32 v24, v29, v28
	v_mul_f32_e32 v35, v35, v39
	v_cvt_i32_f32_e32 v32, v32
	v_lshlrev_b16 v34, 8, v38
	v_and_b32_e32 v31, 0xff, v31
	v_and_b32_e32 v24, 0xffff, v24
	v_cvt_i32_f32_e32 v35, v35
	v_lshlrev_b16 v32, 8, v32
	v_and_b32_e32 v27, 0xffff, v27
	v_lshlrev_b32_e32 v23, 16, v23
	v_or_b32_e32 v26, v26, v25
	v_and_b32_e32 v33, 0xff, v35
	v_and_b32_e32 v35, 0xff, v37
	v_cvt_i32_f32_e32 v36, v36
	v_or_b32_e32 v25, v27, v23
	s_delay_alu instid0(VALU_DEP_3) | instskip(NEXT) | instid1(VALU_DEP_3)
	v_or_b32_e32 v29, v35, v34
	v_lshlrev_b16 v30, 8, v36
	s_delay_alu instid0(VALU_DEP_2) | instskip(NEXT) | instid1(VALU_DEP_2)
	v_and_b32_e32 v29, 0xffff, v29
	v_or_b32_e32 v28, v33, v30
	v_or_b32_e32 v30, v31, v32
	s_delay_alu instid0(VALU_DEP_2) | instskip(NEXT) | instid1(VALU_DEP_2)
	v_lshlrev_b32_e32 v28, 16, v28
	v_lshlrev_b32_e32 v30, 16, v30
	s_delay_alu instid0(VALU_DEP_2) | instskip(NEXT) | instid1(VALU_DEP_2)
	v_or_b32_e32 v24, v24, v28
	v_or_b32_e32 v23, v29, v30
	buffer_store_b128 v[23:26], v21, s[36:39], 0 offen
	;;#ASMSTART
	s_nop 0
	;;#ASMEND
.LBB119_20:
	s_or_b32 exec_lo, exec_lo, s2
	s_cmp_eq_u32 s11, 1
	s_mov_b32 s5, 1
	s_cbranch_scc1 .LBB119_35
.LBB119_21:
	v_dual_mov_b32 v23, 0 :: v_dual_add_nc_u32 v22, 4, v22
	s_mov_b32 s31, -1
	s_mov_b32 s42, 0x76543210
	s_branch .LBB119_24
.LBB119_22:                             ;   in Loop: Header=BB119_24 Depth=1
	s_or_b32 exec_lo, exec_lo, s2
.LBB119_23:                             ;   in Loop: Header=BB119_24 Depth=1
	v_add_nc_u32_e32 v22, 4, v22
	s_add_i32 s5, s5, 1
	s_delay_alu instid0(SALU_CYCLE_1)
	s_cmp_eq_u32 s11, s5
	s_cbranch_scc1 .LBB119_35
.LBB119_24:                             ; =>This Inner Loop Header: Depth=1
	s_and_b32 s2, s5, 31
	s_delay_alu instid0(SALU_CYCLE_1)
	s_cmp_lg_u32 s2, 0
	s_cbranch_scc1 .LBB119_26
; %bb.25:                               ;   in Loop: Header=BB119_24 Depth=1
	s_mov_b32 s23, s31
	buffer_load_b32 v16, v22, s[20:23], 0 offen
	s_waitcnt vmcnt(3) expcnt(0) lgkmcnt(55)
.LBB119_26:                             ;   in Loop: Header=BB119_24 Depth=1
	s_waitcnt vmcnt(0)
	v_readlane_b32 s2, v16, s2
	s_delay_alu instid0(VALU_DEP_1)
	s_cmp_lt_i32 s2, 0
	s_cbranch_scc1 .LBB119_23
; %bb.27:                               ;   in Loop: Header=BB119_24 Depth=1
	s_add_i32 s24, s4, s5
	s_delay_alu instid0(SALU_CYCLE_1) | instskip(SKIP_4) | instid1(SALU_CYCLE_1)
	s_abs_i32 s23, s24
	s_ashr_i32 s27, s24, 31
	s_mul_hi_u32 s25, s23, s40
	s_xor_b32 s27, s27, s35
	s_mul_i32 s28, s25, s33
	s_sub_i32 s23, s23, s28
	s_add_i32 s28, s25, 1
	s_sub_i32 s29, s23, s33
	s_cmp_ge_u32 s23, s33
	s_cselect_b32 s25, s28, s25
	s_cselect_b32 s23, s29, s23
	s_add_i32 s28, s25, 1
	s_cmp_ge_u32 s23, s33
	s_cselect_b32 s23, s28, s25
	s_delay_alu instid0(SALU_CYCLE_1) | instskip(NEXT) | instid1(SALU_CYCLE_1)
	s_xor_b32 s23, s23, s27
	s_sub_i32 s23, s23, s27
	s_delay_alu instid0(SALU_CYCLE_1) | instskip(NEXT) | instid1(SALU_CYCLE_1)
	s_mul_i32 s25, s23, s6
	s_sub_i32 s36, s24, s25
	s_mul_i32 s24, s23, s7
	s_mul_i32 s28, s36, s8
	s_delay_alu instid0(SALU_CYCLE_1) | instskip(NEXT) | instid1(SALU_CYCLE_1)
	s_add_i32 s28, s28, s24
	s_cmp_eq_u32 s28, s41
	s_cbranch_scc1 .LBB119_29
; %bb.28:                               ;   in Loop: Header=BB119_24 Depth=1
	s_mul_hi_i32 s25, s28, s34
	s_mul_i32 s24, s28, s34
	s_mov_b32 s27, s31
	s_lshl_b64 s[24:25], s[24:25], 1
	s_mov_b32 s41, s28
	s_add_u32 s24, s16, s24
	s_addc_u32 s25, s17, s25
	s_delay_alu instid0(SALU_CYCLE_1)
	s_and_b32 s25, s25, 0xffff
	s_clause 0x1
	buffer_load_b128 v[0:3], v17, s[24:27], 0 offen
	buffer_load_b128 v[4:7], v17, s[24:27], 16 offen
	s_waitcnt vmcnt(1)
	v_lshrrev_b32_e32 v8, 16, v0
	v_and_b32_e32 v0, 0xffff, v0
	v_lshrrev_b32_e32 v9, 16, v1
	v_and_b32_e32 v10, 0xffff, v1
	;; [unrolled: 2-line block ×4, first 2 shown]
	s_waitcnt vmcnt(0)
	v_lshrrev_b32_e32 v15, 16, v4
	v_and_b32_e32 v24, 0xffff, v4
	v_lshrrev_b32_e32 v25, 16, v5
	v_and_b32_e32 v26, 0xffff, v5
	;; [unrolled: 2-line block ×4, first 2 shown]
	v_cvt_f32_u32_e32 v1, v8
	v_cvt_f32_u32_e32 v0, v0
	;; [unrolled: 1-line block ×16, first 2 shown]
.LBB119_29:                             ;   in Loop: Header=BB119_24 Depth=1
	s_mul_i32 s24, s2, s3
	s_delay_alu instid0(SALU_CYCLE_1) | instskip(NEXT) | instid1(SALU_CYCLE_1)
	s_ashr_i32 s25, s24, 31
	s_lshl_b64 s[24:25], s[24:25], 2
	s_delay_alu instid0(SALU_CYCLE_1) | instskip(SKIP_1) | instid1(SALU_CYCLE_1)
	s_add_u32 s28, s18, s24
	s_addc_u32 s2, s19, s25
	s_and_b32 s29, s2, 0xffff
	s_clause 0x3
	buffer_load_b128 v[24:27], v18, s[28:31], 0 offen
	buffer_load_b128 v[28:31], v18, s[28:31], 16 offen
	;; [unrolled: 1-line block ×4, first 2 shown]
	s_waitcnt vmcnt(3)
	v_dual_mul_f32 v38, v0, v24 :: v_dual_mul_f32 v39, v1, v25
	v_dual_mul_f32 v32, v2, v26 :: v_dual_mul_f32 v33, v3, v27
	s_waitcnt vmcnt(2)
	v_dual_mul_f32 v34, v4, v28 :: v_dual_mul_f32 v35, v5, v29
	s_delay_alu instid0(VALU_DEP_3) | instskip(SKIP_3) | instid1(VALU_DEP_3)
	v_max3_f32 v24, |v38|, 0x2edbe6ff, |v39|
	v_dual_mul_f32 v36, v6, v30 :: v_dual_mul_f32 v37, v7, v31
	s_waitcnt vmcnt(1)
	v_dual_mul_f32 v29, v8, v40 :: v_dual_mul_f32 v30, v9, v41
	v_max3_f32 v24, v24, |v32|, |v33|
	s_waitcnt vmcnt(0)
	v_mul_f32_e32 v27, v12, v44
	v_dual_mul_f32 v31, v13, v45 :: v_dual_mul_f32 v28, v15, v47
	v_mul_f32_e32 v25, v11, v43
	v_max3_f32 v24, v24, |v34|, |v35|
	s_delay_alu instid0(VALU_DEP_1) | instskip(SKIP_1) | instid1(VALU_DEP_2)
	v_max3_f32 v26, v24, |v36|, |v37|
	v_mul_f32_e32 v24, v10, v42
	v_max3_f32 v26, v26, |v29|, |v30|
	s_delay_alu instid0(VALU_DEP_1) | instskip(SKIP_1) | instid1(VALU_DEP_2)
	v_max3_f32 v40, v26, |v24|, |v25|
	v_mul_f32_e32 v26, v14, v46
	v_max3_f32 v40, v40, |v27|, |v31|
	s_delay_alu instid0(VALU_DEP_1) | instskip(NEXT) | instid1(VALU_DEP_1)
	v_max3_f32 v40, v40, |v26|, |v28|
	v_mov_b32_dpp v41, v40 quad_perm:[1,0,3,2] row_mask:0xf bank_mask:0xf
	s_delay_alu instid0(VALU_DEP_1) | instskip(NEXT) | instid1(VALU_DEP_1)
	v_cmp_gt_f32_e64 s2, v40, v41
	v_cndmask_b32_e64 v40, v41, v40, s2
	s_delay_alu instid0(VALU_DEP_1) | instskip(NEXT) | instid1(VALU_DEP_1)
	v_mov_b32_dpp v41, v40 quad_perm:[2,3,0,1] row_mask:0xf bank_mask:0xf
	v_cmp_gt_f32_e64 s2, v40, v41
	s_delay_alu instid0(VALU_DEP_1) | instskip(NEXT) | instid1(VALU_DEP_1)
	v_cndmask_b32_e64 v40, v41, v40, s2
	v_mov_b32_dpp v41, v40 row_xmask:7 row_mask:0xf bank_mask:0xf
	s_delay_alu instid0(VALU_DEP_1) | instskip(NEXT) | instid1(VALU_DEP_1)
	v_cmp_gt_f32_e64 s2, v40, v41
	v_cndmask_b32_e64 v40, v41, v40, s2
	s_delay_alu instid0(VALU_DEP_1) | instskip(NEXT) | instid1(VALU_DEP_1)
	v_mov_b32_dpp v41, v40 row_xmask:15 row_mask:0xf bank_mask:0xf
	v_cmp_gt_f32_e64 s2, v40, v41
	s_and_saveexec_b32 s24, vcc_lo
	s_cbranch_execz .LBB119_31
; %bb.30:                               ;   in Loop: Header=BB119_24 Depth=1
	s_delay_alu instid0(VALU_DEP_1) | instskip(NEXT) | instid1(VALU_DEP_1)
	v_cndmask_b32_e64 v40, v41, v40, s2
	v_permlanex16_b32 v41, v40, s42, 0xfedcba98 op_sel:[1,1]
	s_delay_alu instid0(VALU_DEP_1) | instskip(NEXT) | instid1(VALU_DEP_1)
	v_cmp_gt_f32_e64 s2, v40, v41
	v_cndmask_b32_e64 v40, v41, v40, s2
	ds_store_b32 v19, v40
.LBB119_31:                             ;   in Loop: Header=BB119_24 Depth=1
	s_or_b32 exec_lo, exec_lo, s24
	s_waitcnt lgkmcnt(0)
	s_waitcnt_vscnt null, 0x0
	s_barrier
	buffer_gl0_inv
	ds_load_b32 v40, v20
	s_mul_i32 s23, s23, s9
	s_waitcnt lgkmcnt(0)
	v_mov_b32_dpp v41, v40 quad_perm:[1,0,3,2] row_mask:0xf bank_mask:0xf
	s_delay_alu instid0(VALU_DEP_1) | instskip(NEXT) | instid1(VALU_DEP_1)
	v_cmp_gt_f32_e64 s2, v40, v41
	v_cndmask_b32_e64 v40, v41, v40, s2
	s_delay_alu instid0(VALU_DEP_1) | instskip(NEXT) | instid1(VALU_DEP_1)
	v_mov_b32_dpp v41, v40 quad_perm:[2,3,0,1] row_mask:0xf bank_mask:0xf
	v_cmp_gt_f32_e64 s2, v40, v41
	s_delay_alu instid0(VALU_DEP_1) | instskip(NEXT) | instid1(VALU_DEP_1)
	v_cndmask_b32_e64 v40, v41, v40, s2
	v_mov_b32_dpp v41, v40 row_xmask:7 row_mask:0xf bank_mask:0xf
	s_delay_alu instid0(VALU_DEP_1) | instskip(NEXT) | instid1(VALU_DEP_1)
	v_cmp_gt_f32_e64 s2, v40, v41
	v_cndmask_b32_e64 v40, v41, v40, s2
	s_mul_i32 s2, s36, s10
	s_delay_alu instid0(SALU_CYCLE_1) | instskip(NEXT) | instid1(VALU_DEP_1)
	s_add_i32 s24, s2, s23
	v_mul_f32_e32 v40, 0x3c010204, v40
	s_and_saveexec_b32 s2, s0
	s_cbranch_execz .LBB119_33
; %bb.32:                               ;   in Loop: Header=BB119_24 Depth=1
	s_ashr_i32 s25, s24, 31
	s_delay_alu instid0(SALU_CYCLE_1) | instskip(NEXT) | instid1(SALU_CYCLE_1)
	s_lshl_b64 s[28:29], s[24:25], 2
	s_add_u32 s28, s14, s28
	s_addc_u32 s29, s15, s29
	global_store_b32 v23, v40, s[28:29]
.LBB119_33:                             ;   in Loop: Header=BB119_24 Depth=1
	s_or_b32 exec_lo, exec_lo, s2
	s_and_saveexec_b32 s2, s1
	s_cbranch_execz .LBB119_22
; %bb.34:                               ;   in Loop: Header=BB119_24 Depth=1
	v_rcp_f32_e32 v40, v40
	s_mul_i32 s23, s24, s34
	s_mul_hi_i32 s24, s24, s34
	s_add_u32 s36, s12, s23
	s_addc_u32 s23, s13, s24
	s_mov_b32 s39, s31
	s_and_b32 s37, s23, 0xffff
	s_waitcnt_depctr 0xfff
	v_mul_f32_e32 v31, v31, v40
	v_mul_f32_e32 v27, v27, v40
	;; [unrolled: 1-line block ×5, first 2 shown]
	v_cvt_i32_f32_e32 v31, v31
	v_cvt_i32_f32_e32 v27, v27
	v_mul_f32_e32 v38, v38, v40
	v_mul_f32_e32 v26, v26, v40
	v_cvt_i32_f32_e32 v29, v29
	v_lshlrev_b16 v31, 8, v31
	v_and_b32_e32 v27, 0xff, v27
	v_cvt_i32_f32_e32 v28, v28
	v_cvt_i32_f32_e32 v26, v26
	;; [unrolled: 1-line block ×3, first 2 shown]
	v_mul_f32_e32 v39, v39, v40
	v_or_b32_e32 v27, v27, v31
	v_mul_f32_e32 v34, v34, v40
	v_dual_mul_f32 v32, v32, v40 :: v_dual_and_b32 v29, 0xff, v29
	v_lshlrev_b16 v28, 8, v28
	v_and_b32_e32 v26, 0xff, v26
	v_lshlrev_b16 v30, 8, v30
	v_mul_f32_e32 v25, v25, v40
	v_dual_mul_f32 v24, v24, v40 :: v_dual_and_b32 v27, 0xffff, v27
	v_cvt_i32_f32_e32 v34, v34
	v_mul_f32_e32 v35, v35, v40
	v_or_b32_e32 v26, v26, v28
	v_or_b32_e32 v28, v29, v30
	v_cvt_i32_f32_e32 v25, v25
	v_and_b32_e32 v30, 0xff, v34
	v_cvt_i32_f32_e32 v35, v35
	v_cvt_i32_f32_e32 v24, v24
	v_dual_mul_f32 v33, v33, v40 :: v_dual_lshlrev_b32 v26, 16, v26
	v_lshlrev_b16 v25, 8, v25
	s_delay_alu instid0(VALU_DEP_4) | instskip(NEXT) | instid1(VALU_DEP_4)
	v_lshlrev_b16 v29, 8, v35
	v_and_b32_e32 v24, 0xff, v24
	v_cvt_i32_f32_e32 v38, v38
	v_mul_f32_e32 v37, v37, v40
	v_cvt_i32_f32_e32 v39, v39
	v_cvt_i32_f32_e32 v32, v32
	v_or_b32_e32 v24, v24, v25
	v_or_b32_e32 v25, v30, v29
	v_mul_f32_e32 v36, v36, v40
	v_cvt_i32_f32_e32 v33, v33
	v_lshlrev_b16 v35, 8, v39
	v_and_b32_e32 v32, 0xff, v32
	v_and_b32_e32 v25, 0xffff, v25
	v_cvt_i32_f32_e32 v36, v36
	v_lshlrev_b16 v33, 8, v33
	v_and_b32_e32 v28, 0xffff, v28
	v_lshlrev_b32_e32 v24, 16, v24
	v_or_b32_e32 v27, v27, v26
	v_and_b32_e32 v34, 0xff, v36
	v_and_b32_e32 v36, 0xff, v38
	v_cvt_i32_f32_e32 v37, v37
	v_or_b32_e32 v26, v28, v24
	s_delay_alu instid0(VALU_DEP_3) | instskip(NEXT) | instid1(VALU_DEP_3)
	v_or_b32_e32 v30, v36, v35
	v_lshlrev_b16 v31, 8, v37
	s_delay_alu instid0(VALU_DEP_2) | instskip(NEXT) | instid1(VALU_DEP_2)
	v_and_b32_e32 v30, 0xffff, v30
	v_or_b32_e32 v29, v34, v31
	v_or_b32_e32 v31, v32, v33
	s_delay_alu instid0(VALU_DEP_2) | instskip(NEXT) | instid1(VALU_DEP_2)
	v_lshlrev_b32_e32 v29, 16, v29
	v_lshlrev_b32_e32 v31, 16, v31
	s_delay_alu instid0(VALU_DEP_2) | instskip(NEXT) | instid1(VALU_DEP_2)
	v_or_b32_e32 v25, v25, v29
	v_or_b32_e32 v24, v30, v31
	buffer_store_b128 v[24:27], v21, s[36:39], 0 offen
	;;#ASMSTART
	s_nop 0
	;;#ASMEND
	s_branch .LBB119_22
.LBB119_35:
	s_nop 0
	s_sendmsg sendmsg(MSG_DEALLOC_VGPRS)
	s_endpgm
	.section	.rodata,"a",@progbits
	.p2align	6, 0x0
	.amdhsa_kernel _ZN5aiter36smooth_per_token_scaled_quant_kernelItaLi256ELi16ELb0ELb1ELb0ELi1024EEEvPT0_PfPT_S3_PiS6_iiPKiiiiiiiii
		.amdhsa_group_segment_fixed_size 32
		.amdhsa_private_segment_fixed_size 0
		.amdhsa_kernarg_size 96
		.amdhsa_user_sgpr_count 15
		.amdhsa_user_sgpr_dispatch_ptr 0
		.amdhsa_user_sgpr_queue_ptr 0
		.amdhsa_user_sgpr_kernarg_segment_ptr 1
		.amdhsa_user_sgpr_dispatch_id 0
		.amdhsa_user_sgpr_private_segment_size 0
		.amdhsa_wavefront_size32 1
		.amdhsa_uses_dynamic_stack 0
		.amdhsa_enable_private_segment 0
		.amdhsa_system_sgpr_workgroup_id_x 1
		.amdhsa_system_sgpr_workgroup_id_y 0
		.amdhsa_system_sgpr_workgroup_id_z 0
		.amdhsa_system_sgpr_workgroup_info 0
		.amdhsa_system_vgpr_workitem_id 0
		.amdhsa_next_free_vgpr 48
		.amdhsa_next_free_sgpr 43
		.amdhsa_reserve_vcc 1
		.amdhsa_float_round_mode_32 0
		.amdhsa_float_round_mode_16_64 0
		.amdhsa_float_denorm_mode_32 3
		.amdhsa_float_denorm_mode_16_64 3
		.amdhsa_dx10_clamp 1
		.amdhsa_ieee_mode 1
		.amdhsa_fp16_overflow 0
		.amdhsa_workgroup_processor_mode 1
		.amdhsa_memory_ordered 1
		.amdhsa_forward_progress 0
		.amdhsa_shared_vgpr_count 0
		.amdhsa_exception_fp_ieee_invalid_op 0
		.amdhsa_exception_fp_denorm_src 0
		.amdhsa_exception_fp_ieee_div_zero 0
		.amdhsa_exception_fp_ieee_overflow 0
		.amdhsa_exception_fp_ieee_underflow 0
		.amdhsa_exception_fp_ieee_inexact 0
		.amdhsa_exception_int_div_zero 0
	.end_amdhsa_kernel
	.section	.text._ZN5aiter36smooth_per_token_scaled_quant_kernelItaLi256ELi16ELb0ELb1ELb0ELi1024EEEvPT0_PfPT_S3_PiS6_iiPKiiiiiiiii,"axG",@progbits,_ZN5aiter36smooth_per_token_scaled_quant_kernelItaLi256ELi16ELb0ELb1ELb0ELi1024EEEvPT0_PfPT_S3_PiS6_iiPKiiiiiiiii,comdat
.Lfunc_end119:
	.size	_ZN5aiter36smooth_per_token_scaled_quant_kernelItaLi256ELi16ELb0ELb1ELb0ELi1024EEEvPT0_PfPT_S3_PiS6_iiPKiiiiiiiii, .Lfunc_end119-_ZN5aiter36smooth_per_token_scaled_quant_kernelItaLi256ELi16ELb0ELb1ELb0ELi1024EEEvPT0_PfPT_S3_PiS6_iiPKiiiiiiiii
                                        ; -- End function
	.section	.AMDGPU.csdata,"",@progbits
; Kernel info:
; codeLenInByte = 3492
; NumSgprs: 45
; NumVgprs: 48
; ScratchSize: 0
; MemoryBound: 0
; FloatMode: 240
; IeeeMode: 1
; LDSByteSize: 32 bytes/workgroup (compile time only)
; SGPRBlocks: 5
; VGPRBlocks: 5
; NumSGPRsForWavesPerEU: 45
; NumVGPRsForWavesPerEU: 48
; Occupancy: 16
; WaveLimiterHint : 0
; COMPUTE_PGM_RSRC2:SCRATCH_EN: 0
; COMPUTE_PGM_RSRC2:USER_SGPR: 15
; COMPUTE_PGM_RSRC2:TRAP_HANDLER: 0
; COMPUTE_PGM_RSRC2:TGID_X_EN: 1
; COMPUTE_PGM_RSRC2:TGID_Y_EN: 0
; COMPUTE_PGM_RSRC2:TGID_Z_EN: 0
; COMPUTE_PGM_RSRC2:TIDIG_COMP_CNT: 0
	.section	.text._ZN5aiter36smooth_per_token_scaled_quant_kernelIDF16_aLi256ELi16ELb0ELb0ELb0ELi1024EEEvPT0_PfPT_S3_PiS6_iiPKiiiiiiiii,"axG",@progbits,_ZN5aiter36smooth_per_token_scaled_quant_kernelIDF16_aLi256ELi16ELb0ELb0ELb0ELi1024EEEvPT0_PfPT_S3_PiS6_iiPKiiiiiiiii,comdat
	.protected	_ZN5aiter36smooth_per_token_scaled_quant_kernelIDF16_aLi256ELi16ELb0ELb0ELb0ELi1024EEEvPT0_PfPT_S3_PiS6_iiPKiiiiiiiii ; -- Begin function _ZN5aiter36smooth_per_token_scaled_quant_kernelIDF16_aLi256ELi16ELb0ELb0ELb0ELi1024EEEvPT0_PfPT_S3_PiS6_iiPKiiiiiiiii
	.globl	_ZN5aiter36smooth_per_token_scaled_quant_kernelIDF16_aLi256ELi16ELb0ELb0ELb0ELi1024EEEvPT0_PfPT_S3_PiS6_iiPKiiiiiiiii
	.p2align	8
	.type	_ZN5aiter36smooth_per_token_scaled_quant_kernelIDF16_aLi256ELi16ELb0ELb0ELb0ELi1024EEEvPT0_PfPT_S3_PiS6_iiPKiiiiiiiii,@function
_ZN5aiter36smooth_per_token_scaled_quant_kernelIDF16_aLi256ELi16ELb0ELb0ELb0ELi1024EEEvPT0_PfPT_S3_PiS6_iiPKiiiiiiiii: ; @_ZN5aiter36smooth_per_token_scaled_quant_kernelIDF16_aLi256ELi16ELb0ELb0ELb0ELi1024EEEvPT0_PfPT_S3_PiS6_iiPKiiiiiiiii
; %bb.0:
	s_clause 0x1
	s_load_b64 s[2:3], s[0:1], 0x38
	s_load_b256 s[4:11], s[0:1], 0x40
	s_waitcnt lgkmcnt(0)
	s_cmp_lg_u64 s[2:3], 0
	s_cbranch_scc0 .LBB120_19
; %bb.1:
	s_load_b32 s2, s[2:3], 0x0
	s_waitcnt lgkmcnt(0)
	s_mul_i32 s4, s2, s4
	s_cbranch_execnz .LBB120_3
.LBB120_2:
	s_mul_i32 s4, s6, s5
.LBB120_3:
	s_load_b64 s[2:3], s[0:1], 0x30
	s_abs_i32 s13, s4
	s_waitcnt lgkmcnt(0)
	s_abs_i32 s5, s2
	s_delay_alu instid0(SALU_CYCLE_1) | instskip(SKIP_1) | instid1(VALU_DEP_1)
	v_cvt_f32_u32_e32 v1, s5
	s_sub_i32 s12, 0, s5
	v_rcp_iflag_f32_e32 v1, v1
	s_waitcnt_depctr 0xfff
	v_mul_f32_e32 v1, 0x4f7ffffe, v1
	s_delay_alu instid0(VALU_DEP_1) | instskip(NEXT) | instid1(VALU_DEP_1)
	v_cvt_u32_f32_e32 v1, v1
	v_readfirstlane_b32 s11, v1
	s_delay_alu instid0(VALU_DEP_1) | instskip(NEXT) | instid1(SALU_CYCLE_1)
	s_mul_i32 s12, s12, s11
	s_mul_hi_u32 s12, s11, s12
	s_delay_alu instid0(SALU_CYCLE_1) | instskip(SKIP_4) | instid1(SALU_CYCLE_1)
	s_add_i32 s11, s11, s12
	s_xor_b32 s12, s4, s2
	s_mul_hi_u32 s11, s13, s11
	s_ashr_i32 s12, s12, 31
	s_mul_i32 s14, s11, s5
	s_sub_i32 s13, s13, s14
	s_add_i32 s14, s11, 1
	s_sub_i32 s16, s13, s5
	s_cmp_ge_u32 s13, s5
	s_cselect_b32 s11, s14, s11
	s_cselect_b32 s13, s16, s13
	s_add_i32 s14, s11, 1
	s_cmp_ge_u32 s13, s5
	s_cselect_b32 s5, s14, s11
	s_delay_alu instid0(SALU_CYCLE_1) | instskip(NEXT) | instid1(SALU_CYCLE_1)
	s_xor_b32 s5, s5, s12
	s_sub_i32 s5, s5, s12
	s_mov_b32 s12, 0
	s_mul_i32 s2, s5, s2
	s_delay_alu instid0(SALU_CYCLE_1) | instskip(NEXT) | instid1(SALU_CYCLE_1)
	s_sub_i32 s4, s4, s2
	s_cmp_lt_u32 s15, s4
	s_cselect_b32 s2, -1, 0
	s_add_i32 s11, s5, 1
	s_cmp_ge_u32 s15, s4
	s_cbranch_scc0 .LBB120_5
; %bb.4:
	s_sub_i32 s13, s15, s4
	s_mul_i32 s4, s4, s11
	s_mul_i32 s13, s13, s5
	s_delay_alu instid0(SALU_CYCLE_1)
	s_add_i32 s4, s13, s4
	s_and_not1_b32 vcc_lo, exec_lo, s12
	s_cbranch_vccz .LBB120_6
	s_branch .LBB120_7
.LBB120_5:
                                        ; implicit-def: $sgpr4
.LBB120_6:
	s_mul_i32 s4, s11, s15
.LBB120_7:
	v_cndmask_b32_e64 v1, 0, 1, s2
	s_delay_alu instid0(VALU_DEP_1) | instskip(NEXT) | instid1(VALU_DEP_1)
	v_readfirstlane_b32 s2, v1
	s_add_i32 s5, s5, s2
	s_delay_alu instid0(SALU_CYCLE_1)
	s_cmp_lt_i32 s5, 1
	s_cbranch_scc1 .LBB120_18
; %bb.8:
	s_abs_i32 s33, s6
	s_load_b256 s[12:19], s[0:1], 0x0
	v_cvt_f32_u32_e32 v3, s33
	s_add_i32 s1, s3, 15
	s_mov_b32 s11, s3
	s_ashr_i32 s2, s1, 31
	s_lshl_b32 s22, s3, 1
	v_rcp_iflag_f32_e32 v5, v3
	v_lshlrev_b32_e32 v2, 6, v0
	s_lshl_b32 s26, s3, 2
	s_lshr_b32 s2, s2, 28
	s_add_i32 s3, s3, 3
	s_add_i32 s1, s1, s2
	s_ashr_i32 s2, s3, 31
	v_and_b32_e32 v3, 31, v0
	v_lshrrev_b32_e32 v4, 3, v0
	s_waitcnt_depctr 0xfff
	v_dual_mul_f32 v5, 0x4f7ffffe, v5 :: v_dual_and_b32 v6, 7, v0
	s_lshr_b32 s2, s2, 30
	s_ashr_i32 s1, s1, 4
	s_add_i32 s3, s3, s2
	s_sub_i32 s2, 0, s33
	v_cvt_u32_f32_e32 v5, v5
	v_lshlrev_b32_e32 v1, 5, v0
	v_cmp_eq_u32_e32 vcc_lo, 31, v3
	v_and_b32_e32 v3, 0x7c, v4
	v_cmp_eq_u32_e64 s0, 0, v0
	v_readfirstlane_b32 s20, v5
	v_dual_mov_b32 v5, 0 :: v_dual_lshlrev_b32 v4, 2, v6
	v_cmp_gt_u32_e64 s1, s1, v0
	v_lshlrev_b32_e32 v0, 4, v0
	s_delay_alu instid0(VALU_DEP_4)
	s_mul_i32 s2, s2, s20
	s_mov_b32 s23, -1
	s_waitcnt lgkmcnt(0)
	s_and_b32 s19, s19, 0xffff
	s_mul_hi_u32 s2, s20, s2
	s_mov_b32 s27, s23
	s_and_b32 s30, s3, -4
	s_ashr_i32 s34, s6, 31
	s_add_i32 s35, s20, s2
	s_mov_b32 s24, s18
	s_mov_b32 s25, s19
	;; [unrolled: 1-line block ×4, first 2 shown]
                                        ; implicit-def: $vgpr6
                                        ; implicit-def: $vgpr11
                                        ; implicit-def: $vgpr7
                                        ; implicit-def: $vgpr13
                                        ; implicit-def: $vgpr8
                                        ; implicit-def: $vgpr14
                                        ; implicit-def: $vgpr9
                                        ; implicit-def: $vgpr16
                                        ; implicit-def: $vgpr10
                                        ; implicit-def: $vgpr18
                                        ; implicit-def: $vgpr12
                                        ; implicit-def: $vgpr19
                                        ; implicit-def: $vgpr15
                                        ; implicit-def: $vgpr20
                                        ; implicit-def: $vgpr17
                                        ; implicit-def: $vgpr21
	s_branch .LBB120_10
.LBB120_9:                              ;   in Loop: Header=BB120_10 Depth=1
	s_or_b32 exec_lo, exec_lo, s3
	s_add_i32 s5, s5, -1
	s_add_i32 s4, s4, 1
	s_cmp_eq_u32 s5, 0
	s_cbranch_scc1 .LBB120_18
.LBB120_10:                             ; =>This Inner Loop Header: Depth=1
	s_abs_i32 s2, s4
	s_ashr_i32 s20, s4, 31
	s_mul_hi_u32 s3, s2, s35
	s_xor_b32 s20, s20, s34
	s_mul_i32 s21, s3, s33
	s_delay_alu instid0(SALU_CYCLE_1)
	s_sub_i32 s2, s2, s21
	s_add_i32 s21, s3, 1
	s_sub_i32 s28, s2, s33
	s_cmp_ge_u32 s2, s33
	s_cselect_b32 s3, s21, s3
	s_cselect_b32 s2, s28, s2
	s_add_i32 s21, s3, 1
	s_cmp_ge_u32 s2, s33
	s_cselect_b32 s2, s21, s3
	s_delay_alu instid0(SALU_CYCLE_1) | instskip(NEXT) | instid1(SALU_CYCLE_1)
	s_xor_b32 s2, s2, s20
	s_sub_i32 s3, s2, s20
	s_delay_alu instid0(SALU_CYCLE_1) | instskip(SKIP_2) | instid1(SALU_CYCLE_1)
	s_mul_i32 s2, s3, s6
	s_mul_i32 s20, s3, s7
	s_sub_i32 s28, s4, s2
	s_mul_i32 s2, s28, s8
	s_delay_alu instid0(SALU_CYCLE_1) | instskip(NEXT) | instid1(SALU_CYCLE_1)
	s_add_i32 s2, s2, s20
	s_cmp_eq_u32 s2, s19
	s_cbranch_scc1 .LBB120_12
; %bb.11:                               ;   in Loop: Header=BB120_10 Depth=1
	s_mul_hi_i32 s21, s2, s11
	s_mul_i32 s20, s2, s11
	s_delay_alu instid0(SALU_CYCLE_1) | instskip(NEXT) | instid1(SALU_CYCLE_1)
	s_lshl_b64 s[20:21], s[20:21], 1
	s_add_u32 s20, s16, s20
	s_addc_u32 s19, s17, s21
	s_delay_alu instid0(SALU_CYCLE_1)
	s_and_b32 s21, s19, 0xffff
	s_clause 0x1
	buffer_load_b128 v[7:10], v1, s[20:23], 0 offen
	buffer_load_b128 v[15:18], v1, s[20:23], 16 offen
	s_mov_b32 s19, s2
	s_waitcnt vmcnt(1)
	v_lshrrev_b32_e32 v11, 16, v7
	v_lshrrev_b32_e32 v13, 16, v8
	;; [unrolled: 1-line block ×4, first 2 shown]
	s_waitcnt vmcnt(0)
	v_lshrrev_b32_e32 v20, 16, v15
	v_lshrrev_b32_e32 v21, 16, v16
	;; [unrolled: 1-line block ×4, first 2 shown]
	v_cvt_f32_f16_e32 v6, v7
	v_cvt_f32_f16_e32 v7, v8
	;; [unrolled: 1-line block ×16, first 2 shown]
.LBB120_12:                             ;   in Loop: Header=BB120_10 Depth=1
	s_clause 0x3
	buffer_load_b128 v[22:25], v2, s[24:27], 0 offen
	buffer_load_b128 v[26:29], v2, s[24:27], 16 offen
	;; [unrolled: 1-line block ×4, first 2 shown]
	s_waitcnt vmcnt(3)
	v_dual_mul_f32 v36, v6, v22 :: v_dual_mul_f32 v37, v11, v23
	v_dual_mul_f32 v30, v7, v24 :: v_dual_mul_f32 v31, v13, v25
	s_waitcnt vmcnt(2)
	v_dual_mul_f32 v32, v8, v26 :: v_dual_mul_f32 v33, v14, v27
	s_delay_alu instid0(VALU_DEP_3) | instskip(SKIP_3) | instid1(VALU_DEP_3)
	v_max3_f32 v22, |v36|, 0x2edbe6ff, |v37|
	v_dual_mul_f32 v34, v9, v28 :: v_dual_mul_f32 v35, v16, v29
	s_waitcnt vmcnt(1)
	v_dual_mul_f32 v26, v10, v38 :: v_dual_mul_f32 v23, v19, v41
	v_max3_f32 v22, v22, |v30|, |v31|
	v_mul_f32_e32 v27, v18, v39
	s_waitcnt vmcnt(0)
	v_dual_mul_f32 v25, v15, v42 :: v_dual_mul_f32 v28, v20, v43
	v_mul_f32_e32 v29, v21, v45
	v_max3_f32 v22, v22, |v32|, |v33|
	s_delay_alu instid0(VALU_DEP_1) | instskip(SKIP_1) | instid1(VALU_DEP_2)
	v_max3_f32 v24, v22, |v34|, |v35|
	v_mul_f32_e32 v22, v12, v40
	v_max3_f32 v24, v24, |v26|, |v27|
	s_delay_alu instid0(VALU_DEP_1) | instskip(SKIP_1) | instid1(VALU_DEP_2)
	v_max3_f32 v38, v24, |v22|, |v23|
	v_mul_f32_e32 v24, v17, v44
	v_max3_f32 v38, v38, |v25|, |v28|
	s_delay_alu instid0(VALU_DEP_1) | instskip(NEXT) | instid1(VALU_DEP_1)
	v_max3_f32 v38, v38, |v24|, |v29|
	v_mov_b32_dpp v39, v38 quad_perm:[1,0,3,2] row_mask:0xf bank_mask:0xf
	s_delay_alu instid0(VALU_DEP_1) | instskip(NEXT) | instid1(VALU_DEP_1)
	v_cmp_gt_f32_e64 s2, v38, v39
	v_cndmask_b32_e64 v38, v39, v38, s2
	s_delay_alu instid0(VALU_DEP_1) | instskip(NEXT) | instid1(VALU_DEP_1)
	v_mov_b32_dpp v39, v38 quad_perm:[2,3,0,1] row_mask:0xf bank_mask:0xf
	v_cmp_gt_f32_e64 s2, v38, v39
	s_delay_alu instid0(VALU_DEP_1) | instskip(NEXT) | instid1(VALU_DEP_1)
	v_cndmask_b32_e64 v38, v39, v38, s2
	v_mov_b32_dpp v39, v38 row_xmask:7 row_mask:0xf bank_mask:0xf
	s_delay_alu instid0(VALU_DEP_1) | instskip(NEXT) | instid1(VALU_DEP_1)
	v_cmp_gt_f32_e64 s2, v38, v39
	v_cndmask_b32_e64 v38, v39, v38, s2
	s_delay_alu instid0(VALU_DEP_1) | instskip(NEXT) | instid1(VALU_DEP_1)
	v_mov_b32_dpp v39, v38 row_xmask:15 row_mask:0xf bank_mask:0xf
	v_cmp_gt_f32_e64 s2, v38, v39
	s_and_saveexec_b32 s20, vcc_lo
	s_cbranch_execz .LBB120_14
; %bb.13:                               ;   in Loop: Header=BB120_10 Depth=1
	s_delay_alu instid0(VALU_DEP_1) | instskip(NEXT) | instid1(VALU_DEP_1)
	v_cndmask_b32_e64 v38, v39, v38, s2
	v_permlanex16_b32 v39, v38, s18, 0xfedcba98 op_sel:[1,1]
	s_delay_alu instid0(VALU_DEP_1) | instskip(NEXT) | instid1(VALU_DEP_1)
	v_cmp_gt_f32_e64 s2, v38, v39
	v_cndmask_b32_e64 v38, v39, v38, s2
	ds_store_b32 v3, v38
.LBB120_14:                             ;   in Loop: Header=BB120_10 Depth=1
	s_or_b32 exec_lo, exec_lo, s20
	s_waitcnt lgkmcnt(0)
	s_waitcnt_vscnt null, 0x0
	s_barrier
	buffer_gl0_inv
	ds_load_b32 v38, v4
	s_mul_i32 s3, s3, s9
	s_waitcnt lgkmcnt(0)
	v_mov_b32_dpp v39, v38 quad_perm:[1,0,3,2] row_mask:0xf bank_mask:0xf
	s_delay_alu instid0(VALU_DEP_1) | instskip(NEXT) | instid1(VALU_DEP_1)
	v_cmp_gt_f32_e64 s2, v38, v39
	v_cndmask_b32_e64 v38, v39, v38, s2
	s_delay_alu instid0(VALU_DEP_1) | instskip(NEXT) | instid1(VALU_DEP_1)
	v_mov_b32_dpp v39, v38 quad_perm:[2,3,0,1] row_mask:0xf bank_mask:0xf
	v_cmp_gt_f32_e64 s2, v38, v39
	s_delay_alu instid0(VALU_DEP_1) | instskip(NEXT) | instid1(VALU_DEP_1)
	v_cndmask_b32_e64 v38, v39, v38, s2
	v_mov_b32_dpp v39, v38 row_xmask:7 row_mask:0xf bank_mask:0xf
	s_delay_alu instid0(VALU_DEP_1) | instskip(NEXT) | instid1(VALU_DEP_1)
	v_cmp_gt_f32_e64 s2, v38, v39
	v_cndmask_b32_e64 v38, v39, v38, s2
	s_mul_i32 s2, s28, s10
	s_delay_alu instid0(SALU_CYCLE_1) | instskip(NEXT) | instid1(VALU_DEP_1)
	s_add_i32 s2, s2, s3
	v_mul_f32_e32 v38, 0x3c010204, v38
	s_and_saveexec_b32 s20, s0
	s_cbranch_execz .LBB120_16
; %bb.15:                               ;   in Loop: Header=BB120_10 Depth=1
	s_ashr_i32 s3, s2, 31
	s_delay_alu instid0(SALU_CYCLE_1) | instskip(NEXT) | instid1(SALU_CYCLE_1)
	s_lshl_b64 s[28:29], s[2:3], 2
	s_add_u32 s28, s14, s28
	s_addc_u32 s29, s15, s29
	global_store_b32 v5, v38, s[28:29]
.LBB120_16:                             ;   in Loop: Header=BB120_10 Depth=1
	s_or_b32 exec_lo, exec_lo, s20
	s_and_saveexec_b32 s3, s1
	s_cbranch_execz .LBB120_9
; %bb.17:                               ;   in Loop: Header=BB120_10 Depth=1
	v_rcp_f32_e32 v38, v38
	s_mul_i32 s20, s2, s11
	s_mul_hi_i32 s2, s2, s11
	s_add_u32 s28, s12, s20
	s_addc_u32 s2, s13, s2
	s_mov_b32 s31, s23
	s_and_b32 s29, s2, 0xffff
	s_waitcnt_depctr 0xfff
	v_mul_f32_e32 v28, v28, v38
	v_mul_f32_e32 v25, v25, v38
	;; [unrolled: 1-line block ×5, first 2 shown]
	v_cvt_i32_f32_e32 v28, v28
	v_cvt_i32_f32_e32 v25, v25
	;; [unrolled: 1-line block ×4, first 2 shown]
	v_mul_f32_e32 v36, v36, v38
	v_mul_f32_e32 v37, v37, v38
	;; [unrolled: 1-line block ×5, first 2 shown]
	v_lshlrev_b16 v28, 8, v28
	v_and_b32_e32 v25, 0xff, v25
	v_lshlrev_b16 v29, 8, v29
	v_and_b32_e32 v24, 0xff, v24
	v_cvt_i32_f32_e32 v36, v36
	v_mul_f32_e32 v35, v35, v38
	v_cvt_i32_f32_e32 v32, v32
	v_mul_f32_e32 v33, v33, v38
	v_cvt_i32_f32_e32 v34, v34
	v_cvt_i32_f32_e32 v26, v26
	;; [unrolled: 1-line block ×3, first 2 shown]
	v_mul_f32_e32 v23, v23, v38
	v_mul_f32_e32 v22, v22, v38
	v_or_b32_e32 v25, v25, v28
	v_and_b32_e32 v28, 0xff, v32
	v_mul_f32_e32 v30, v30, v38
	v_or_b32_e32 v24, v24, v29
	v_mul_f32_e32 v31, v31, v38
	v_cvt_i32_f32_e32 v37, v37
	v_cvt_i32_f32_e32 v33, v33
	v_lshlrev_b16 v27, 8, v27
	v_lshlrev_b32_e32 v24, 16, v24
	v_cvt_i32_f32_e32 v31, v31
	v_and_b32_e32 v26, 0xff, v26
	v_cvt_i32_f32_e32 v23, v23
	v_cvt_i32_f32_e32 v22, v22
	v_and_b32_e32 v25, 0xffff, v25
	v_cvt_i32_f32_e32 v30, v30
	v_and_b32_e32 v32, 0xff, v34
	v_and_b32_e32 v34, 0xff, v36
	v_cvt_i32_f32_e32 v35, v35
	v_or_b32_e32 v26, v26, v27
	v_lshlrev_b16 v23, 8, v23
	v_and_b32_e32 v22, 0xff, v22
	v_lshlrev_b16 v27, 8, v33
	v_lshlrev_b16 v29, 8, v35
	;; [unrolled: 1-line block ×4, first 2 shown]
	v_and_b32_e32 v30, 0xff, v30
	v_or_b32_e32 v22, v22, v23
	v_or_b32_e32 v23, v28, v27
	;; [unrolled: 1-line block ×5, first 2 shown]
	v_and_b32_e32 v26, 0xffff, v26
	v_lshlrev_b32_e32 v22, 16, v22
	v_and_b32_e32 v23, 0xffff, v23
	v_lshlrev_b32_e32 v27, 16, v27
	;; [unrolled: 2-line block ×3, first 2 shown]
	v_or_b32_e32 v25, v25, v24
	v_or_b32_e32 v24, v26, v22
	;; [unrolled: 1-line block ×3, first 2 shown]
	s_delay_alu instid0(VALU_DEP_4)
	v_or_b32_e32 v22, v28, v29
	buffer_store_b128 v[22:25], v0, s[28:31], 0 offen
	;;#ASMSTART
	s_nop 0
	;;#ASMEND
	s_branch .LBB120_9
.LBB120_18:
	s_nop 0
	s_sendmsg sendmsg(MSG_DEALLOC_VGPRS)
	s_endpgm
.LBB120_19:
                                        ; implicit-def: $sgpr4
	s_branch .LBB120_2
	.section	.rodata,"a",@progbits
	.p2align	6, 0x0
	.amdhsa_kernel _ZN5aiter36smooth_per_token_scaled_quant_kernelIDF16_aLi256ELi16ELb0ELb0ELb0ELi1024EEEvPT0_PfPT_S3_PiS6_iiPKiiiiiiiii
		.amdhsa_group_segment_fixed_size 32
		.amdhsa_private_segment_fixed_size 0
		.amdhsa_kernarg_size 96
		.amdhsa_user_sgpr_count 15
		.amdhsa_user_sgpr_dispatch_ptr 0
		.amdhsa_user_sgpr_queue_ptr 0
		.amdhsa_user_sgpr_kernarg_segment_ptr 1
		.amdhsa_user_sgpr_dispatch_id 0
		.amdhsa_user_sgpr_private_segment_size 0
		.amdhsa_wavefront_size32 1
		.amdhsa_uses_dynamic_stack 0
		.amdhsa_enable_private_segment 0
		.amdhsa_system_sgpr_workgroup_id_x 1
		.amdhsa_system_sgpr_workgroup_id_y 0
		.amdhsa_system_sgpr_workgroup_id_z 0
		.amdhsa_system_sgpr_workgroup_info 0
		.amdhsa_system_vgpr_workitem_id 0
		.amdhsa_next_free_vgpr 46
		.amdhsa_next_free_sgpr 36
		.amdhsa_reserve_vcc 1
		.amdhsa_float_round_mode_32 0
		.amdhsa_float_round_mode_16_64 0
		.amdhsa_float_denorm_mode_32 3
		.amdhsa_float_denorm_mode_16_64 3
		.amdhsa_dx10_clamp 1
		.amdhsa_ieee_mode 1
		.amdhsa_fp16_overflow 0
		.amdhsa_workgroup_processor_mode 1
		.amdhsa_memory_ordered 1
		.amdhsa_forward_progress 0
		.amdhsa_shared_vgpr_count 0
		.amdhsa_exception_fp_ieee_invalid_op 0
		.amdhsa_exception_fp_denorm_src 0
		.amdhsa_exception_fp_ieee_div_zero 0
		.amdhsa_exception_fp_ieee_overflow 0
		.amdhsa_exception_fp_ieee_underflow 0
		.amdhsa_exception_fp_ieee_inexact 0
		.amdhsa_exception_int_div_zero 0
	.end_amdhsa_kernel
	.section	.text._ZN5aiter36smooth_per_token_scaled_quant_kernelIDF16_aLi256ELi16ELb0ELb0ELb0ELi1024EEEvPT0_PfPT_S3_PiS6_iiPKiiiiiiiii,"axG",@progbits,_ZN5aiter36smooth_per_token_scaled_quant_kernelIDF16_aLi256ELi16ELb0ELb0ELb0ELi1024EEEvPT0_PfPT_S3_PiS6_iiPKiiiiiiiii,comdat
.Lfunc_end120:
	.size	_ZN5aiter36smooth_per_token_scaled_quant_kernelIDF16_aLi256ELi16ELb0ELb0ELb0ELi1024EEEvPT0_PfPT_S3_PiS6_iiPKiiiiiiiii, .Lfunc_end120-_ZN5aiter36smooth_per_token_scaled_quant_kernelIDF16_aLi256ELi16ELb0ELb0ELb0ELi1024EEEvPT0_PfPT_S3_PiS6_iiPKiiiiiiiii
                                        ; -- End function
	.section	.AMDGPU.csdata,"",@progbits
; Kernel info:
; codeLenInByte = 1820
; NumSgprs: 38
; NumVgprs: 46
; ScratchSize: 0
; MemoryBound: 0
; FloatMode: 240
; IeeeMode: 1
; LDSByteSize: 32 bytes/workgroup (compile time only)
; SGPRBlocks: 4
; VGPRBlocks: 5
; NumSGPRsForWavesPerEU: 38
; NumVGPRsForWavesPerEU: 46
; Occupancy: 16
; WaveLimiterHint : 0
; COMPUTE_PGM_RSRC2:SCRATCH_EN: 0
; COMPUTE_PGM_RSRC2:USER_SGPR: 15
; COMPUTE_PGM_RSRC2:TRAP_HANDLER: 0
; COMPUTE_PGM_RSRC2:TGID_X_EN: 1
; COMPUTE_PGM_RSRC2:TGID_Y_EN: 0
; COMPUTE_PGM_RSRC2:TGID_Z_EN: 0
; COMPUTE_PGM_RSRC2:TIDIG_COMP_CNT: 0
	.section	.text._ZN5aiter36smooth_per_token_scaled_quant_kernelItaLi256ELi16ELb0ELb0ELb0ELi1024EEEvPT0_PfPT_S3_PiS6_iiPKiiiiiiiii,"axG",@progbits,_ZN5aiter36smooth_per_token_scaled_quant_kernelItaLi256ELi16ELb0ELb0ELb0ELi1024EEEvPT0_PfPT_S3_PiS6_iiPKiiiiiiiii,comdat
	.protected	_ZN5aiter36smooth_per_token_scaled_quant_kernelItaLi256ELi16ELb0ELb0ELb0ELi1024EEEvPT0_PfPT_S3_PiS6_iiPKiiiiiiiii ; -- Begin function _ZN5aiter36smooth_per_token_scaled_quant_kernelItaLi256ELi16ELb0ELb0ELb0ELi1024EEEvPT0_PfPT_S3_PiS6_iiPKiiiiiiiii
	.globl	_ZN5aiter36smooth_per_token_scaled_quant_kernelItaLi256ELi16ELb0ELb0ELb0ELi1024EEEvPT0_PfPT_S3_PiS6_iiPKiiiiiiiii
	.p2align	8
	.type	_ZN5aiter36smooth_per_token_scaled_quant_kernelItaLi256ELi16ELb0ELb0ELb0ELi1024EEEvPT0_PfPT_S3_PiS6_iiPKiiiiiiiii,@function
_ZN5aiter36smooth_per_token_scaled_quant_kernelItaLi256ELi16ELb0ELb0ELb0ELi1024EEEvPT0_PfPT_S3_PiS6_iiPKiiiiiiiii: ; @_ZN5aiter36smooth_per_token_scaled_quant_kernelItaLi256ELi16ELb0ELb0ELb0ELi1024EEEvPT0_PfPT_S3_PiS6_iiPKiiiiiiiii
; %bb.0:
	s_clause 0x1
	s_load_b64 s[2:3], s[0:1], 0x38
	s_load_b256 s[4:11], s[0:1], 0x40
	s_waitcnt lgkmcnt(0)
	s_cmp_lg_u64 s[2:3], 0
	s_cbranch_scc0 .LBB121_19
; %bb.1:
	s_load_b32 s2, s[2:3], 0x0
	s_waitcnt lgkmcnt(0)
	s_mul_i32 s4, s2, s4
	s_cbranch_execnz .LBB121_3
.LBB121_2:
	s_mul_i32 s4, s6, s5
.LBB121_3:
	s_load_b64 s[2:3], s[0:1], 0x30
	s_abs_i32 s13, s4
	s_waitcnt lgkmcnt(0)
	s_abs_i32 s5, s2
	s_delay_alu instid0(SALU_CYCLE_1) | instskip(SKIP_1) | instid1(VALU_DEP_1)
	v_cvt_f32_u32_e32 v1, s5
	s_sub_i32 s12, 0, s5
	v_rcp_iflag_f32_e32 v1, v1
	s_waitcnt_depctr 0xfff
	v_mul_f32_e32 v1, 0x4f7ffffe, v1
	s_delay_alu instid0(VALU_DEP_1) | instskip(NEXT) | instid1(VALU_DEP_1)
	v_cvt_u32_f32_e32 v1, v1
	v_readfirstlane_b32 s11, v1
	s_delay_alu instid0(VALU_DEP_1) | instskip(NEXT) | instid1(SALU_CYCLE_1)
	s_mul_i32 s12, s12, s11
	s_mul_hi_u32 s12, s11, s12
	s_delay_alu instid0(SALU_CYCLE_1) | instskip(SKIP_4) | instid1(SALU_CYCLE_1)
	s_add_i32 s11, s11, s12
	s_xor_b32 s12, s4, s2
	s_mul_hi_u32 s11, s13, s11
	s_ashr_i32 s12, s12, 31
	s_mul_i32 s14, s11, s5
	s_sub_i32 s13, s13, s14
	s_add_i32 s14, s11, 1
	s_sub_i32 s16, s13, s5
	s_cmp_ge_u32 s13, s5
	s_cselect_b32 s11, s14, s11
	s_cselect_b32 s13, s16, s13
	s_add_i32 s14, s11, 1
	s_cmp_ge_u32 s13, s5
	s_cselect_b32 s5, s14, s11
	s_delay_alu instid0(SALU_CYCLE_1) | instskip(NEXT) | instid1(SALU_CYCLE_1)
	s_xor_b32 s5, s5, s12
	s_sub_i32 s5, s5, s12
	s_mov_b32 s12, 0
	s_mul_i32 s2, s5, s2
	s_delay_alu instid0(SALU_CYCLE_1) | instskip(NEXT) | instid1(SALU_CYCLE_1)
	s_sub_i32 s4, s4, s2
	s_cmp_lt_u32 s15, s4
	s_cselect_b32 s2, -1, 0
	s_add_i32 s11, s5, 1
	s_cmp_ge_u32 s15, s4
	s_cbranch_scc0 .LBB121_5
; %bb.4:
	s_sub_i32 s13, s15, s4
	s_mul_i32 s4, s4, s11
	s_mul_i32 s13, s13, s5
	s_delay_alu instid0(SALU_CYCLE_1)
	s_add_i32 s4, s13, s4
	s_and_not1_b32 vcc_lo, exec_lo, s12
	s_cbranch_vccz .LBB121_6
	s_branch .LBB121_7
.LBB121_5:
                                        ; implicit-def: $sgpr4
.LBB121_6:
	s_mul_i32 s4, s11, s15
.LBB121_7:
	v_cndmask_b32_e64 v1, 0, 1, s2
	s_delay_alu instid0(VALU_DEP_1) | instskip(NEXT) | instid1(VALU_DEP_1)
	v_readfirstlane_b32 s2, v1
	s_add_i32 s5, s5, s2
	s_delay_alu instid0(SALU_CYCLE_1)
	s_cmp_lt_i32 s5, 1
	s_cbranch_scc1 .LBB121_18
; %bb.8:
	s_abs_i32 s33, s6
	s_load_b256 s[12:19], s[0:1], 0x0
	v_cvt_f32_u32_e32 v3, s33
	s_add_i32 s1, s3, 15
	s_mov_b32 s11, s3
	s_ashr_i32 s2, s1, 31
	s_lshl_b32 s22, s3, 1
	v_rcp_iflag_f32_e32 v5, v3
	v_lshlrev_b32_e32 v2, 6, v0
	s_lshl_b32 s26, s3, 2
	s_lshr_b32 s2, s2, 28
	s_add_i32 s3, s3, 3
	s_add_i32 s1, s1, s2
	s_ashr_i32 s2, s3, 31
	v_and_b32_e32 v3, 31, v0
	v_lshrrev_b32_e32 v4, 3, v0
	s_waitcnt_depctr 0xfff
	v_dual_mul_f32 v5, 0x4f7ffffe, v5 :: v_dual_and_b32 v6, 7, v0
	s_lshr_b32 s2, s2, 30
	s_ashr_i32 s1, s1, 4
	s_add_i32 s3, s3, s2
	s_sub_i32 s2, 0, s33
	v_cvt_u32_f32_e32 v5, v5
	v_lshlrev_b32_e32 v1, 5, v0
	v_cmp_eq_u32_e32 vcc_lo, 31, v3
	v_and_b32_e32 v3, 0x7c, v4
	v_cmp_eq_u32_e64 s0, 0, v0
	v_readfirstlane_b32 s20, v5
	v_dual_mov_b32 v5, 0 :: v_dual_lshlrev_b32 v4, 2, v6
	v_cmp_gt_u32_e64 s1, s1, v0
	v_lshlrev_b32_e32 v0, 4, v0
	s_delay_alu instid0(VALU_DEP_4)
	s_mul_i32 s2, s2, s20
	s_mov_b32 s23, -1
	s_waitcnt lgkmcnt(0)
	s_and_b32 s19, s19, 0xffff
	s_mul_hi_u32 s2, s20, s2
	s_mov_b32 s27, s23
	s_and_b32 s30, s3, -4
	s_ashr_i32 s34, s6, 31
	s_add_i32 s35, s20, s2
	s_mov_b32 s24, s18
	s_mov_b32 s25, s19
	s_mov_b32 s18, 0x76543210
	s_mov_b32 s19, s23
                                        ; implicit-def: $vgpr6
                                        ; implicit-def: $vgpr7
                                        ; implicit-def: $vgpr8
                                        ; implicit-def: $vgpr9
                                        ; implicit-def: $vgpr10
                                        ; implicit-def: $vgpr11
                                        ; implicit-def: $vgpr12
                                        ; implicit-def: $vgpr13
                                        ; implicit-def: $vgpr14
                                        ; implicit-def: $vgpr15
                                        ; implicit-def: $vgpr16
                                        ; implicit-def: $vgpr17
                                        ; implicit-def: $vgpr18
                                        ; implicit-def: $vgpr19
                                        ; implicit-def: $vgpr20
                                        ; implicit-def: $vgpr21
	s_branch .LBB121_10
.LBB121_9:                              ;   in Loop: Header=BB121_10 Depth=1
	s_or_b32 exec_lo, exec_lo, s3
	s_add_i32 s5, s5, -1
	s_add_i32 s4, s4, 1
	s_cmp_eq_u32 s5, 0
	s_cbranch_scc1 .LBB121_18
.LBB121_10:                             ; =>This Inner Loop Header: Depth=1
	s_abs_i32 s2, s4
	s_ashr_i32 s20, s4, 31
	s_mul_hi_u32 s3, s2, s35
	s_xor_b32 s20, s20, s34
	s_mul_i32 s21, s3, s33
	s_delay_alu instid0(SALU_CYCLE_1)
	s_sub_i32 s2, s2, s21
	s_add_i32 s21, s3, 1
	s_sub_i32 s28, s2, s33
	s_cmp_ge_u32 s2, s33
	s_cselect_b32 s3, s21, s3
	s_cselect_b32 s2, s28, s2
	s_add_i32 s21, s3, 1
	s_cmp_ge_u32 s2, s33
	s_cselect_b32 s2, s21, s3
	s_delay_alu instid0(SALU_CYCLE_1) | instskip(NEXT) | instid1(SALU_CYCLE_1)
	s_xor_b32 s2, s2, s20
	s_sub_i32 s3, s2, s20
	s_delay_alu instid0(SALU_CYCLE_1) | instskip(SKIP_2) | instid1(SALU_CYCLE_1)
	s_mul_i32 s2, s3, s6
	s_mul_i32 s20, s3, s7
	s_sub_i32 s28, s4, s2
	s_mul_i32 s2, s28, s8
	s_delay_alu instid0(SALU_CYCLE_1) | instskip(NEXT) | instid1(SALU_CYCLE_1)
	s_add_i32 s2, s2, s20
	s_cmp_eq_u32 s2, s19
	s_cbranch_scc1 .LBB121_12
; %bb.11:                               ;   in Loop: Header=BB121_10 Depth=1
	s_mul_hi_i32 s21, s2, s11
	s_mul_i32 s20, s2, s11
	s_delay_alu instid0(SALU_CYCLE_1) | instskip(NEXT) | instid1(SALU_CYCLE_1)
	s_lshl_b64 s[20:21], s[20:21], 1
	s_add_u32 s20, s16, s20
	s_addc_u32 s19, s17, s21
	s_delay_alu instid0(SALU_CYCLE_1)
	s_and_b32 s21, s19, 0xffff
	s_clause 0x1
	buffer_load_b128 v[6:9], v1, s[20:23], 0 offen
	buffer_load_b128 v[10:13], v1, s[20:23], 16 offen
	s_mov_b32 s19, s2
	s_waitcnt vmcnt(1)
	v_and_b32_e32 v14, 0xffff, v6
	v_lshrrev_b32_e32 v15, 16, v6
	v_and_b32_e32 v16, 0xffff, v7
	v_lshrrev_b32_e32 v17, 16, v7
	;; [unrolled: 2-line block ×4, first 2 shown]
	s_waitcnt vmcnt(0)
	v_and_b32_e32 v22, 0xffff, v10
	v_lshrrev_b32_e32 v23, 16, v10
	v_and_b32_e32 v24, 0xffff, v11
	v_lshrrev_b32_e32 v25, 16, v11
	;; [unrolled: 2-line block ×4, first 2 shown]
	v_cvt_f32_u32_e32 v6, v14
	v_cvt_f32_u32_e32 v7, v15
	v_cvt_f32_u32_e32 v8, v16
	v_cvt_f32_u32_e32 v9, v17
	v_cvt_f32_u32_e32 v10, v18
	v_cvt_f32_u32_e32 v11, v19
	v_cvt_f32_u32_e32 v12, v20
	v_cvt_f32_u32_e32 v13, v21
	v_cvt_f32_u32_e32 v14, v22
	v_cvt_f32_u32_e32 v15, v23
	v_cvt_f32_u32_e32 v16, v24
	v_cvt_f32_u32_e32 v17, v25
	v_cvt_f32_u32_e32 v18, v26
	v_cvt_f32_u32_e32 v19, v27
	v_cvt_f32_u32_e32 v20, v28
	v_cvt_f32_u32_e32 v21, v29
.LBB121_12:                             ;   in Loop: Header=BB121_10 Depth=1
	s_clause 0x3
	buffer_load_b128 v[22:25], v2, s[24:27], 0 offen
	buffer_load_b128 v[26:29], v2, s[24:27], 16 offen
	;; [unrolled: 1-line block ×4, first 2 shown]
	s_waitcnt vmcnt(3)
	v_dual_mul_f32 v36, v6, v22 :: v_dual_mul_f32 v37, v7, v23
	v_dual_mul_f32 v30, v8, v24 :: v_dual_mul_f32 v31, v9, v25
	s_waitcnt vmcnt(2)
	v_dual_mul_f32 v32, v10, v26 :: v_dual_mul_f32 v33, v11, v27
	s_delay_alu instid0(VALU_DEP_3) | instskip(SKIP_3) | instid1(VALU_DEP_3)
	v_max3_f32 v22, |v36|, 0x2edbe6ff, |v37|
	v_dual_mul_f32 v34, v12, v28 :: v_dual_mul_f32 v35, v13, v29
	s_waitcnt vmcnt(1)
	v_dual_mul_f32 v26, v14, v38 :: v_dual_mul_f32 v27, v15, v39
	v_max3_f32 v22, v22, |v30|, |v31|
	s_waitcnt vmcnt(0)
	v_dual_mul_f32 v25, v18, v42 :: v_dual_mul_f32 v28, v19, v43
	v_mul_f32_e32 v23, v17, v41
	v_mul_f32_e32 v29, v21, v45
	v_max3_f32 v22, v22, |v32|, |v33|
	s_delay_alu instid0(VALU_DEP_1) | instskip(SKIP_1) | instid1(VALU_DEP_2)
	v_max3_f32 v24, v22, |v34|, |v35|
	v_mul_f32_e32 v22, v16, v40
	v_max3_f32 v24, v24, |v26|, |v27|
	s_delay_alu instid0(VALU_DEP_1) | instskip(SKIP_1) | instid1(VALU_DEP_2)
	v_max3_f32 v38, v24, |v22|, |v23|
	v_mul_f32_e32 v24, v20, v44
	v_max3_f32 v38, v38, |v25|, |v28|
	s_delay_alu instid0(VALU_DEP_1) | instskip(NEXT) | instid1(VALU_DEP_1)
	v_max3_f32 v38, v38, |v24|, |v29|
	v_mov_b32_dpp v39, v38 quad_perm:[1,0,3,2] row_mask:0xf bank_mask:0xf
	s_delay_alu instid0(VALU_DEP_1) | instskip(NEXT) | instid1(VALU_DEP_1)
	v_cmp_gt_f32_e64 s2, v38, v39
	v_cndmask_b32_e64 v38, v39, v38, s2
	s_delay_alu instid0(VALU_DEP_1) | instskip(NEXT) | instid1(VALU_DEP_1)
	v_mov_b32_dpp v39, v38 quad_perm:[2,3,0,1] row_mask:0xf bank_mask:0xf
	v_cmp_gt_f32_e64 s2, v38, v39
	s_delay_alu instid0(VALU_DEP_1) | instskip(NEXT) | instid1(VALU_DEP_1)
	v_cndmask_b32_e64 v38, v39, v38, s2
	v_mov_b32_dpp v39, v38 row_xmask:7 row_mask:0xf bank_mask:0xf
	s_delay_alu instid0(VALU_DEP_1) | instskip(NEXT) | instid1(VALU_DEP_1)
	v_cmp_gt_f32_e64 s2, v38, v39
	v_cndmask_b32_e64 v38, v39, v38, s2
	s_delay_alu instid0(VALU_DEP_1) | instskip(NEXT) | instid1(VALU_DEP_1)
	v_mov_b32_dpp v39, v38 row_xmask:15 row_mask:0xf bank_mask:0xf
	v_cmp_gt_f32_e64 s2, v38, v39
	s_and_saveexec_b32 s20, vcc_lo
	s_cbranch_execz .LBB121_14
; %bb.13:                               ;   in Loop: Header=BB121_10 Depth=1
	s_delay_alu instid0(VALU_DEP_1) | instskip(NEXT) | instid1(VALU_DEP_1)
	v_cndmask_b32_e64 v38, v39, v38, s2
	v_permlanex16_b32 v39, v38, s18, 0xfedcba98 op_sel:[1,1]
	s_delay_alu instid0(VALU_DEP_1) | instskip(NEXT) | instid1(VALU_DEP_1)
	v_cmp_gt_f32_e64 s2, v38, v39
	v_cndmask_b32_e64 v38, v39, v38, s2
	ds_store_b32 v3, v38
.LBB121_14:                             ;   in Loop: Header=BB121_10 Depth=1
	s_or_b32 exec_lo, exec_lo, s20
	s_waitcnt lgkmcnt(0)
	s_waitcnt_vscnt null, 0x0
	s_barrier
	buffer_gl0_inv
	ds_load_b32 v38, v4
	s_mul_i32 s3, s3, s9
	s_waitcnt lgkmcnt(0)
	v_mov_b32_dpp v39, v38 quad_perm:[1,0,3,2] row_mask:0xf bank_mask:0xf
	s_delay_alu instid0(VALU_DEP_1) | instskip(NEXT) | instid1(VALU_DEP_1)
	v_cmp_gt_f32_e64 s2, v38, v39
	v_cndmask_b32_e64 v38, v39, v38, s2
	s_delay_alu instid0(VALU_DEP_1) | instskip(NEXT) | instid1(VALU_DEP_1)
	v_mov_b32_dpp v39, v38 quad_perm:[2,3,0,1] row_mask:0xf bank_mask:0xf
	v_cmp_gt_f32_e64 s2, v38, v39
	s_delay_alu instid0(VALU_DEP_1) | instskip(NEXT) | instid1(VALU_DEP_1)
	v_cndmask_b32_e64 v38, v39, v38, s2
	v_mov_b32_dpp v39, v38 row_xmask:7 row_mask:0xf bank_mask:0xf
	s_delay_alu instid0(VALU_DEP_1) | instskip(NEXT) | instid1(VALU_DEP_1)
	v_cmp_gt_f32_e64 s2, v38, v39
	v_cndmask_b32_e64 v38, v39, v38, s2
	s_mul_i32 s2, s28, s10
	s_delay_alu instid0(SALU_CYCLE_1) | instskip(NEXT) | instid1(VALU_DEP_1)
	s_add_i32 s2, s2, s3
	v_mul_f32_e32 v38, 0x3c010204, v38
	s_and_saveexec_b32 s20, s0
	s_cbranch_execz .LBB121_16
; %bb.15:                               ;   in Loop: Header=BB121_10 Depth=1
	s_ashr_i32 s3, s2, 31
	s_delay_alu instid0(SALU_CYCLE_1) | instskip(NEXT) | instid1(SALU_CYCLE_1)
	s_lshl_b64 s[28:29], s[2:3], 2
	s_add_u32 s28, s14, s28
	s_addc_u32 s29, s15, s29
	global_store_b32 v5, v38, s[28:29]
.LBB121_16:                             ;   in Loop: Header=BB121_10 Depth=1
	s_or_b32 exec_lo, exec_lo, s20
	s_and_saveexec_b32 s3, s1
	s_cbranch_execz .LBB121_9
; %bb.17:                               ;   in Loop: Header=BB121_10 Depth=1
	v_rcp_f32_e32 v38, v38
	s_mul_i32 s20, s2, s11
	s_mul_hi_i32 s2, s2, s11
	s_add_u32 s28, s12, s20
	s_addc_u32 s2, s13, s2
	s_mov_b32 s31, s23
	s_and_b32 s29, s2, 0xffff
	s_waitcnt_depctr 0xfff
	v_mul_f32_e32 v28, v28, v38
	v_mul_f32_e32 v25, v25, v38
	;; [unrolled: 1-line block ×5, first 2 shown]
	v_cvt_i32_f32_e32 v28, v28
	v_cvt_i32_f32_e32 v25, v25
	;; [unrolled: 1-line block ×4, first 2 shown]
	v_mul_f32_e32 v36, v36, v38
	v_mul_f32_e32 v37, v37, v38
	;; [unrolled: 1-line block ×5, first 2 shown]
	v_lshlrev_b16 v28, 8, v28
	v_and_b32_e32 v25, 0xff, v25
	v_lshlrev_b16 v29, 8, v29
	v_and_b32_e32 v24, 0xff, v24
	v_cvt_i32_f32_e32 v36, v36
	v_mul_f32_e32 v35, v35, v38
	v_cvt_i32_f32_e32 v32, v32
	v_mul_f32_e32 v33, v33, v38
	v_cvt_i32_f32_e32 v34, v34
	v_cvt_i32_f32_e32 v26, v26
	v_cvt_i32_f32_e32 v27, v27
	v_mul_f32_e32 v23, v23, v38
	v_mul_f32_e32 v22, v22, v38
	v_or_b32_e32 v25, v25, v28
	v_and_b32_e32 v28, 0xff, v32
	v_mul_f32_e32 v30, v30, v38
	v_or_b32_e32 v24, v24, v29
	v_mul_f32_e32 v31, v31, v38
	v_cvt_i32_f32_e32 v37, v37
	v_cvt_i32_f32_e32 v33, v33
	v_lshlrev_b16 v27, 8, v27
	v_lshlrev_b32_e32 v24, 16, v24
	v_cvt_i32_f32_e32 v31, v31
	v_and_b32_e32 v26, 0xff, v26
	v_cvt_i32_f32_e32 v23, v23
	v_cvt_i32_f32_e32 v22, v22
	v_and_b32_e32 v25, 0xffff, v25
	v_cvt_i32_f32_e32 v30, v30
	v_and_b32_e32 v32, 0xff, v34
	v_and_b32_e32 v34, 0xff, v36
	v_cvt_i32_f32_e32 v35, v35
	v_or_b32_e32 v26, v26, v27
	v_lshlrev_b16 v23, 8, v23
	v_and_b32_e32 v22, 0xff, v22
	v_lshlrev_b16 v27, 8, v33
	v_lshlrev_b16 v29, 8, v35
	;; [unrolled: 1-line block ×4, first 2 shown]
	v_and_b32_e32 v30, 0xff, v30
	v_or_b32_e32 v22, v22, v23
	v_or_b32_e32 v23, v28, v27
	;; [unrolled: 1-line block ×5, first 2 shown]
	v_and_b32_e32 v26, 0xffff, v26
	v_lshlrev_b32_e32 v22, 16, v22
	v_and_b32_e32 v23, 0xffff, v23
	v_lshlrev_b32_e32 v27, 16, v27
	;; [unrolled: 2-line block ×3, first 2 shown]
	v_or_b32_e32 v25, v25, v24
	v_or_b32_e32 v24, v26, v22
	v_or_b32_e32 v23, v23, v27
	s_delay_alu instid0(VALU_DEP_4)
	v_or_b32_e32 v22, v28, v29
	buffer_store_b128 v[22:25], v0, s[28:31], 0 offen
	;;#ASMSTART
	s_nop 0
	;;#ASMEND
	s_branch .LBB121_9
.LBB121_18:
	s_nop 0
	s_sendmsg sendmsg(MSG_DEALLOC_VGPRS)
	s_endpgm
.LBB121_19:
                                        ; implicit-def: $sgpr4
	s_branch .LBB121_2
	.section	.rodata,"a",@progbits
	.p2align	6, 0x0
	.amdhsa_kernel _ZN5aiter36smooth_per_token_scaled_quant_kernelItaLi256ELi16ELb0ELb0ELb0ELi1024EEEvPT0_PfPT_S3_PiS6_iiPKiiiiiiiii
		.amdhsa_group_segment_fixed_size 32
		.amdhsa_private_segment_fixed_size 0
		.amdhsa_kernarg_size 96
		.amdhsa_user_sgpr_count 15
		.amdhsa_user_sgpr_dispatch_ptr 0
		.amdhsa_user_sgpr_queue_ptr 0
		.amdhsa_user_sgpr_kernarg_segment_ptr 1
		.amdhsa_user_sgpr_dispatch_id 0
		.amdhsa_user_sgpr_private_segment_size 0
		.amdhsa_wavefront_size32 1
		.amdhsa_uses_dynamic_stack 0
		.amdhsa_enable_private_segment 0
		.amdhsa_system_sgpr_workgroup_id_x 1
		.amdhsa_system_sgpr_workgroup_id_y 0
		.amdhsa_system_sgpr_workgroup_id_z 0
		.amdhsa_system_sgpr_workgroup_info 0
		.amdhsa_system_vgpr_workitem_id 0
		.amdhsa_next_free_vgpr 46
		.amdhsa_next_free_sgpr 36
		.amdhsa_reserve_vcc 1
		.amdhsa_float_round_mode_32 0
		.amdhsa_float_round_mode_16_64 0
		.amdhsa_float_denorm_mode_32 3
		.amdhsa_float_denorm_mode_16_64 3
		.amdhsa_dx10_clamp 1
		.amdhsa_ieee_mode 1
		.amdhsa_fp16_overflow 0
		.amdhsa_workgroup_processor_mode 1
		.amdhsa_memory_ordered 1
		.amdhsa_forward_progress 0
		.amdhsa_shared_vgpr_count 0
		.amdhsa_exception_fp_ieee_invalid_op 0
		.amdhsa_exception_fp_denorm_src 0
		.amdhsa_exception_fp_ieee_div_zero 0
		.amdhsa_exception_fp_ieee_overflow 0
		.amdhsa_exception_fp_ieee_underflow 0
		.amdhsa_exception_fp_ieee_inexact 0
		.amdhsa_exception_int_div_zero 0
	.end_amdhsa_kernel
	.section	.text._ZN5aiter36smooth_per_token_scaled_quant_kernelItaLi256ELi16ELb0ELb0ELb0ELi1024EEEvPT0_PfPT_S3_PiS6_iiPKiiiiiiiii,"axG",@progbits,_ZN5aiter36smooth_per_token_scaled_quant_kernelItaLi256ELi16ELb0ELb0ELb0ELi1024EEEvPT0_PfPT_S3_PiS6_iiPKiiiiiiiii,comdat
.Lfunc_end121:
	.size	_ZN5aiter36smooth_per_token_scaled_quant_kernelItaLi256ELi16ELb0ELb0ELb0ELi1024EEEvPT0_PfPT_S3_PiS6_iiPKiiiiiiiii, .Lfunc_end121-_ZN5aiter36smooth_per_token_scaled_quant_kernelItaLi256ELi16ELb0ELb0ELb0ELi1024EEEvPT0_PfPT_S3_PiS6_iiPKiiiiiiiii
                                        ; -- End function
	.section	.AMDGPU.csdata,"",@progbits
; Kernel info:
; codeLenInByte = 1884
; NumSgprs: 38
; NumVgprs: 46
; ScratchSize: 0
; MemoryBound: 0
; FloatMode: 240
; IeeeMode: 1
; LDSByteSize: 32 bytes/workgroup (compile time only)
; SGPRBlocks: 4
; VGPRBlocks: 5
; NumSGPRsForWavesPerEU: 38
; NumVGPRsForWavesPerEU: 46
; Occupancy: 16
; WaveLimiterHint : 0
; COMPUTE_PGM_RSRC2:SCRATCH_EN: 0
; COMPUTE_PGM_RSRC2:USER_SGPR: 15
; COMPUTE_PGM_RSRC2:TRAP_HANDLER: 0
; COMPUTE_PGM_RSRC2:TGID_X_EN: 1
; COMPUTE_PGM_RSRC2:TGID_Y_EN: 0
; COMPUTE_PGM_RSRC2:TGID_Z_EN: 0
; COMPUTE_PGM_RSRC2:TIDIG_COMP_CNT: 0
	.section	.text._ZN5aiter36smooth_per_token_scaled_quant_kernelIDF16_aLi512ELi16ELb1ELb1ELb1ELi1024EEEvPT0_PfPT_S3_PiS6_iiPKiiiiiiiii,"axG",@progbits,_ZN5aiter36smooth_per_token_scaled_quant_kernelIDF16_aLi512ELi16ELb1ELb1ELb1ELi1024EEEvPT0_PfPT_S3_PiS6_iiPKiiiiiiiii,comdat
	.protected	_ZN5aiter36smooth_per_token_scaled_quant_kernelIDF16_aLi512ELi16ELb1ELb1ELb1ELi1024EEEvPT0_PfPT_S3_PiS6_iiPKiiiiiiiii ; -- Begin function _ZN5aiter36smooth_per_token_scaled_quant_kernelIDF16_aLi512ELi16ELb1ELb1ELb1ELi1024EEEvPT0_PfPT_S3_PiS6_iiPKiiiiiiiii
	.globl	_ZN5aiter36smooth_per_token_scaled_quant_kernelIDF16_aLi512ELi16ELb1ELb1ELb1ELi1024EEEvPT0_PfPT_S3_PiS6_iiPKiiiiiiiii
	.p2align	8
	.type	_ZN5aiter36smooth_per_token_scaled_quant_kernelIDF16_aLi512ELi16ELb1ELb1ELb1ELi1024EEEvPT0_PfPT_S3_PiS6_iiPKiiiiiiiii,@function
_ZN5aiter36smooth_per_token_scaled_quant_kernelIDF16_aLi512ELi16ELb1ELb1ELb1ELi1024EEEvPT0_PfPT_S3_PiS6_iiPKiiiiiiiii: ; @_ZN5aiter36smooth_per_token_scaled_quant_kernelIDF16_aLi512ELi16ELb1ELb1ELb1ELi1024EEEvPT0_PfPT_S3_PiS6_iiPKiiiiiiiii
; %bb.0:
	s_clause 0x2
	s_load_b64 s[2:3], s[0:1], 0x38
	s_load_b64 s[16:17], s[0:1], 0x28
	s_load_b256 s[4:11], s[0:1], 0x40
	s_waitcnt lgkmcnt(0)
	s_cmp_lg_u64 s[2:3], 0
	s_cbranch_scc0 .LBB122_11
; %bb.1:
	s_load_b32 s2, s[2:3], 0x0
	s_waitcnt lgkmcnt(0)
	s_mul_i32 s4, s2, s4
	s_cbranch_execnz .LBB122_3
.LBB122_2:
	s_mul_i32 s4, s6, s5
.LBB122_3:
	v_lshlrev_b32_e32 v1, 2, v0
	s_lshl_b32 s18, s11, 2
	s_and_b32 s17, s17, 0xffff
	s_mov_b32 s19, -1
	s_load_b64 s[2:3], s[0:1], 0x30
	s_clause 0x1
	buffer_load_b32 v2, v1, s[16:19], 0 offen
	buffer_load_b32 v3, v1, s[16:19], 0 offen offset:2048
	s_abs_i32 s14, s4
                                        ; implicit-def: $sgpr34
	s_waitcnt lgkmcnt(0)
	s_abs_i32 s11, s2
	s_delay_alu instid0(SALU_CYCLE_1) | instskip(SKIP_1) | instid1(VALU_DEP_1)
	v_cvt_f32_u32_e32 v4, s11
	s_sub_i32 s13, 0, s11
	v_rcp_iflag_f32_e32 v4, v4
	s_waitcnt_depctr 0xfff
	v_mul_f32_e32 v4, 0x4f7ffffe, v4
	s_delay_alu instid0(VALU_DEP_1) | instskip(NEXT) | instid1(VALU_DEP_1)
	v_cvt_u32_f32_e32 v4, v4
	v_readfirstlane_b32 s12, v4
	s_delay_alu instid0(VALU_DEP_1) | instskip(NEXT) | instid1(SALU_CYCLE_1)
	s_mul_i32 s13, s13, s12
	s_mul_hi_u32 s13, s12, s13
	s_delay_alu instid0(SALU_CYCLE_1) | instskip(SKIP_4) | instid1(SALU_CYCLE_1)
	s_add_i32 s12, s12, s13
	s_xor_b32 s13, s4, s2
	s_mul_hi_u32 s12, s14, s12
	s_ashr_i32 s13, s13, 31
	s_mul_i32 s16, s12, s11
	s_sub_i32 s14, s14, s16
	s_add_i32 s16, s12, 1
	s_sub_i32 s17, s14, s11
	s_cmp_ge_u32 s14, s11
	s_cselect_b32 s12, s16, s12
	s_cselect_b32 s14, s17, s14
	s_add_i32 s16, s12, 1
	s_cmp_ge_u32 s14, s11
	s_cselect_b32 s11, s16, s12
	s_delay_alu instid0(SALU_CYCLE_1) | instskip(NEXT) | instid1(SALU_CYCLE_1)
	s_xor_b32 s11, s11, s13
	s_sub_i32 s11, s11, s13
	s_delay_alu instid0(SALU_CYCLE_1) | instskip(NEXT) | instid1(SALU_CYCLE_1)
	s_mul_i32 s2, s11, s2
	s_sub_i32 s12, s4, s2
	s_delay_alu instid0(SALU_CYCLE_1)
	s_cmp_lt_u32 s15, s12
	s_cselect_b32 s2, -1, 0
	s_add_i32 s4, s11, 1
	s_cmp_ge_u32 s15, s12
	s_waitcnt vmcnt(0)
	ds_store_2addr_stride64_b32 v1, v2, v3 offset1:8
	s_cbranch_scc0 .LBB122_5
; %bb.4:
	s_sub_i32 s13, s15, s12
	s_mul_i32 s12, s12, s4
	s_mul_i32 s13, s13, s11
	s_mov_b32 s19, 0
	s_add_i32 s34, s13, s12
.LBB122_5:
	s_and_not1_b32 vcc_lo, exec_lo, s19
	s_cbranch_vccnz .LBB122_7
; %bb.6:
	s_mul_i32 s34, s4, s15
.LBB122_7:
	v_cndmask_b32_e64 v1, 0, 1, s2
	s_delay_alu instid0(VALU_DEP_1) | instskip(NEXT) | instid1(VALU_DEP_1)
	v_readfirstlane_b32 s2, v1
	s_add_i32 s4, s11, s2
	s_delay_alu instid0(SALU_CYCLE_1)
	s_cmp_lt_i32 s4, 1
	s_cbranch_scc1 .LBB122_35
; %bb.8:
	s_load_b64 s[12:13], s[0:1], 0x20
	s_ashr_i32 s35, s34, 31
	v_and_b32_e32 v1, 31, v0
	s_lshl_b64 s[14:15], s[34:35], 2
	s_mov_b32 s33, -1
	v_and_b32_e32 v4, 15, v0
	s_mov_b32 s23, s33
	v_cmp_eq_u32_e32 vcc_lo, 31, v1
	v_lshlrev_b32_e32 v16, 5, v0
	v_lshlrev_b32_e32 v17, 6, v0
	v_lshl_or_b32 v19, v4, 2, 0x1000
	v_lshlrev_b32_e32 v21, 4, v0
	s_mov_b32 s42, s3
	s_waitcnt lgkmcnt(0)
	s_add_u32 s20, s12, s14
	s_addc_u32 s2, s13, s15
	s_abs_i32 s11, s6
	s_lshl_b32 s22, s4, 2
	v_cvt_f32_u32_e32 v3, s11
	s_and_b32 s21, s2, 0xffff
	s_load_b256 s[12:19], s[0:1], 0x0
	s_movk_i32 s0, 0x7c
	s_add_i32 s1, s3, 15
	v_rcp_iflag_f32_e32 v3, v3
	v_lshlrev_b32_e32 v22, 2, v1
	v_lshrrev_b32_e32 v1, 3, v0
	s_ashr_i32 s2, s1, 31
	s_lshl_b32 s26, s3, 1
	s_lshr_b32 s2, s2, 28
	s_lshl_b32 s30, s3, 2
	v_and_or_b32 v18, v1, s0, 0x1000
	s_add_i32 s1, s1, s2
	v_cmp_eq_u32_e64 s0, 0, v0
	s_waitcnt_depctr 0xfff
	v_mul_f32_e32 v1, 0x4f7ffffe, v3
	buffer_load_b32 v2, v22, s[20:23], 0 offen
	s_waitcnt vmcnt(0) expcnt(0) lgkmcnt(0)
	s_barrier
	buffer_gl0_inv
	v_cvt_u32_f32_e32 v1, v1
	s_add_i32 s23, s3, 3
	s_ashr_i32 s1, s1, 4
	s_ashr_i32 s2, s23, 31
	v_cmp_gt_u32_e64 s1, s1, v0
	v_readfirstlane_b32 s41, v1
	s_lshr_b32 s2, s2, 30
	s_ashr_i32 s40, s6, 31
	s_add_i32 s23, s23, s2
	s_sub_i32 s2, 0, s11
	s_and_b32 s38, s23, -4
	s_mul_i32 s23, s2, s41
	s_delay_alu instid0(SALU_CYCLE_1) | instskip(NEXT) | instid1(SALU_CYCLE_1)
	s_mul_hi_u32 s23, s41, s23
	s_add_i32 s41, s41, s23
	v_lshlrev_b32_e32 v2, 2, v2
	ds_load_b32 v20, v2
	s_waitcnt lgkmcnt(0)
	v_readlane_b32 s2, v20, 0
	s_delay_alu instid0(VALU_DEP_1)
	s_cmp_lt_i32 s2, 0
	s_cbranch_scc1 .LBB122_12
; %bb.9:
	s_abs_i32 s23, s34
	s_xor_b32 s27, s35, s40
	s_mul_hi_u32 s24, s23, s41
	s_mov_b32 s31, -1
	s_mul_i32 s25, s24, s11
	s_add_i32 s28, s24, 1
	s_sub_i32 s25, s23, s25
	s_delay_alu instid0(SALU_CYCLE_1)
	s_sub_i32 s29, s25, s11
	s_cmp_ge_u32 s25, s11
	s_cselect_b32 s24, s28, s24
	s_cselect_b32 s25, s29, s25
	s_add_i32 s28, s24, 1
	s_cmp_ge_u32 s25, s11
	s_cselect_b32 s24, s28, s24
	s_delay_alu instid0(SALU_CYCLE_1) | instskip(NEXT) | instid1(SALU_CYCLE_1)
	s_xor_b32 s24, s24, s27
	s_sub_i32 s24, s24, s27
	s_delay_alu instid0(SALU_CYCLE_1) | instskip(SKIP_2) | instid1(SALU_CYCLE_1)
	s_mul_i32 s25, s24, s6
	s_mul_i32 s24, s24, s7
	s_sub_i32 s25, s34, s25
	s_mul_i32 s25, s25, s8
	s_delay_alu instid0(SALU_CYCLE_1) | instskip(NEXT) | instid1(SALU_CYCLE_1)
	s_add_i32 s33, s25, s24
	s_cmp_eq_u32 s33, -1
	s_cbranch_scc1 .LBB122_13
; %bb.10:
	s_mul_hi_i32 s25, s33, s42
	s_mul_i32 s24, s33, s42
	s_mov_b32 s27, s31
	s_lshl_b64 s[24:25], s[24:25], 1
	s_delay_alu instid0(SALU_CYCLE_1) | instskip(SKIP_1) | instid1(SALU_CYCLE_1)
	s_add_u32 s24, s16, s24
	s_addc_u32 s25, s17, s25
	s_and_b32 s25, s25, 0xffff
	s_clause 0x1
	buffer_load_b128 v[4:7], v16, s[24:27], 0 offen
	buffer_load_b128 v[12:15], v16, s[24:27], 16 offen
	s_waitcnt vmcnt(1)
	v_cvt_f32_f16_e32 v0, v4
	v_lshrrev_b32_e32 v1, 16, v4
	v_cvt_f32_f16_e32 v2, v5
	v_lshrrev_b32_e32 v3, 16, v5
	;; [unrolled: 2-line block ×4, first 2 shown]
	s_waitcnt vmcnt(0)
	v_cvt_f32_f16_e32 v8, v12
	v_lshrrev_b32_e32 v9, 16, v12
	v_cvt_f32_f16_e32 v10, v13
	v_lshrrev_b32_e32 v11, 16, v13
	;; [unrolled: 2-line block ×4, first 2 shown]
	v_cvt_f32_f16_e32 v1, v1
	v_cvt_f32_f16_e32 v3, v3
	;; [unrolled: 1-line block ×8, first 2 shown]
	s_branch .LBB122_14
.LBB122_11:
                                        ; implicit-def: $sgpr4
	s_branch .LBB122_2
.LBB122_12:
                                        ; implicit-def: $vgpr0_vgpr1_vgpr2_vgpr3_vgpr4_vgpr5_vgpr6_vgpr7_vgpr8_vgpr9_vgpr10_vgpr11_vgpr12_vgpr13_vgpr14_vgpr15
	s_cmp_eq_u32 s4, 1
	s_mov_b32 s35, 1
	s_cbranch_scc0 .LBB122_21
	s_branch .LBB122_35
.LBB122_13:
                                        ; implicit-def: $vgpr0_vgpr1_vgpr2_vgpr3_vgpr4_vgpr5_vgpr6_vgpr7_vgpr8_vgpr9_vgpr10_vgpr11_vgpr12_vgpr13_vgpr14_vgpr15
.LBB122_14:
	s_mul_i32 s24, s2, s3
	s_delay_alu instid0(SALU_CYCLE_1) | instskip(NEXT) | instid1(SALU_CYCLE_1)
	s_ashr_i32 s25, s24, 31
	s_lshl_b64 s[24:25], s[24:25], 2
	s_delay_alu instid0(SALU_CYCLE_1) | instskip(SKIP_1) | instid1(SALU_CYCLE_1)
	s_add_u32 s28, s18, s24
	s_addc_u32 s2, s19, s25
	s_and_b32 s29, s2, 0xffff
	s_clause 0x3
	buffer_load_b128 v[23:26], v17, s[28:31], 0 offen
	buffer_load_b128 v[27:30], v17, s[28:31], 16 offen
	;; [unrolled: 1-line block ×4, first 2 shown]
	s_waitcnt vmcnt(3)
	v_dual_mul_f32 v37, v0, v23 :: v_dual_mul_f32 v38, v1, v24
	v_dual_mul_f32 v31, v2, v25 :: v_dual_mul_f32 v32, v3, v26
	s_waitcnt vmcnt(2)
	v_dual_mul_f32 v33, v4, v27 :: v_dual_mul_f32 v34, v5, v28
	s_delay_alu instid0(VALU_DEP_3) | instskip(SKIP_3) | instid1(VALU_DEP_3)
	v_max3_f32 v23, |v37|, 0x2edbe6ff, |v38|
	v_dual_mul_f32 v35, v6, v29 :: v_dual_mul_f32 v36, v7, v30
	s_waitcnt vmcnt(1)
	v_dual_mul_f32 v28, v8, v39 :: v_dual_mul_f32 v29, v9, v40
	v_max3_f32 v23, v23, |v31|, |v32|
	s_waitcnt vmcnt(0)
	v_mul_f32_e32 v26, v12, v43
	v_dual_mul_f32 v30, v13, v44 :: v_dual_mul_f32 v27, v15, v46
	v_mul_f32_e32 v24, v11, v42
	v_max3_f32 v23, v23, |v33|, |v34|
	s_delay_alu instid0(VALU_DEP_1) | instskip(SKIP_1) | instid1(VALU_DEP_2)
	v_max3_f32 v25, v23, |v35|, |v36|
	v_mul_f32_e32 v23, v10, v41
	v_max3_f32 v25, v25, |v28|, |v29|
	s_delay_alu instid0(VALU_DEP_1) | instskip(SKIP_1) | instid1(VALU_DEP_2)
	v_max3_f32 v39, v25, |v23|, |v24|
	v_mul_f32_e32 v25, v14, v45
	v_max3_f32 v39, v39, |v26|, |v30|
	s_delay_alu instid0(VALU_DEP_1) | instskip(NEXT) | instid1(VALU_DEP_1)
	v_max3_f32 v39, v39, |v25|, |v27|
	v_mov_b32_dpp v40, v39 quad_perm:[1,0,3,2] row_mask:0xf bank_mask:0xf
	s_delay_alu instid0(VALU_DEP_1) | instskip(NEXT) | instid1(VALU_DEP_1)
	v_cmp_gt_f32_e64 s2, v39, v40
	v_cndmask_b32_e64 v39, v40, v39, s2
	s_delay_alu instid0(VALU_DEP_1) | instskip(NEXT) | instid1(VALU_DEP_1)
	v_mov_b32_dpp v40, v39 quad_perm:[2,3,0,1] row_mask:0xf bank_mask:0xf
	v_cmp_gt_f32_e64 s2, v39, v40
	s_delay_alu instid0(VALU_DEP_1) | instskip(NEXT) | instid1(VALU_DEP_1)
	v_cndmask_b32_e64 v39, v40, v39, s2
	v_mov_b32_dpp v40, v39 row_xmask:7 row_mask:0xf bank_mask:0xf
	s_delay_alu instid0(VALU_DEP_1) | instskip(NEXT) | instid1(VALU_DEP_1)
	v_cmp_gt_f32_e64 s2, v39, v40
	v_cndmask_b32_e64 v39, v40, v39, s2
	s_delay_alu instid0(VALU_DEP_1) | instskip(NEXT) | instid1(VALU_DEP_1)
	v_mov_b32_dpp v40, v39 row_xmask:15 row_mask:0xf bank_mask:0xf
	v_cmp_gt_f32_e64 s2, v39, v40
	s_and_saveexec_b32 s24, vcc_lo
	s_cbranch_execz .LBB122_16
; %bb.15:
	s_delay_alu instid0(VALU_DEP_1)
	v_cndmask_b32_e64 v39, v40, v39, s2
	s_mov_b32 s2, 0x76543210
	s_delay_alu instid0(VALU_DEP_1) | instid1(SALU_CYCLE_1)
	v_permlanex16_b32 v40, v39, s2, 0xfedcba98 op_sel:[1,1]
	s_delay_alu instid0(VALU_DEP_1) | instskip(NEXT) | instid1(VALU_DEP_1)
	v_cmp_gt_f32_e64 s2, v39, v40
	v_cndmask_b32_e64 v39, v40, v39, s2
	ds_store_b32 v18, v39
.LBB122_16:
	s_or_b32 exec_lo, exec_lo, s24
	s_waitcnt lgkmcnt(0)
	s_barrier
	buffer_gl0_inv
	ds_load_b32 v39, v19
	s_abs_i32 s24, s5
	s_delay_alu instid0(SALU_CYCLE_1) | instskip(NEXT) | instid1(VALU_DEP_1)
	v_cvt_f32_u32_e32 v40, s24
	v_rcp_iflag_f32_e32 v40, v40
	s_waitcnt_depctr 0xfff
	v_mul_f32_e32 v40, 0x4f7ffffe, v40
	s_waitcnt lgkmcnt(0)
	v_mov_b32_dpp v41, v39 quad_perm:[1,0,3,2] row_mask:0xf bank_mask:0xf
	s_delay_alu instid0(VALU_DEP_2) | instskip(NEXT) | instid1(VALU_DEP_2)
	v_cvt_u32_f32_e32 v40, v40
	v_cmp_gt_f32_e64 s2, v39, v41
	s_delay_alu instid0(VALU_DEP_2) | instskip(NEXT) | instid1(VALU_DEP_2)
	v_readfirstlane_b32 s25, v40
	v_cndmask_b32_e64 v39, v41, v39, s2
	s_sub_i32 s2, 0, s24
	s_delay_alu instid0(VALU_DEP_2) | instid1(SALU_CYCLE_1)
	s_mul_i32 s2, s2, s25
	s_delay_alu instid0(VALU_DEP_1) | instskip(SKIP_1) | instid1(SALU_CYCLE_1)
	v_mov_b32_dpp v40, v39 quad_perm:[2,3,0,1] row_mask:0xf bank_mask:0xf
	s_mul_hi_u32 s27, s25, s2
	s_add_i32 s25, s25, s27
	s_delay_alu instid0(VALU_DEP_1) | instskip(SKIP_1) | instid1(SALU_CYCLE_1)
	v_cmp_gt_f32_e64 s2, v39, v40
	s_mul_hi_u32 s25, s23, s25
	s_mul_i32 s27, s25, s24
	s_delay_alu instid0(VALU_DEP_1)
	v_cndmask_b32_e64 v39, v40, v39, s2
	s_ashr_i32 s2, s5, 31
	s_sub_i32 s23, s23, s27
	s_xor_b32 s28, s35, s2
	s_add_i32 s27, s25, 1
	v_mov_b32_dpp v40, v39 row_xmask:7 row_mask:0xf bank_mask:0xf
	s_sub_i32 s29, s23, s24
	s_cmp_ge_u32 s23, s24
	s_cselect_b32 s23, s29, s23
	s_delay_alu instid0(VALU_DEP_1) | instskip(NEXT) | instid1(VALU_DEP_1)
	v_cmp_gt_f32_e64 s2, v39, v40
	v_cndmask_b32_e64 v39, v40, v39, s2
	s_cselect_b32 s2, s27, s25
	s_delay_alu instid0(SALU_CYCLE_1) | instskip(SKIP_1) | instid1(VALU_DEP_1)
	s_add_i32 s25, s2, 1
	s_cmp_ge_u32 s23, s24
	v_mov_b32_dpp v40, v39 row_xmask:15 row_mask:0xf bank_mask:0xf
	s_cselect_b32 s2, s25, s2
	s_delay_alu instid0(SALU_CYCLE_1) | instskip(NEXT) | instid1(VALU_DEP_1)
	s_xor_b32 s23, s2, s28
	v_cmp_gt_f32_e64 s2, v39, v40
	s_delay_alu instid0(VALU_DEP_1) | instskip(SKIP_1) | instid1(SALU_CYCLE_1)
	v_cndmask_b32_e64 v39, v40, v39, s2
	s_sub_i32 s2, s23, s28
	s_mul_i32 s23, s2, s5
	s_mul_i32 s2, s2, s9
	s_sub_i32 s23, s34, s23
	v_mul_f32_e32 v39, 0x3c010204, v39
	s_mul_i32 s23, s23, s10
	s_delay_alu instid0(SALU_CYCLE_1)
	s_add_i32 s24, s23, s2
	s_and_saveexec_b32 s2, s0
	s_cbranch_execz .LBB122_18
; %bb.17:
	s_ashr_i32 s25, s24, 31
	v_mov_b32_e32 v40, 0
	s_lshl_b64 s[28:29], s[24:25], 2
	s_delay_alu instid0(SALU_CYCLE_1)
	s_add_u32 s28, s14, s28
	s_addc_u32 s29, s15, s29
	global_store_b32 v40, v39, s[28:29]
.LBB122_18:
	s_or_b32 exec_lo, exec_lo, s2
	s_and_saveexec_b32 s2, s1
	s_cbranch_execz .LBB122_20
; %bb.19:
	v_rcp_f32_e32 v39, v39
	s_mul_i32 s23, s24, s42
	s_mul_hi_i32 s24, s24, s42
	s_add_u32 s36, s12, s23
	s_addc_u32 s23, s13, s24
	s_mov_b32 s39, -1
	s_and_b32 s37, s23, 0xffff
	s_waitcnt_depctr 0xfff
	v_mul_f32_e32 v30, v30, v39
	v_mul_f32_e32 v26, v26, v39
	v_mul_f32_e32 v28, v28, v39
	v_mul_f32_e32 v29, v29, v39
	v_mul_f32_e32 v27, v27, v39
	v_cvt_i32_f32_e32 v30, v30
	v_cvt_i32_f32_e32 v26, v26
	v_mul_f32_e32 v37, v37, v39
	v_mul_f32_e32 v25, v25, v39
	v_cvt_i32_f32_e32 v28, v28
	v_lshlrev_b16 v30, 8, v30
	v_and_b32_e32 v26, 0xff, v26
	v_cvt_i32_f32_e32 v27, v27
	v_cvt_i32_f32_e32 v25, v25
	;; [unrolled: 1-line block ×3, first 2 shown]
	v_mul_f32_e32 v38, v38, v39
	v_or_b32_e32 v26, v26, v30
	v_mul_f32_e32 v33, v33, v39
	v_dual_mul_f32 v31, v31, v39 :: v_dual_and_b32 v28, 0xff, v28
	v_lshlrev_b16 v27, 8, v27
	v_and_b32_e32 v25, 0xff, v25
	v_lshlrev_b16 v29, 8, v29
	v_mul_f32_e32 v24, v24, v39
	v_dual_mul_f32 v23, v23, v39 :: v_dual_and_b32 v26, 0xffff, v26
	v_cvt_i32_f32_e32 v33, v33
	v_mul_f32_e32 v34, v34, v39
	v_or_b32_e32 v25, v25, v27
	v_or_b32_e32 v27, v28, v29
	v_cvt_i32_f32_e32 v24, v24
	v_and_b32_e32 v29, 0xff, v33
	v_cvt_i32_f32_e32 v34, v34
	v_cvt_i32_f32_e32 v23, v23
	v_dual_mul_f32 v32, v32, v39 :: v_dual_lshlrev_b32 v25, 16, v25
	v_lshlrev_b16 v24, 8, v24
	s_delay_alu instid0(VALU_DEP_4) | instskip(NEXT) | instid1(VALU_DEP_4)
	v_lshlrev_b16 v28, 8, v34
	v_and_b32_e32 v23, 0xff, v23
	v_cvt_i32_f32_e32 v37, v37
	v_mul_f32_e32 v36, v36, v39
	v_cvt_i32_f32_e32 v38, v38
	v_cvt_i32_f32_e32 v31, v31
	v_or_b32_e32 v23, v23, v24
	v_or_b32_e32 v24, v29, v28
	v_mul_f32_e32 v35, v35, v39
	v_cvt_i32_f32_e32 v32, v32
	v_lshlrev_b16 v34, 8, v38
	v_and_b32_e32 v31, 0xff, v31
	v_and_b32_e32 v24, 0xffff, v24
	v_cvt_i32_f32_e32 v35, v35
	v_lshlrev_b16 v32, 8, v32
	v_and_b32_e32 v27, 0xffff, v27
	v_lshlrev_b32_e32 v23, 16, v23
	v_or_b32_e32 v26, v26, v25
	v_and_b32_e32 v33, 0xff, v35
	v_and_b32_e32 v35, 0xff, v37
	v_cvt_i32_f32_e32 v36, v36
	v_or_b32_e32 v25, v27, v23
	s_delay_alu instid0(VALU_DEP_3) | instskip(NEXT) | instid1(VALU_DEP_3)
	v_or_b32_e32 v29, v35, v34
	v_lshlrev_b16 v30, 8, v36
	s_delay_alu instid0(VALU_DEP_2) | instskip(NEXT) | instid1(VALU_DEP_2)
	v_and_b32_e32 v29, 0xffff, v29
	v_or_b32_e32 v28, v33, v30
	v_or_b32_e32 v30, v31, v32
	s_delay_alu instid0(VALU_DEP_2) | instskip(NEXT) | instid1(VALU_DEP_2)
	v_lshlrev_b32_e32 v28, 16, v28
	v_lshlrev_b32_e32 v30, 16, v30
	s_delay_alu instid0(VALU_DEP_2) | instskip(NEXT) | instid1(VALU_DEP_2)
	v_or_b32_e32 v24, v24, v28
	v_or_b32_e32 v23, v29, v30
	buffer_store_b128 v[23:26], v21, s[36:39], 0 offen
	;;#ASMSTART
	s_nop 0
	;;#ASMEND
.LBB122_20:
	s_or_b32 exec_lo, exec_lo, s2
	s_cmp_eq_u32 s4, 1
	s_mov_b32 s35, 1
	s_cbranch_scc1 .LBB122_35
.LBB122_21:
	s_abs_i32 s43, s5
	s_ashr_i32 s44, s5, 31
	v_cvt_f32_u32_e32 v23, s43
	s_sub_i32 s23, 0, s43
	s_mov_b32 s31, -1
	s_mov_b32 s46, 0x76543210
	v_add_nc_u32_e32 v22, 4, v22
	v_rcp_iflag_f32_e32 v23, v23
	s_waitcnt_depctr 0xfff
	v_mul_f32_e32 v23, 0x4f7ffffe, v23
	s_delay_alu instid0(VALU_DEP_1) | instskip(NEXT) | instid1(VALU_DEP_1)
	v_cvt_u32_f32_e32 v23, v23
	v_readfirstlane_b32 s2, v23
	v_mov_b32_e32 v23, 0
	s_delay_alu instid0(VALU_DEP_2) | instskip(NEXT) | instid1(SALU_CYCLE_1)
	s_mul_i32 s23, s23, s2
	s_mul_hi_u32 s23, s2, s23
	s_delay_alu instid0(SALU_CYCLE_1)
	s_add_i32 s45, s2, s23
	s_branch .LBB122_24
.LBB122_22:                             ;   in Loop: Header=BB122_24 Depth=1
	s_or_b32 exec_lo, exec_lo, s2
.LBB122_23:                             ;   in Loop: Header=BB122_24 Depth=1
	v_add_nc_u32_e32 v22, 4, v22
	s_add_i32 s35, s35, 1
	s_delay_alu instid0(SALU_CYCLE_1)
	s_cmp_eq_u32 s4, s35
	s_cbranch_scc1 .LBB122_35
.LBB122_24:                             ; =>This Inner Loop Header: Depth=1
	s_and_b32 s2, s35, 31
	s_delay_alu instid0(SALU_CYCLE_1)
	s_cmp_lg_u32 s2, 0
	s_cbranch_scc1 .LBB122_26
; %bb.25:                               ;   in Loop: Header=BB122_24 Depth=1
	s_mov_b32 s23, s31
	buffer_load_b32 v20, v22, s[20:23], 0 offen
	s_waitcnt vmcnt(0) expcnt(0) lgkmcnt(55)
	v_lshlrev_b32_e32 v20, 2, v20
	ds_load_b32 v20, v20
.LBB122_26:                             ;   in Loop: Header=BB122_24 Depth=1
	s_waitcnt lgkmcnt(0)
	v_readlane_b32 s2, v20, s2
	s_delay_alu instid0(VALU_DEP_1)
	s_cmp_lt_i32 s2, 0
	s_cbranch_scc1 .LBB122_23
; %bb.27:                               ;   in Loop: Header=BB122_24 Depth=1
	s_add_i32 s23, s34, s35
	s_delay_alu instid0(SALU_CYCLE_1)
	s_abs_i32 s36, s23
	s_ashr_i32 s37, s23, 31
	s_mul_hi_u32 s24, s36, s41
	s_xor_b32 s27, s37, s40
	s_mul_i32 s25, s24, s11
	s_add_i32 s28, s24, 1
	s_sub_i32 s25, s36, s25
	s_delay_alu instid0(SALU_CYCLE_1)
	s_sub_i32 s29, s25, s11
	s_cmp_ge_u32 s25, s11
	s_cselect_b32 s24, s28, s24
	s_cselect_b32 s25, s29, s25
	s_add_i32 s28, s24, 1
	s_cmp_ge_u32 s25, s11
	s_cselect_b32 s24, s28, s24
	s_delay_alu instid0(SALU_CYCLE_1) | instskip(NEXT) | instid1(SALU_CYCLE_1)
	s_xor_b32 s24, s24, s27
	s_sub_i32 s24, s24, s27
	s_delay_alu instid0(SALU_CYCLE_1) | instskip(SKIP_2) | instid1(SALU_CYCLE_1)
	s_mul_i32 s25, s24, s6
	s_mul_i32 s24, s24, s7
	s_sub_i32 s25, s23, s25
	s_mul_i32 s28, s25, s8
	s_delay_alu instid0(SALU_CYCLE_1) | instskip(NEXT) | instid1(SALU_CYCLE_1)
	s_add_i32 s28, s28, s24
	s_cmp_eq_u32 s28, s33
	s_cbranch_scc1 .LBB122_29
; %bb.28:                               ;   in Loop: Header=BB122_24 Depth=1
	s_mul_hi_i32 s25, s28, s42
	s_mul_i32 s24, s28, s42
	s_mov_b32 s27, s31
	s_lshl_b64 s[24:25], s[24:25], 1
	s_mov_b32 s33, s28
	s_add_u32 s24, s16, s24
	s_addc_u32 s25, s17, s25
	s_delay_alu instid0(SALU_CYCLE_1)
	s_and_b32 s25, s25, 0xffff
	s_clause 0x1
	buffer_load_b128 v[4:7], v16, s[24:27], 0 offen
	buffer_load_b128 v[12:15], v16, s[24:27], 16 offen
	s_waitcnt vmcnt(1)
	v_cvt_f32_f16_e32 v0, v4
	v_lshrrev_b32_e32 v1, 16, v4
	v_cvt_f32_f16_e32 v2, v5
	v_lshrrev_b32_e32 v3, 16, v5
	;; [unrolled: 2-line block ×4, first 2 shown]
	s_waitcnt vmcnt(0)
	v_cvt_f32_f16_e32 v8, v12
	v_lshrrev_b32_e32 v9, 16, v12
	v_cvt_f32_f16_e32 v10, v13
	v_lshrrev_b32_e32 v11, 16, v13
	;; [unrolled: 2-line block ×4, first 2 shown]
	v_cvt_f32_f16_e32 v1, v1
	v_cvt_f32_f16_e32 v3, v3
	;; [unrolled: 1-line block ×8, first 2 shown]
.LBB122_29:                             ;   in Loop: Header=BB122_24 Depth=1
	s_mul_i32 s24, s2, s3
	s_delay_alu instid0(SALU_CYCLE_1) | instskip(NEXT) | instid1(SALU_CYCLE_1)
	s_ashr_i32 s25, s24, 31
	s_lshl_b64 s[24:25], s[24:25], 2
	s_delay_alu instid0(SALU_CYCLE_1) | instskip(SKIP_1) | instid1(SALU_CYCLE_1)
	s_add_u32 s28, s18, s24
	s_addc_u32 s2, s19, s25
	s_and_b32 s29, s2, 0xffff
	s_clause 0x3
	buffer_load_b128 v[24:27], v17, s[28:31], 0 offen
	buffer_load_b128 v[28:31], v17, s[28:31], 16 offen
	;; [unrolled: 1-line block ×4, first 2 shown]
	s_waitcnt vmcnt(3)
	v_dual_mul_f32 v38, v0, v24 :: v_dual_mul_f32 v39, v1, v25
	v_dual_mul_f32 v32, v2, v26 :: v_dual_mul_f32 v33, v3, v27
	s_waitcnt vmcnt(2)
	v_dual_mul_f32 v34, v4, v28 :: v_dual_mul_f32 v35, v5, v29
	s_delay_alu instid0(VALU_DEP_3) | instskip(SKIP_3) | instid1(VALU_DEP_3)
	v_max3_f32 v24, |v38|, 0x2edbe6ff, |v39|
	v_dual_mul_f32 v36, v6, v30 :: v_dual_mul_f32 v37, v7, v31
	s_waitcnt vmcnt(1)
	v_dual_mul_f32 v29, v8, v40 :: v_dual_mul_f32 v30, v9, v41
	v_max3_f32 v24, v24, |v32|, |v33|
	s_waitcnt vmcnt(0)
	v_mul_f32_e32 v27, v12, v44
	v_dual_mul_f32 v31, v13, v45 :: v_dual_mul_f32 v28, v15, v47
	v_mul_f32_e32 v25, v11, v43
	v_max3_f32 v24, v24, |v34|, |v35|
	s_delay_alu instid0(VALU_DEP_1) | instskip(SKIP_1) | instid1(VALU_DEP_2)
	v_max3_f32 v26, v24, |v36|, |v37|
	v_mul_f32_e32 v24, v10, v42
	v_max3_f32 v26, v26, |v29|, |v30|
	s_delay_alu instid0(VALU_DEP_1) | instskip(SKIP_1) | instid1(VALU_DEP_2)
	v_max3_f32 v40, v26, |v24|, |v25|
	v_mul_f32_e32 v26, v14, v46
	v_max3_f32 v40, v40, |v27|, |v31|
	s_delay_alu instid0(VALU_DEP_1) | instskip(NEXT) | instid1(VALU_DEP_1)
	v_max3_f32 v40, v40, |v26|, |v28|
	v_mov_b32_dpp v41, v40 quad_perm:[1,0,3,2] row_mask:0xf bank_mask:0xf
	s_delay_alu instid0(VALU_DEP_1) | instskip(NEXT) | instid1(VALU_DEP_1)
	v_cmp_gt_f32_e64 s2, v40, v41
	v_cndmask_b32_e64 v40, v41, v40, s2
	s_delay_alu instid0(VALU_DEP_1) | instskip(NEXT) | instid1(VALU_DEP_1)
	v_mov_b32_dpp v41, v40 quad_perm:[2,3,0,1] row_mask:0xf bank_mask:0xf
	v_cmp_gt_f32_e64 s2, v40, v41
	s_delay_alu instid0(VALU_DEP_1) | instskip(NEXT) | instid1(VALU_DEP_1)
	v_cndmask_b32_e64 v40, v41, v40, s2
	v_mov_b32_dpp v41, v40 row_xmask:7 row_mask:0xf bank_mask:0xf
	s_delay_alu instid0(VALU_DEP_1) | instskip(NEXT) | instid1(VALU_DEP_1)
	v_cmp_gt_f32_e64 s2, v40, v41
	v_cndmask_b32_e64 v40, v41, v40, s2
	s_delay_alu instid0(VALU_DEP_1) | instskip(NEXT) | instid1(VALU_DEP_1)
	v_mov_b32_dpp v41, v40 row_xmask:15 row_mask:0xf bank_mask:0xf
	v_cmp_gt_f32_e64 s2, v40, v41
	s_and_saveexec_b32 s24, vcc_lo
	s_cbranch_execz .LBB122_31
; %bb.30:                               ;   in Loop: Header=BB122_24 Depth=1
	s_delay_alu instid0(VALU_DEP_1) | instskip(NEXT) | instid1(VALU_DEP_1)
	v_cndmask_b32_e64 v40, v41, v40, s2
	v_permlanex16_b32 v41, v40, s46, 0xfedcba98 op_sel:[1,1]
	s_delay_alu instid0(VALU_DEP_1) | instskip(NEXT) | instid1(VALU_DEP_1)
	v_cmp_gt_f32_e64 s2, v40, v41
	v_cndmask_b32_e64 v40, v41, v40, s2
	ds_store_b32 v18, v40
.LBB122_31:                             ;   in Loop: Header=BB122_24 Depth=1
	s_or_b32 exec_lo, exec_lo, s24
	s_waitcnt lgkmcnt(0)
	s_waitcnt_vscnt null, 0x0
	s_barrier
	buffer_gl0_inv
	ds_load_b32 v40, v19
	s_mul_hi_u32 s24, s36, s45
	s_xor_b32 s27, s37, s44
	s_mul_i32 s25, s24, s43
	s_waitcnt lgkmcnt(0)
	v_mov_b32_dpp v41, v40 quad_perm:[1,0,3,2] row_mask:0xf bank_mask:0xf
	s_delay_alu instid0(VALU_DEP_1) | instskip(NEXT) | instid1(VALU_DEP_1)
	v_cmp_gt_f32_e64 s2, v40, v41
	v_cndmask_b32_e64 v40, v41, v40, s2
	s_delay_alu instid0(VALU_DEP_1) | instskip(NEXT) | instid1(VALU_DEP_1)
	v_mov_b32_dpp v41, v40 quad_perm:[2,3,0,1] row_mask:0xf bank_mask:0xf
	v_cmp_gt_f32_e64 s2, v40, v41
	s_delay_alu instid0(VALU_DEP_1)
	v_cndmask_b32_e64 v40, v41, v40, s2
	s_sub_i32 s2, s36, s25
	s_add_i32 s25, s24, 1
	s_sub_i32 s28, s2, s43
	s_cmp_ge_u32 s2, s43
	v_mov_b32_dpp v41, v40 row_xmask:7 row_mask:0xf bank_mask:0xf
	s_cselect_b32 s24, s25, s24
	s_cselect_b32 s25, s28, s2
	s_delay_alu instid0(VALU_DEP_1) | instskip(NEXT) | instid1(VALU_DEP_1)
	v_cmp_gt_f32_e64 s2, v40, v41
	v_cndmask_b32_e64 v40, v41, v40, s2
	s_add_i32 s2, s24, 1
	s_cmp_ge_u32 s25, s43
	s_cselect_b32 s2, s2, s24
	s_delay_alu instid0(VALU_DEP_1) | instskip(SKIP_1) | instid1(SALU_CYCLE_1)
	v_mov_b32_dpp v41, v40 row_xmask:15 row_mask:0xf bank_mask:0xf
	s_xor_b32 s2, s2, s27
	s_sub_i32 s24, s2, s27
	s_delay_alu instid0(VALU_DEP_1) | instskip(NEXT) | instid1(VALU_DEP_1)
	v_cmp_gt_f32_e64 s2, v40, v41
	v_cndmask_b32_e64 v40, v41, v40, s2
	s_mul_i32 s2, s24, s5
	s_mul_i32 s24, s24, s9
	s_sub_i32 s2, s23, s2
	s_delay_alu instid0(VALU_DEP_1) | instskip(SKIP_1) | instid1(SALU_CYCLE_1)
	v_mul_f32_e32 v40, 0x3c010204, v40
	s_mul_i32 s2, s2, s10
	s_add_i32 s24, s2, s24
	s_and_saveexec_b32 s2, s0
	s_cbranch_execz .LBB122_33
; %bb.32:                               ;   in Loop: Header=BB122_24 Depth=1
	s_ashr_i32 s25, s24, 31
	s_delay_alu instid0(SALU_CYCLE_1) | instskip(NEXT) | instid1(SALU_CYCLE_1)
	s_lshl_b64 s[28:29], s[24:25], 2
	s_add_u32 s28, s14, s28
	s_addc_u32 s29, s15, s29
	global_store_b32 v23, v40, s[28:29]
.LBB122_33:                             ;   in Loop: Header=BB122_24 Depth=1
	s_or_b32 exec_lo, exec_lo, s2
	s_and_saveexec_b32 s2, s1
	s_cbranch_execz .LBB122_22
; %bb.34:                               ;   in Loop: Header=BB122_24 Depth=1
	v_rcp_f32_e32 v40, v40
	s_mul_i32 s23, s24, s42
	s_mul_hi_i32 s24, s24, s42
	s_add_u32 s36, s12, s23
	s_addc_u32 s23, s13, s24
	s_mov_b32 s39, s31
	s_and_b32 s37, s23, 0xffff
	s_waitcnt_depctr 0xfff
	v_mul_f32_e32 v31, v31, v40
	v_mul_f32_e32 v27, v27, v40
	;; [unrolled: 1-line block ×5, first 2 shown]
	v_cvt_i32_f32_e32 v31, v31
	v_cvt_i32_f32_e32 v27, v27
	v_mul_f32_e32 v38, v38, v40
	v_mul_f32_e32 v26, v26, v40
	v_cvt_i32_f32_e32 v29, v29
	v_lshlrev_b16 v31, 8, v31
	v_and_b32_e32 v27, 0xff, v27
	v_cvt_i32_f32_e32 v28, v28
	v_cvt_i32_f32_e32 v26, v26
	;; [unrolled: 1-line block ×3, first 2 shown]
	v_mul_f32_e32 v39, v39, v40
	v_or_b32_e32 v27, v27, v31
	v_mul_f32_e32 v34, v34, v40
	v_dual_mul_f32 v32, v32, v40 :: v_dual_and_b32 v29, 0xff, v29
	v_lshlrev_b16 v28, 8, v28
	v_and_b32_e32 v26, 0xff, v26
	v_lshlrev_b16 v30, 8, v30
	v_mul_f32_e32 v25, v25, v40
	v_dual_mul_f32 v24, v24, v40 :: v_dual_and_b32 v27, 0xffff, v27
	v_cvt_i32_f32_e32 v34, v34
	v_mul_f32_e32 v35, v35, v40
	v_or_b32_e32 v26, v26, v28
	v_or_b32_e32 v28, v29, v30
	v_cvt_i32_f32_e32 v25, v25
	v_and_b32_e32 v30, 0xff, v34
	v_cvt_i32_f32_e32 v35, v35
	v_cvt_i32_f32_e32 v24, v24
	v_dual_mul_f32 v33, v33, v40 :: v_dual_lshlrev_b32 v26, 16, v26
	v_lshlrev_b16 v25, 8, v25
	s_delay_alu instid0(VALU_DEP_4) | instskip(NEXT) | instid1(VALU_DEP_4)
	v_lshlrev_b16 v29, 8, v35
	v_and_b32_e32 v24, 0xff, v24
	v_cvt_i32_f32_e32 v38, v38
	v_mul_f32_e32 v37, v37, v40
	v_cvt_i32_f32_e32 v39, v39
	v_cvt_i32_f32_e32 v32, v32
	v_or_b32_e32 v24, v24, v25
	v_or_b32_e32 v25, v30, v29
	v_mul_f32_e32 v36, v36, v40
	v_cvt_i32_f32_e32 v33, v33
	v_lshlrev_b16 v35, 8, v39
	v_and_b32_e32 v32, 0xff, v32
	v_and_b32_e32 v25, 0xffff, v25
	v_cvt_i32_f32_e32 v36, v36
	v_lshlrev_b16 v33, 8, v33
	v_and_b32_e32 v28, 0xffff, v28
	v_lshlrev_b32_e32 v24, 16, v24
	v_or_b32_e32 v27, v27, v26
	v_and_b32_e32 v34, 0xff, v36
	v_and_b32_e32 v36, 0xff, v38
	v_cvt_i32_f32_e32 v37, v37
	v_or_b32_e32 v26, v28, v24
	s_delay_alu instid0(VALU_DEP_3) | instskip(NEXT) | instid1(VALU_DEP_3)
	v_or_b32_e32 v30, v36, v35
	v_lshlrev_b16 v31, 8, v37
	s_delay_alu instid0(VALU_DEP_2) | instskip(NEXT) | instid1(VALU_DEP_2)
	v_and_b32_e32 v30, 0xffff, v30
	v_or_b32_e32 v29, v34, v31
	v_or_b32_e32 v31, v32, v33
	s_delay_alu instid0(VALU_DEP_2) | instskip(NEXT) | instid1(VALU_DEP_2)
	v_lshlrev_b32_e32 v29, 16, v29
	v_lshlrev_b32_e32 v31, 16, v31
	s_delay_alu instid0(VALU_DEP_2) | instskip(NEXT) | instid1(VALU_DEP_2)
	v_or_b32_e32 v25, v25, v29
	v_or_b32_e32 v24, v30, v31
	buffer_store_b128 v[24:27], v21, s[36:39], 0 offen
	;;#ASMSTART
	s_nop 0
	;;#ASMEND
	s_branch .LBB122_22
.LBB122_35:
	s_nop 0
	s_sendmsg sendmsg(MSG_DEALLOC_VGPRS)
	s_endpgm
	.section	.rodata,"a",@progbits
	.p2align	6, 0x0
	.amdhsa_kernel _ZN5aiter36smooth_per_token_scaled_quant_kernelIDF16_aLi512ELi16ELb1ELb1ELb1ELi1024EEEvPT0_PfPT_S3_PiS6_iiPKiiiiiiiii
		.amdhsa_group_segment_fixed_size 4160
		.amdhsa_private_segment_fixed_size 0
		.amdhsa_kernarg_size 96
		.amdhsa_user_sgpr_count 15
		.amdhsa_user_sgpr_dispatch_ptr 0
		.amdhsa_user_sgpr_queue_ptr 0
		.amdhsa_user_sgpr_kernarg_segment_ptr 1
		.amdhsa_user_sgpr_dispatch_id 0
		.amdhsa_user_sgpr_private_segment_size 0
		.amdhsa_wavefront_size32 1
		.amdhsa_uses_dynamic_stack 0
		.amdhsa_enable_private_segment 0
		.amdhsa_system_sgpr_workgroup_id_x 1
		.amdhsa_system_sgpr_workgroup_id_y 0
		.amdhsa_system_sgpr_workgroup_id_z 0
		.amdhsa_system_sgpr_workgroup_info 0
		.amdhsa_system_vgpr_workitem_id 0
		.amdhsa_next_free_vgpr 48
		.amdhsa_next_free_sgpr 47
		.amdhsa_reserve_vcc 1
		.amdhsa_float_round_mode_32 0
		.amdhsa_float_round_mode_16_64 0
		.amdhsa_float_denorm_mode_32 3
		.amdhsa_float_denorm_mode_16_64 3
		.amdhsa_dx10_clamp 1
		.amdhsa_ieee_mode 1
		.amdhsa_fp16_overflow 0
		.amdhsa_workgroup_processor_mode 1
		.amdhsa_memory_ordered 1
		.amdhsa_forward_progress 0
		.amdhsa_shared_vgpr_count 0
		.amdhsa_exception_fp_ieee_invalid_op 0
		.amdhsa_exception_fp_denorm_src 0
		.amdhsa_exception_fp_ieee_div_zero 0
		.amdhsa_exception_fp_ieee_overflow 0
		.amdhsa_exception_fp_ieee_underflow 0
		.amdhsa_exception_fp_ieee_inexact 0
		.amdhsa_exception_int_div_zero 0
	.end_amdhsa_kernel
	.section	.text._ZN5aiter36smooth_per_token_scaled_quant_kernelIDF16_aLi512ELi16ELb1ELb1ELb1ELi1024EEEvPT0_PfPT_S3_PiS6_iiPKiiiiiiiii,"axG",@progbits,_ZN5aiter36smooth_per_token_scaled_quant_kernelIDF16_aLi512ELi16ELb1ELb1ELb1ELi1024EEEvPT0_PfPT_S3_PiS6_iiPKiiiiiiiii,comdat
.Lfunc_end122:
	.size	_ZN5aiter36smooth_per_token_scaled_quant_kernelIDF16_aLi512ELi16ELb1ELb1ELb1ELi1024EEEvPT0_PfPT_S3_PiS6_iiPKiiiiiiiii, .Lfunc_end122-_ZN5aiter36smooth_per_token_scaled_quant_kernelIDF16_aLi512ELi16ELb1ELb1ELb1ELi1024EEEvPT0_PfPT_S3_PiS6_iiPKiiiiiiiii
                                        ; -- End function
	.section	.AMDGPU.csdata,"",@progbits
; Kernel info:
; codeLenInByte = 3792
; NumSgprs: 49
; NumVgprs: 48
; ScratchSize: 0
; MemoryBound: 0
; FloatMode: 240
; IeeeMode: 1
; LDSByteSize: 4160 bytes/workgroup (compile time only)
; SGPRBlocks: 6
; VGPRBlocks: 5
; NumSGPRsForWavesPerEU: 49
; NumVGPRsForWavesPerEU: 48
; Occupancy: 16
; WaveLimiterHint : 0
; COMPUTE_PGM_RSRC2:SCRATCH_EN: 0
; COMPUTE_PGM_RSRC2:USER_SGPR: 15
; COMPUTE_PGM_RSRC2:TRAP_HANDLER: 0
; COMPUTE_PGM_RSRC2:TGID_X_EN: 1
; COMPUTE_PGM_RSRC2:TGID_Y_EN: 0
; COMPUTE_PGM_RSRC2:TGID_Z_EN: 0
; COMPUTE_PGM_RSRC2:TIDIG_COMP_CNT: 0
	.section	.text._ZN5aiter36smooth_per_token_scaled_quant_kernelItaLi512ELi16ELb1ELb1ELb1ELi1024EEEvPT0_PfPT_S3_PiS6_iiPKiiiiiiiii,"axG",@progbits,_ZN5aiter36smooth_per_token_scaled_quant_kernelItaLi512ELi16ELb1ELb1ELb1ELi1024EEEvPT0_PfPT_S3_PiS6_iiPKiiiiiiiii,comdat
	.protected	_ZN5aiter36smooth_per_token_scaled_quant_kernelItaLi512ELi16ELb1ELb1ELb1ELi1024EEEvPT0_PfPT_S3_PiS6_iiPKiiiiiiiii ; -- Begin function _ZN5aiter36smooth_per_token_scaled_quant_kernelItaLi512ELi16ELb1ELb1ELb1ELi1024EEEvPT0_PfPT_S3_PiS6_iiPKiiiiiiiii
	.globl	_ZN5aiter36smooth_per_token_scaled_quant_kernelItaLi512ELi16ELb1ELb1ELb1ELi1024EEEvPT0_PfPT_S3_PiS6_iiPKiiiiiiiii
	.p2align	8
	.type	_ZN5aiter36smooth_per_token_scaled_quant_kernelItaLi512ELi16ELb1ELb1ELb1ELi1024EEEvPT0_PfPT_S3_PiS6_iiPKiiiiiiiii,@function
_ZN5aiter36smooth_per_token_scaled_quant_kernelItaLi512ELi16ELb1ELb1ELb1ELi1024EEEvPT0_PfPT_S3_PiS6_iiPKiiiiiiiii: ; @_ZN5aiter36smooth_per_token_scaled_quant_kernelItaLi512ELi16ELb1ELb1ELb1ELi1024EEEvPT0_PfPT_S3_PiS6_iiPKiiiiiiiii
; %bb.0:
	s_clause 0x2
	s_load_b64 s[2:3], s[0:1], 0x38
	s_load_b64 s[16:17], s[0:1], 0x28
	s_load_b256 s[4:11], s[0:1], 0x40
	s_waitcnt lgkmcnt(0)
	s_cmp_lg_u64 s[2:3], 0
	s_cbranch_scc0 .LBB123_11
; %bb.1:
	s_load_b32 s2, s[2:3], 0x0
	s_waitcnt lgkmcnt(0)
	s_mul_i32 s4, s2, s4
	s_cbranch_execnz .LBB123_3
.LBB123_2:
	s_mul_i32 s4, s6, s5
.LBB123_3:
	v_lshlrev_b32_e32 v1, 2, v0
	s_lshl_b32 s18, s11, 2
	s_and_b32 s17, s17, 0xffff
	s_mov_b32 s19, -1
	s_load_b64 s[2:3], s[0:1], 0x30
	s_clause 0x1
	buffer_load_b32 v2, v1, s[16:19], 0 offen
	buffer_load_b32 v3, v1, s[16:19], 0 offen offset:2048
	s_abs_i32 s14, s4
                                        ; implicit-def: $sgpr34
	s_waitcnt lgkmcnt(0)
	s_abs_i32 s11, s2
	s_delay_alu instid0(SALU_CYCLE_1) | instskip(SKIP_1) | instid1(VALU_DEP_1)
	v_cvt_f32_u32_e32 v4, s11
	s_sub_i32 s13, 0, s11
	v_rcp_iflag_f32_e32 v4, v4
	s_waitcnt_depctr 0xfff
	v_mul_f32_e32 v4, 0x4f7ffffe, v4
	s_delay_alu instid0(VALU_DEP_1) | instskip(NEXT) | instid1(VALU_DEP_1)
	v_cvt_u32_f32_e32 v4, v4
	v_readfirstlane_b32 s12, v4
	s_delay_alu instid0(VALU_DEP_1) | instskip(NEXT) | instid1(SALU_CYCLE_1)
	s_mul_i32 s13, s13, s12
	s_mul_hi_u32 s13, s12, s13
	s_delay_alu instid0(SALU_CYCLE_1) | instskip(SKIP_4) | instid1(SALU_CYCLE_1)
	s_add_i32 s12, s12, s13
	s_xor_b32 s13, s4, s2
	s_mul_hi_u32 s12, s14, s12
	s_ashr_i32 s13, s13, 31
	s_mul_i32 s16, s12, s11
	s_sub_i32 s14, s14, s16
	s_add_i32 s16, s12, 1
	s_sub_i32 s17, s14, s11
	s_cmp_ge_u32 s14, s11
	s_cselect_b32 s12, s16, s12
	s_cselect_b32 s14, s17, s14
	s_add_i32 s16, s12, 1
	s_cmp_ge_u32 s14, s11
	s_cselect_b32 s11, s16, s12
	s_delay_alu instid0(SALU_CYCLE_1) | instskip(NEXT) | instid1(SALU_CYCLE_1)
	s_xor_b32 s11, s11, s13
	s_sub_i32 s11, s11, s13
	s_delay_alu instid0(SALU_CYCLE_1) | instskip(NEXT) | instid1(SALU_CYCLE_1)
	s_mul_i32 s2, s11, s2
	s_sub_i32 s12, s4, s2
	s_delay_alu instid0(SALU_CYCLE_1)
	s_cmp_lt_u32 s15, s12
	s_cselect_b32 s2, -1, 0
	s_add_i32 s4, s11, 1
	s_cmp_ge_u32 s15, s12
	s_waitcnt vmcnt(0)
	ds_store_2addr_stride64_b32 v1, v2, v3 offset1:8
	s_cbranch_scc0 .LBB123_5
; %bb.4:
	s_sub_i32 s13, s15, s12
	s_mul_i32 s12, s12, s4
	s_mul_i32 s13, s13, s11
	s_mov_b32 s19, 0
	s_add_i32 s34, s13, s12
.LBB123_5:
	s_and_not1_b32 vcc_lo, exec_lo, s19
	s_cbranch_vccnz .LBB123_7
; %bb.6:
	s_mul_i32 s34, s4, s15
.LBB123_7:
	v_cndmask_b32_e64 v1, 0, 1, s2
	s_delay_alu instid0(VALU_DEP_1) | instskip(NEXT) | instid1(VALU_DEP_1)
	v_readfirstlane_b32 s2, v1
	s_add_i32 s4, s11, s2
	s_delay_alu instid0(SALU_CYCLE_1)
	s_cmp_lt_i32 s4, 1
	s_cbranch_scc1 .LBB123_35
; %bb.8:
	s_load_b64 s[12:13], s[0:1], 0x20
	s_ashr_i32 s35, s34, 31
	v_and_b32_e32 v1, 31, v0
	s_lshl_b64 s[14:15], s[34:35], 2
	s_mov_b32 s42, -1
	v_and_b32_e32 v4, 15, v0
	s_mov_b32 s23, s42
	v_cmp_eq_u32_e32 vcc_lo, 31, v1
	v_lshlrev_b32_e32 v16, 5, v0
	v_lshlrev_b32_e32 v17, 6, v0
	v_lshl_or_b32 v19, v4, 2, 0x1000
	v_lshlrev_b32_e32 v21, 4, v0
	s_mov_b32 s41, s3
	s_waitcnt lgkmcnt(0)
	s_add_u32 s20, s12, s14
	s_addc_u32 s2, s13, s15
	s_abs_i32 s11, s6
	s_lshl_b32 s22, s4, 2
	v_cvt_f32_u32_e32 v3, s11
	s_and_b32 s21, s2, 0xffff
	s_load_b256 s[12:19], s[0:1], 0x0
	s_movk_i32 s0, 0x7c
	s_add_i32 s1, s3, 15
	v_rcp_iflag_f32_e32 v3, v3
	v_lshlrev_b32_e32 v22, 2, v1
	v_lshrrev_b32_e32 v1, 3, v0
	s_ashr_i32 s2, s1, 31
	s_lshl_b32 s26, s3, 1
	s_lshr_b32 s2, s2, 28
	s_lshl_b32 s30, s3, 2
	v_and_or_b32 v18, v1, s0, 0x1000
	s_add_i32 s1, s1, s2
	v_cmp_eq_u32_e64 s0, 0, v0
	s_waitcnt_depctr 0xfff
	v_mul_f32_e32 v1, 0x4f7ffffe, v3
	buffer_load_b32 v2, v22, s[20:23], 0 offen
	s_waitcnt vmcnt(0) expcnt(0) lgkmcnt(0)
	s_barrier
	buffer_gl0_inv
	v_cvt_u32_f32_e32 v1, v1
	s_add_i32 s23, s3, 3
	s_ashr_i32 s1, s1, 4
	s_ashr_i32 s2, s23, 31
	v_cmp_gt_u32_e64 s1, s1, v0
	v_readfirstlane_b32 s40, v1
	s_lshr_b32 s2, s2, 30
	s_ashr_i32 s33, s6, 31
	s_add_i32 s23, s23, s2
	s_sub_i32 s2, 0, s11
	s_and_b32 s38, s23, -4
	s_mul_i32 s23, s2, s40
	s_delay_alu instid0(SALU_CYCLE_1) | instskip(NEXT) | instid1(SALU_CYCLE_1)
	s_mul_hi_u32 s23, s40, s23
	s_add_i32 s40, s40, s23
	v_lshlrev_b32_e32 v2, 2, v2
	ds_load_b32 v20, v2
	s_waitcnt lgkmcnt(0)
	v_readlane_b32 s2, v20, 0
	s_delay_alu instid0(VALU_DEP_1)
	s_cmp_lt_i32 s2, 0
	s_cbranch_scc1 .LBB123_12
; %bb.9:
	s_abs_i32 s23, s34
	s_xor_b32 s27, s35, s33
	s_mul_hi_u32 s24, s23, s40
	s_mov_b32 s31, -1
	s_mul_i32 s25, s24, s11
	s_add_i32 s28, s24, 1
	s_sub_i32 s25, s23, s25
	s_delay_alu instid0(SALU_CYCLE_1)
	s_sub_i32 s29, s25, s11
	s_cmp_ge_u32 s25, s11
	s_cselect_b32 s24, s28, s24
	s_cselect_b32 s25, s29, s25
	s_add_i32 s28, s24, 1
	s_cmp_ge_u32 s25, s11
	s_cselect_b32 s24, s28, s24
	s_delay_alu instid0(SALU_CYCLE_1) | instskip(NEXT) | instid1(SALU_CYCLE_1)
	s_xor_b32 s24, s24, s27
	s_sub_i32 s24, s24, s27
	s_delay_alu instid0(SALU_CYCLE_1) | instskip(SKIP_2) | instid1(SALU_CYCLE_1)
	s_mul_i32 s25, s24, s6
	s_mul_i32 s24, s24, s7
	s_sub_i32 s25, s34, s25
	s_mul_i32 s25, s25, s8
	s_delay_alu instid0(SALU_CYCLE_1) | instskip(NEXT) | instid1(SALU_CYCLE_1)
	s_add_i32 s42, s25, s24
	s_cmp_eq_u32 s42, -1
	s_cbranch_scc1 .LBB123_13
; %bb.10:
	s_mul_hi_i32 s25, s42, s41
	s_mul_i32 s24, s42, s41
	s_mov_b32 s27, s31
	s_lshl_b64 s[24:25], s[24:25], 1
	s_delay_alu instid0(SALU_CYCLE_1) | instskip(SKIP_1) | instid1(SALU_CYCLE_1)
	s_add_u32 s24, s16, s24
	s_addc_u32 s25, s17, s25
	s_and_b32 s25, s25, 0xffff
	s_clause 0x1
	buffer_load_b128 v[0:3], v16, s[24:27], 0 offen
	buffer_load_b128 v[4:7], v16, s[24:27], 16 offen
	s_waitcnt vmcnt(1)
	v_lshrrev_b32_e32 v8, 16, v0
	v_and_b32_e32 v0, 0xffff, v0
	v_lshrrev_b32_e32 v9, 16, v1
	v_and_b32_e32 v10, 0xffff, v1
	;; [unrolled: 2-line block ×4, first 2 shown]
	s_waitcnt vmcnt(0)
	v_lshrrev_b32_e32 v15, 16, v4
	v_and_b32_e32 v23, 0xffff, v4
	v_lshrrev_b32_e32 v24, 16, v5
	v_and_b32_e32 v25, 0xffff, v5
	;; [unrolled: 2-line block ×4, first 2 shown]
	v_cvt_f32_u32_e32 v1, v8
	v_cvt_f32_u32_e32 v0, v0
	;; [unrolled: 1-line block ×16, first 2 shown]
	s_branch .LBB123_14
.LBB123_11:
                                        ; implicit-def: $sgpr4
	s_branch .LBB123_2
.LBB123_12:
                                        ; implicit-def: $vgpr0_vgpr1_vgpr2_vgpr3_vgpr4_vgpr5_vgpr6_vgpr7_vgpr8_vgpr9_vgpr10_vgpr11_vgpr12_vgpr13_vgpr14_vgpr15
	s_cmp_eq_u32 s4, 1
	s_mov_b32 s35, 1
	s_cbranch_scc0 .LBB123_21
	s_branch .LBB123_35
.LBB123_13:
                                        ; implicit-def: $vgpr0_vgpr1_vgpr2_vgpr3_vgpr4_vgpr5_vgpr6_vgpr7_vgpr8_vgpr9_vgpr10_vgpr11_vgpr12_vgpr13_vgpr14_vgpr15
.LBB123_14:
	s_mul_i32 s24, s2, s3
	s_delay_alu instid0(SALU_CYCLE_1) | instskip(NEXT) | instid1(SALU_CYCLE_1)
	s_ashr_i32 s25, s24, 31
	s_lshl_b64 s[24:25], s[24:25], 2
	s_delay_alu instid0(SALU_CYCLE_1) | instskip(SKIP_1) | instid1(SALU_CYCLE_1)
	s_add_u32 s28, s18, s24
	s_addc_u32 s2, s19, s25
	s_and_b32 s29, s2, 0xffff
	s_clause 0x3
	buffer_load_b128 v[23:26], v17, s[28:31], 0 offen
	buffer_load_b128 v[27:30], v17, s[28:31], 16 offen
	;; [unrolled: 1-line block ×4, first 2 shown]
	s_waitcnt vmcnt(3)
	v_dual_mul_f32 v37, v0, v23 :: v_dual_mul_f32 v38, v1, v24
	v_dual_mul_f32 v31, v2, v25 :: v_dual_mul_f32 v32, v3, v26
	s_waitcnt vmcnt(2)
	v_dual_mul_f32 v33, v4, v27 :: v_dual_mul_f32 v34, v5, v28
	s_delay_alu instid0(VALU_DEP_3) | instskip(SKIP_3) | instid1(VALU_DEP_3)
	v_max3_f32 v23, |v37|, 0x2edbe6ff, |v38|
	v_dual_mul_f32 v35, v6, v29 :: v_dual_mul_f32 v36, v7, v30
	s_waitcnt vmcnt(1)
	v_dual_mul_f32 v28, v8, v39 :: v_dual_mul_f32 v29, v9, v40
	v_max3_f32 v23, v23, |v31|, |v32|
	s_waitcnt vmcnt(0)
	v_mul_f32_e32 v26, v12, v43
	v_dual_mul_f32 v30, v13, v44 :: v_dual_mul_f32 v27, v15, v46
	v_mul_f32_e32 v24, v11, v42
	v_max3_f32 v23, v23, |v33|, |v34|
	s_delay_alu instid0(VALU_DEP_1) | instskip(SKIP_1) | instid1(VALU_DEP_2)
	v_max3_f32 v25, v23, |v35|, |v36|
	v_mul_f32_e32 v23, v10, v41
	v_max3_f32 v25, v25, |v28|, |v29|
	s_delay_alu instid0(VALU_DEP_1) | instskip(SKIP_1) | instid1(VALU_DEP_2)
	v_max3_f32 v39, v25, |v23|, |v24|
	v_mul_f32_e32 v25, v14, v45
	v_max3_f32 v39, v39, |v26|, |v30|
	s_delay_alu instid0(VALU_DEP_1) | instskip(NEXT) | instid1(VALU_DEP_1)
	v_max3_f32 v39, v39, |v25|, |v27|
	v_mov_b32_dpp v40, v39 quad_perm:[1,0,3,2] row_mask:0xf bank_mask:0xf
	s_delay_alu instid0(VALU_DEP_1) | instskip(NEXT) | instid1(VALU_DEP_1)
	v_cmp_gt_f32_e64 s2, v39, v40
	v_cndmask_b32_e64 v39, v40, v39, s2
	s_delay_alu instid0(VALU_DEP_1) | instskip(NEXT) | instid1(VALU_DEP_1)
	v_mov_b32_dpp v40, v39 quad_perm:[2,3,0,1] row_mask:0xf bank_mask:0xf
	v_cmp_gt_f32_e64 s2, v39, v40
	s_delay_alu instid0(VALU_DEP_1) | instskip(NEXT) | instid1(VALU_DEP_1)
	v_cndmask_b32_e64 v39, v40, v39, s2
	v_mov_b32_dpp v40, v39 row_xmask:7 row_mask:0xf bank_mask:0xf
	s_delay_alu instid0(VALU_DEP_1) | instskip(NEXT) | instid1(VALU_DEP_1)
	v_cmp_gt_f32_e64 s2, v39, v40
	v_cndmask_b32_e64 v39, v40, v39, s2
	s_delay_alu instid0(VALU_DEP_1) | instskip(NEXT) | instid1(VALU_DEP_1)
	v_mov_b32_dpp v40, v39 row_xmask:15 row_mask:0xf bank_mask:0xf
	v_cmp_gt_f32_e64 s2, v39, v40
	s_and_saveexec_b32 s24, vcc_lo
	s_cbranch_execz .LBB123_16
; %bb.15:
	s_delay_alu instid0(VALU_DEP_1)
	v_cndmask_b32_e64 v39, v40, v39, s2
	s_mov_b32 s2, 0x76543210
	s_delay_alu instid0(VALU_DEP_1) | instid1(SALU_CYCLE_1)
	v_permlanex16_b32 v40, v39, s2, 0xfedcba98 op_sel:[1,1]
	s_delay_alu instid0(VALU_DEP_1) | instskip(NEXT) | instid1(VALU_DEP_1)
	v_cmp_gt_f32_e64 s2, v39, v40
	v_cndmask_b32_e64 v39, v40, v39, s2
	ds_store_b32 v18, v39
.LBB123_16:
	s_or_b32 exec_lo, exec_lo, s24
	s_waitcnt lgkmcnt(0)
	s_barrier
	buffer_gl0_inv
	ds_load_b32 v39, v19
	s_abs_i32 s24, s5
	s_delay_alu instid0(SALU_CYCLE_1) | instskip(NEXT) | instid1(VALU_DEP_1)
	v_cvt_f32_u32_e32 v40, s24
	v_rcp_iflag_f32_e32 v40, v40
	s_waitcnt_depctr 0xfff
	v_mul_f32_e32 v40, 0x4f7ffffe, v40
	s_waitcnt lgkmcnt(0)
	v_mov_b32_dpp v41, v39 quad_perm:[1,0,3,2] row_mask:0xf bank_mask:0xf
	s_delay_alu instid0(VALU_DEP_2) | instskip(NEXT) | instid1(VALU_DEP_2)
	v_cvt_u32_f32_e32 v40, v40
	v_cmp_gt_f32_e64 s2, v39, v41
	s_delay_alu instid0(VALU_DEP_2) | instskip(NEXT) | instid1(VALU_DEP_2)
	v_readfirstlane_b32 s25, v40
	v_cndmask_b32_e64 v39, v41, v39, s2
	s_sub_i32 s2, 0, s24
	s_delay_alu instid0(VALU_DEP_2) | instid1(SALU_CYCLE_1)
	s_mul_i32 s2, s2, s25
	s_delay_alu instid0(VALU_DEP_1) | instskip(SKIP_1) | instid1(SALU_CYCLE_1)
	v_mov_b32_dpp v40, v39 quad_perm:[2,3,0,1] row_mask:0xf bank_mask:0xf
	s_mul_hi_u32 s27, s25, s2
	s_add_i32 s25, s25, s27
	s_delay_alu instid0(VALU_DEP_1) | instskip(SKIP_1) | instid1(SALU_CYCLE_1)
	v_cmp_gt_f32_e64 s2, v39, v40
	s_mul_hi_u32 s25, s23, s25
	s_mul_i32 s27, s25, s24
	s_delay_alu instid0(VALU_DEP_1)
	v_cndmask_b32_e64 v39, v40, v39, s2
	s_ashr_i32 s2, s5, 31
	s_sub_i32 s23, s23, s27
	s_xor_b32 s28, s35, s2
	s_add_i32 s27, s25, 1
	v_mov_b32_dpp v40, v39 row_xmask:7 row_mask:0xf bank_mask:0xf
	s_sub_i32 s29, s23, s24
	s_cmp_ge_u32 s23, s24
	s_cselect_b32 s23, s29, s23
	s_delay_alu instid0(VALU_DEP_1) | instskip(NEXT) | instid1(VALU_DEP_1)
	v_cmp_gt_f32_e64 s2, v39, v40
	v_cndmask_b32_e64 v39, v40, v39, s2
	s_cselect_b32 s2, s27, s25
	s_delay_alu instid0(SALU_CYCLE_1) | instskip(SKIP_1) | instid1(VALU_DEP_1)
	s_add_i32 s25, s2, 1
	s_cmp_ge_u32 s23, s24
	v_mov_b32_dpp v40, v39 row_xmask:15 row_mask:0xf bank_mask:0xf
	s_cselect_b32 s2, s25, s2
	s_delay_alu instid0(SALU_CYCLE_1) | instskip(NEXT) | instid1(VALU_DEP_1)
	s_xor_b32 s23, s2, s28
	v_cmp_gt_f32_e64 s2, v39, v40
	s_delay_alu instid0(VALU_DEP_1) | instskip(SKIP_1) | instid1(SALU_CYCLE_1)
	v_cndmask_b32_e64 v39, v40, v39, s2
	s_sub_i32 s2, s23, s28
	s_mul_i32 s23, s2, s5
	s_mul_i32 s2, s2, s9
	s_sub_i32 s23, s34, s23
	v_mul_f32_e32 v39, 0x3c010204, v39
	s_mul_i32 s23, s23, s10
	s_delay_alu instid0(SALU_CYCLE_1)
	s_add_i32 s24, s23, s2
	s_and_saveexec_b32 s2, s0
	s_cbranch_execz .LBB123_18
; %bb.17:
	s_ashr_i32 s25, s24, 31
	v_mov_b32_e32 v40, 0
	s_lshl_b64 s[28:29], s[24:25], 2
	s_delay_alu instid0(SALU_CYCLE_1)
	s_add_u32 s28, s14, s28
	s_addc_u32 s29, s15, s29
	global_store_b32 v40, v39, s[28:29]
.LBB123_18:
	s_or_b32 exec_lo, exec_lo, s2
	s_and_saveexec_b32 s2, s1
	s_cbranch_execz .LBB123_20
; %bb.19:
	v_rcp_f32_e32 v39, v39
	s_mul_i32 s23, s24, s41
	s_mul_hi_i32 s24, s24, s41
	s_add_u32 s36, s12, s23
	s_addc_u32 s23, s13, s24
	s_mov_b32 s39, -1
	s_and_b32 s37, s23, 0xffff
	s_waitcnt_depctr 0xfff
	v_mul_f32_e32 v30, v30, v39
	v_mul_f32_e32 v26, v26, v39
	;; [unrolled: 1-line block ×5, first 2 shown]
	v_cvt_i32_f32_e32 v30, v30
	v_cvt_i32_f32_e32 v26, v26
	v_mul_f32_e32 v37, v37, v39
	v_mul_f32_e32 v25, v25, v39
	v_cvt_i32_f32_e32 v28, v28
	v_lshlrev_b16 v30, 8, v30
	v_and_b32_e32 v26, 0xff, v26
	v_cvt_i32_f32_e32 v27, v27
	v_cvt_i32_f32_e32 v25, v25
	;; [unrolled: 1-line block ×3, first 2 shown]
	v_mul_f32_e32 v38, v38, v39
	v_or_b32_e32 v26, v26, v30
	v_mul_f32_e32 v33, v33, v39
	v_dual_mul_f32 v31, v31, v39 :: v_dual_and_b32 v28, 0xff, v28
	v_lshlrev_b16 v27, 8, v27
	v_and_b32_e32 v25, 0xff, v25
	v_lshlrev_b16 v29, 8, v29
	v_mul_f32_e32 v24, v24, v39
	v_dual_mul_f32 v23, v23, v39 :: v_dual_and_b32 v26, 0xffff, v26
	v_cvt_i32_f32_e32 v33, v33
	v_mul_f32_e32 v34, v34, v39
	v_or_b32_e32 v25, v25, v27
	v_or_b32_e32 v27, v28, v29
	v_cvt_i32_f32_e32 v24, v24
	v_and_b32_e32 v29, 0xff, v33
	v_cvt_i32_f32_e32 v34, v34
	v_cvt_i32_f32_e32 v23, v23
	v_dual_mul_f32 v32, v32, v39 :: v_dual_lshlrev_b32 v25, 16, v25
	v_lshlrev_b16 v24, 8, v24
	s_delay_alu instid0(VALU_DEP_4) | instskip(NEXT) | instid1(VALU_DEP_4)
	v_lshlrev_b16 v28, 8, v34
	v_and_b32_e32 v23, 0xff, v23
	v_cvt_i32_f32_e32 v37, v37
	v_mul_f32_e32 v36, v36, v39
	v_cvt_i32_f32_e32 v38, v38
	v_cvt_i32_f32_e32 v31, v31
	v_or_b32_e32 v23, v23, v24
	v_or_b32_e32 v24, v29, v28
	v_mul_f32_e32 v35, v35, v39
	v_cvt_i32_f32_e32 v32, v32
	v_lshlrev_b16 v34, 8, v38
	v_and_b32_e32 v31, 0xff, v31
	v_and_b32_e32 v24, 0xffff, v24
	v_cvt_i32_f32_e32 v35, v35
	v_lshlrev_b16 v32, 8, v32
	v_and_b32_e32 v27, 0xffff, v27
	v_lshlrev_b32_e32 v23, 16, v23
	v_or_b32_e32 v26, v26, v25
	v_and_b32_e32 v33, 0xff, v35
	v_and_b32_e32 v35, 0xff, v37
	v_cvt_i32_f32_e32 v36, v36
	v_or_b32_e32 v25, v27, v23
	s_delay_alu instid0(VALU_DEP_3) | instskip(NEXT) | instid1(VALU_DEP_3)
	v_or_b32_e32 v29, v35, v34
	v_lshlrev_b16 v30, 8, v36
	s_delay_alu instid0(VALU_DEP_2) | instskip(NEXT) | instid1(VALU_DEP_2)
	v_and_b32_e32 v29, 0xffff, v29
	v_or_b32_e32 v28, v33, v30
	v_or_b32_e32 v30, v31, v32
	s_delay_alu instid0(VALU_DEP_2) | instskip(NEXT) | instid1(VALU_DEP_2)
	v_lshlrev_b32_e32 v28, 16, v28
	v_lshlrev_b32_e32 v30, 16, v30
	s_delay_alu instid0(VALU_DEP_2) | instskip(NEXT) | instid1(VALU_DEP_2)
	v_or_b32_e32 v24, v24, v28
	v_or_b32_e32 v23, v29, v30
	buffer_store_b128 v[23:26], v21, s[36:39], 0 offen
	;;#ASMSTART
	s_nop 0
	;;#ASMEND
.LBB123_20:
	s_or_b32 exec_lo, exec_lo, s2
	s_cmp_eq_u32 s4, 1
	s_mov_b32 s35, 1
	s_cbranch_scc1 .LBB123_35
.LBB123_21:
	s_abs_i32 s43, s5
	s_ashr_i32 s44, s5, 31
	v_cvt_f32_u32_e32 v23, s43
	s_sub_i32 s23, 0, s43
	s_mov_b32 s31, -1
	s_mov_b32 s46, 0x76543210
	v_add_nc_u32_e32 v22, 4, v22
	v_rcp_iflag_f32_e32 v23, v23
	s_waitcnt_depctr 0xfff
	v_mul_f32_e32 v23, 0x4f7ffffe, v23
	s_delay_alu instid0(VALU_DEP_1) | instskip(NEXT) | instid1(VALU_DEP_1)
	v_cvt_u32_f32_e32 v23, v23
	v_readfirstlane_b32 s2, v23
	v_mov_b32_e32 v23, 0
	s_delay_alu instid0(VALU_DEP_2) | instskip(NEXT) | instid1(SALU_CYCLE_1)
	s_mul_i32 s23, s23, s2
	s_mul_hi_u32 s23, s2, s23
	s_delay_alu instid0(SALU_CYCLE_1)
	s_add_i32 s45, s2, s23
	s_branch .LBB123_24
.LBB123_22:                             ;   in Loop: Header=BB123_24 Depth=1
	s_or_b32 exec_lo, exec_lo, s2
.LBB123_23:                             ;   in Loop: Header=BB123_24 Depth=1
	v_add_nc_u32_e32 v22, 4, v22
	s_add_i32 s35, s35, 1
	s_delay_alu instid0(SALU_CYCLE_1)
	s_cmp_eq_u32 s4, s35
	s_cbranch_scc1 .LBB123_35
.LBB123_24:                             ; =>This Inner Loop Header: Depth=1
	s_and_b32 s2, s35, 31
	s_delay_alu instid0(SALU_CYCLE_1)
	s_cmp_lg_u32 s2, 0
	s_cbranch_scc1 .LBB123_26
; %bb.25:                               ;   in Loop: Header=BB123_24 Depth=1
	s_mov_b32 s23, s31
	buffer_load_b32 v20, v22, s[20:23], 0 offen
	s_waitcnt vmcnt(0) expcnt(0) lgkmcnt(55)
	v_lshlrev_b32_e32 v20, 2, v20
	ds_load_b32 v20, v20
.LBB123_26:                             ;   in Loop: Header=BB123_24 Depth=1
	s_waitcnt lgkmcnt(0)
	v_readlane_b32 s2, v20, s2
	s_delay_alu instid0(VALU_DEP_1)
	s_cmp_lt_i32 s2, 0
	s_cbranch_scc1 .LBB123_23
; %bb.27:                               ;   in Loop: Header=BB123_24 Depth=1
	s_add_i32 s23, s34, s35
	s_delay_alu instid0(SALU_CYCLE_1)
	s_abs_i32 s36, s23
	s_ashr_i32 s37, s23, 31
	s_mul_hi_u32 s24, s36, s40
	s_xor_b32 s27, s37, s33
	s_mul_i32 s25, s24, s11
	s_add_i32 s28, s24, 1
	s_sub_i32 s25, s36, s25
	s_delay_alu instid0(SALU_CYCLE_1)
	s_sub_i32 s29, s25, s11
	s_cmp_ge_u32 s25, s11
	s_cselect_b32 s24, s28, s24
	s_cselect_b32 s25, s29, s25
	s_add_i32 s28, s24, 1
	s_cmp_ge_u32 s25, s11
	s_cselect_b32 s24, s28, s24
	s_delay_alu instid0(SALU_CYCLE_1) | instskip(NEXT) | instid1(SALU_CYCLE_1)
	s_xor_b32 s24, s24, s27
	s_sub_i32 s24, s24, s27
	s_delay_alu instid0(SALU_CYCLE_1) | instskip(SKIP_2) | instid1(SALU_CYCLE_1)
	s_mul_i32 s25, s24, s6
	s_mul_i32 s24, s24, s7
	s_sub_i32 s25, s23, s25
	s_mul_i32 s28, s25, s8
	s_delay_alu instid0(SALU_CYCLE_1) | instskip(NEXT) | instid1(SALU_CYCLE_1)
	s_add_i32 s28, s28, s24
	s_cmp_eq_u32 s28, s42
	s_cbranch_scc1 .LBB123_29
; %bb.28:                               ;   in Loop: Header=BB123_24 Depth=1
	s_mul_hi_i32 s25, s28, s41
	s_mul_i32 s24, s28, s41
	s_mov_b32 s27, s31
	s_lshl_b64 s[24:25], s[24:25], 1
	s_mov_b32 s42, s28
	s_add_u32 s24, s16, s24
	s_addc_u32 s25, s17, s25
	s_delay_alu instid0(SALU_CYCLE_1)
	s_and_b32 s25, s25, 0xffff
	s_clause 0x1
	buffer_load_b128 v[0:3], v16, s[24:27], 0 offen
	buffer_load_b128 v[4:7], v16, s[24:27], 16 offen
	s_waitcnt vmcnt(1)
	v_lshrrev_b32_e32 v8, 16, v0
	v_and_b32_e32 v0, 0xffff, v0
	v_lshrrev_b32_e32 v9, 16, v1
	v_and_b32_e32 v10, 0xffff, v1
	;; [unrolled: 2-line block ×4, first 2 shown]
	s_waitcnt vmcnt(0)
	v_lshrrev_b32_e32 v15, 16, v4
	v_and_b32_e32 v24, 0xffff, v4
	v_lshrrev_b32_e32 v25, 16, v5
	v_and_b32_e32 v26, 0xffff, v5
	v_lshrrev_b32_e32 v27, 16, v6
	v_and_b32_e32 v28, 0xffff, v6
	v_lshrrev_b32_e32 v29, 16, v7
	v_and_b32_e32 v30, 0xffff, v7
	v_cvt_f32_u32_e32 v1, v8
	v_cvt_f32_u32_e32 v0, v0
	;; [unrolled: 1-line block ×16, first 2 shown]
.LBB123_29:                             ;   in Loop: Header=BB123_24 Depth=1
	s_mul_i32 s24, s2, s3
	s_delay_alu instid0(SALU_CYCLE_1) | instskip(NEXT) | instid1(SALU_CYCLE_1)
	s_ashr_i32 s25, s24, 31
	s_lshl_b64 s[24:25], s[24:25], 2
	s_delay_alu instid0(SALU_CYCLE_1) | instskip(SKIP_1) | instid1(SALU_CYCLE_1)
	s_add_u32 s28, s18, s24
	s_addc_u32 s2, s19, s25
	s_and_b32 s29, s2, 0xffff
	s_clause 0x3
	buffer_load_b128 v[24:27], v17, s[28:31], 0 offen
	buffer_load_b128 v[28:31], v17, s[28:31], 16 offen
	;; [unrolled: 1-line block ×4, first 2 shown]
	s_waitcnt vmcnt(3)
	v_dual_mul_f32 v38, v0, v24 :: v_dual_mul_f32 v39, v1, v25
	v_dual_mul_f32 v32, v2, v26 :: v_dual_mul_f32 v33, v3, v27
	s_waitcnt vmcnt(2)
	v_dual_mul_f32 v34, v4, v28 :: v_dual_mul_f32 v35, v5, v29
	s_delay_alu instid0(VALU_DEP_3) | instskip(SKIP_3) | instid1(VALU_DEP_3)
	v_max3_f32 v24, |v38|, 0x2edbe6ff, |v39|
	v_dual_mul_f32 v36, v6, v30 :: v_dual_mul_f32 v37, v7, v31
	s_waitcnt vmcnt(1)
	v_dual_mul_f32 v29, v8, v40 :: v_dual_mul_f32 v30, v9, v41
	v_max3_f32 v24, v24, |v32|, |v33|
	s_waitcnt vmcnt(0)
	v_mul_f32_e32 v27, v12, v44
	v_dual_mul_f32 v31, v13, v45 :: v_dual_mul_f32 v28, v15, v47
	v_mul_f32_e32 v25, v11, v43
	v_max3_f32 v24, v24, |v34|, |v35|
	s_delay_alu instid0(VALU_DEP_1) | instskip(SKIP_1) | instid1(VALU_DEP_2)
	v_max3_f32 v26, v24, |v36|, |v37|
	v_mul_f32_e32 v24, v10, v42
	v_max3_f32 v26, v26, |v29|, |v30|
	s_delay_alu instid0(VALU_DEP_1) | instskip(SKIP_1) | instid1(VALU_DEP_2)
	v_max3_f32 v40, v26, |v24|, |v25|
	v_mul_f32_e32 v26, v14, v46
	v_max3_f32 v40, v40, |v27|, |v31|
	s_delay_alu instid0(VALU_DEP_1) | instskip(NEXT) | instid1(VALU_DEP_1)
	v_max3_f32 v40, v40, |v26|, |v28|
	v_mov_b32_dpp v41, v40 quad_perm:[1,0,3,2] row_mask:0xf bank_mask:0xf
	s_delay_alu instid0(VALU_DEP_1) | instskip(NEXT) | instid1(VALU_DEP_1)
	v_cmp_gt_f32_e64 s2, v40, v41
	v_cndmask_b32_e64 v40, v41, v40, s2
	s_delay_alu instid0(VALU_DEP_1) | instskip(NEXT) | instid1(VALU_DEP_1)
	v_mov_b32_dpp v41, v40 quad_perm:[2,3,0,1] row_mask:0xf bank_mask:0xf
	v_cmp_gt_f32_e64 s2, v40, v41
	s_delay_alu instid0(VALU_DEP_1) | instskip(NEXT) | instid1(VALU_DEP_1)
	v_cndmask_b32_e64 v40, v41, v40, s2
	v_mov_b32_dpp v41, v40 row_xmask:7 row_mask:0xf bank_mask:0xf
	s_delay_alu instid0(VALU_DEP_1) | instskip(NEXT) | instid1(VALU_DEP_1)
	v_cmp_gt_f32_e64 s2, v40, v41
	v_cndmask_b32_e64 v40, v41, v40, s2
	s_delay_alu instid0(VALU_DEP_1) | instskip(NEXT) | instid1(VALU_DEP_1)
	v_mov_b32_dpp v41, v40 row_xmask:15 row_mask:0xf bank_mask:0xf
	v_cmp_gt_f32_e64 s2, v40, v41
	s_and_saveexec_b32 s24, vcc_lo
	s_cbranch_execz .LBB123_31
; %bb.30:                               ;   in Loop: Header=BB123_24 Depth=1
	s_delay_alu instid0(VALU_DEP_1) | instskip(NEXT) | instid1(VALU_DEP_1)
	v_cndmask_b32_e64 v40, v41, v40, s2
	v_permlanex16_b32 v41, v40, s46, 0xfedcba98 op_sel:[1,1]
	s_delay_alu instid0(VALU_DEP_1) | instskip(NEXT) | instid1(VALU_DEP_1)
	v_cmp_gt_f32_e64 s2, v40, v41
	v_cndmask_b32_e64 v40, v41, v40, s2
	ds_store_b32 v18, v40
.LBB123_31:                             ;   in Loop: Header=BB123_24 Depth=1
	s_or_b32 exec_lo, exec_lo, s24
	s_waitcnt lgkmcnt(0)
	s_waitcnt_vscnt null, 0x0
	s_barrier
	buffer_gl0_inv
	ds_load_b32 v40, v19
	s_mul_hi_u32 s24, s36, s45
	s_xor_b32 s27, s37, s44
	s_mul_i32 s25, s24, s43
	s_waitcnt lgkmcnt(0)
	v_mov_b32_dpp v41, v40 quad_perm:[1,0,3,2] row_mask:0xf bank_mask:0xf
	s_delay_alu instid0(VALU_DEP_1) | instskip(NEXT) | instid1(VALU_DEP_1)
	v_cmp_gt_f32_e64 s2, v40, v41
	v_cndmask_b32_e64 v40, v41, v40, s2
	s_delay_alu instid0(VALU_DEP_1) | instskip(NEXT) | instid1(VALU_DEP_1)
	v_mov_b32_dpp v41, v40 quad_perm:[2,3,0,1] row_mask:0xf bank_mask:0xf
	v_cmp_gt_f32_e64 s2, v40, v41
	s_delay_alu instid0(VALU_DEP_1)
	v_cndmask_b32_e64 v40, v41, v40, s2
	s_sub_i32 s2, s36, s25
	s_add_i32 s25, s24, 1
	s_sub_i32 s28, s2, s43
	s_cmp_ge_u32 s2, s43
	v_mov_b32_dpp v41, v40 row_xmask:7 row_mask:0xf bank_mask:0xf
	s_cselect_b32 s24, s25, s24
	s_cselect_b32 s25, s28, s2
	s_delay_alu instid0(VALU_DEP_1) | instskip(NEXT) | instid1(VALU_DEP_1)
	v_cmp_gt_f32_e64 s2, v40, v41
	v_cndmask_b32_e64 v40, v41, v40, s2
	s_add_i32 s2, s24, 1
	s_cmp_ge_u32 s25, s43
	s_cselect_b32 s2, s2, s24
	s_delay_alu instid0(VALU_DEP_1) | instskip(SKIP_1) | instid1(SALU_CYCLE_1)
	v_mov_b32_dpp v41, v40 row_xmask:15 row_mask:0xf bank_mask:0xf
	s_xor_b32 s2, s2, s27
	s_sub_i32 s24, s2, s27
	s_delay_alu instid0(VALU_DEP_1) | instskip(NEXT) | instid1(VALU_DEP_1)
	v_cmp_gt_f32_e64 s2, v40, v41
	v_cndmask_b32_e64 v40, v41, v40, s2
	s_mul_i32 s2, s24, s5
	s_mul_i32 s24, s24, s9
	s_sub_i32 s2, s23, s2
	s_delay_alu instid0(VALU_DEP_1) | instskip(SKIP_1) | instid1(SALU_CYCLE_1)
	v_mul_f32_e32 v40, 0x3c010204, v40
	s_mul_i32 s2, s2, s10
	s_add_i32 s24, s2, s24
	s_and_saveexec_b32 s2, s0
	s_cbranch_execz .LBB123_33
; %bb.32:                               ;   in Loop: Header=BB123_24 Depth=1
	s_ashr_i32 s25, s24, 31
	s_delay_alu instid0(SALU_CYCLE_1) | instskip(NEXT) | instid1(SALU_CYCLE_1)
	s_lshl_b64 s[28:29], s[24:25], 2
	s_add_u32 s28, s14, s28
	s_addc_u32 s29, s15, s29
	global_store_b32 v23, v40, s[28:29]
.LBB123_33:                             ;   in Loop: Header=BB123_24 Depth=1
	s_or_b32 exec_lo, exec_lo, s2
	s_and_saveexec_b32 s2, s1
	s_cbranch_execz .LBB123_22
; %bb.34:                               ;   in Loop: Header=BB123_24 Depth=1
	v_rcp_f32_e32 v40, v40
	s_mul_i32 s23, s24, s41
	s_mul_hi_i32 s24, s24, s41
	s_add_u32 s36, s12, s23
	s_addc_u32 s23, s13, s24
	s_mov_b32 s39, s31
	s_and_b32 s37, s23, 0xffff
	s_waitcnt_depctr 0xfff
	v_mul_f32_e32 v31, v31, v40
	v_mul_f32_e32 v27, v27, v40
	v_mul_f32_e32 v29, v29, v40
	v_mul_f32_e32 v30, v30, v40
	v_mul_f32_e32 v28, v28, v40
	v_cvt_i32_f32_e32 v31, v31
	v_cvt_i32_f32_e32 v27, v27
	v_mul_f32_e32 v38, v38, v40
	v_mul_f32_e32 v26, v26, v40
	v_cvt_i32_f32_e32 v29, v29
	v_lshlrev_b16 v31, 8, v31
	v_and_b32_e32 v27, 0xff, v27
	v_cvt_i32_f32_e32 v28, v28
	v_cvt_i32_f32_e32 v26, v26
	;; [unrolled: 1-line block ×3, first 2 shown]
	v_mul_f32_e32 v39, v39, v40
	v_or_b32_e32 v27, v27, v31
	v_mul_f32_e32 v34, v34, v40
	v_dual_mul_f32 v32, v32, v40 :: v_dual_and_b32 v29, 0xff, v29
	v_lshlrev_b16 v28, 8, v28
	v_and_b32_e32 v26, 0xff, v26
	v_lshlrev_b16 v30, 8, v30
	v_mul_f32_e32 v25, v25, v40
	v_dual_mul_f32 v24, v24, v40 :: v_dual_and_b32 v27, 0xffff, v27
	v_cvt_i32_f32_e32 v34, v34
	v_mul_f32_e32 v35, v35, v40
	v_or_b32_e32 v26, v26, v28
	v_or_b32_e32 v28, v29, v30
	v_cvt_i32_f32_e32 v25, v25
	v_and_b32_e32 v30, 0xff, v34
	v_cvt_i32_f32_e32 v35, v35
	v_cvt_i32_f32_e32 v24, v24
	v_dual_mul_f32 v33, v33, v40 :: v_dual_lshlrev_b32 v26, 16, v26
	v_lshlrev_b16 v25, 8, v25
	s_delay_alu instid0(VALU_DEP_4) | instskip(NEXT) | instid1(VALU_DEP_4)
	v_lshlrev_b16 v29, 8, v35
	v_and_b32_e32 v24, 0xff, v24
	v_cvt_i32_f32_e32 v38, v38
	v_mul_f32_e32 v37, v37, v40
	v_cvt_i32_f32_e32 v39, v39
	v_cvt_i32_f32_e32 v32, v32
	v_or_b32_e32 v24, v24, v25
	v_or_b32_e32 v25, v30, v29
	v_mul_f32_e32 v36, v36, v40
	v_cvt_i32_f32_e32 v33, v33
	v_lshlrev_b16 v35, 8, v39
	v_and_b32_e32 v32, 0xff, v32
	v_and_b32_e32 v25, 0xffff, v25
	v_cvt_i32_f32_e32 v36, v36
	v_lshlrev_b16 v33, 8, v33
	v_and_b32_e32 v28, 0xffff, v28
	v_lshlrev_b32_e32 v24, 16, v24
	v_or_b32_e32 v27, v27, v26
	v_and_b32_e32 v34, 0xff, v36
	v_and_b32_e32 v36, 0xff, v38
	v_cvt_i32_f32_e32 v37, v37
	v_or_b32_e32 v26, v28, v24
	s_delay_alu instid0(VALU_DEP_3) | instskip(NEXT) | instid1(VALU_DEP_3)
	v_or_b32_e32 v30, v36, v35
	v_lshlrev_b16 v31, 8, v37
	s_delay_alu instid0(VALU_DEP_2) | instskip(NEXT) | instid1(VALU_DEP_2)
	v_and_b32_e32 v30, 0xffff, v30
	v_or_b32_e32 v29, v34, v31
	v_or_b32_e32 v31, v32, v33
	s_delay_alu instid0(VALU_DEP_2) | instskip(NEXT) | instid1(VALU_DEP_2)
	v_lshlrev_b32_e32 v29, 16, v29
	v_lshlrev_b32_e32 v31, 16, v31
	s_delay_alu instid0(VALU_DEP_2) | instskip(NEXT) | instid1(VALU_DEP_2)
	v_or_b32_e32 v25, v25, v29
	v_or_b32_e32 v24, v30, v31
	buffer_store_b128 v[24:27], v21, s[36:39], 0 offen
	;;#ASMSTART
	s_nop 0
	;;#ASMEND
	s_branch .LBB123_22
.LBB123_35:
	s_nop 0
	s_sendmsg sendmsg(MSG_DEALLOC_VGPRS)
	s_endpgm
	.section	.rodata,"a",@progbits
	.p2align	6, 0x0
	.amdhsa_kernel _ZN5aiter36smooth_per_token_scaled_quant_kernelItaLi512ELi16ELb1ELb1ELb1ELi1024EEEvPT0_PfPT_S3_PiS6_iiPKiiiiiiiii
		.amdhsa_group_segment_fixed_size 4160
		.amdhsa_private_segment_fixed_size 0
		.amdhsa_kernarg_size 96
		.amdhsa_user_sgpr_count 15
		.amdhsa_user_sgpr_dispatch_ptr 0
		.amdhsa_user_sgpr_queue_ptr 0
		.amdhsa_user_sgpr_kernarg_segment_ptr 1
		.amdhsa_user_sgpr_dispatch_id 0
		.amdhsa_user_sgpr_private_segment_size 0
		.amdhsa_wavefront_size32 1
		.amdhsa_uses_dynamic_stack 0
		.amdhsa_enable_private_segment 0
		.amdhsa_system_sgpr_workgroup_id_x 1
		.amdhsa_system_sgpr_workgroup_id_y 0
		.amdhsa_system_sgpr_workgroup_id_z 0
		.amdhsa_system_sgpr_workgroup_info 0
		.amdhsa_system_vgpr_workitem_id 0
		.amdhsa_next_free_vgpr 48
		.amdhsa_next_free_sgpr 47
		.amdhsa_reserve_vcc 1
		.amdhsa_float_round_mode_32 0
		.amdhsa_float_round_mode_16_64 0
		.amdhsa_float_denorm_mode_32 3
		.amdhsa_float_denorm_mode_16_64 3
		.amdhsa_dx10_clamp 1
		.amdhsa_ieee_mode 1
		.amdhsa_fp16_overflow 0
		.amdhsa_workgroup_processor_mode 1
		.amdhsa_memory_ordered 1
		.amdhsa_forward_progress 0
		.amdhsa_shared_vgpr_count 0
		.amdhsa_exception_fp_ieee_invalid_op 0
		.amdhsa_exception_fp_denorm_src 0
		.amdhsa_exception_fp_ieee_div_zero 0
		.amdhsa_exception_fp_ieee_overflow 0
		.amdhsa_exception_fp_ieee_underflow 0
		.amdhsa_exception_fp_ieee_inexact 0
		.amdhsa_exception_int_div_zero 0
	.end_amdhsa_kernel
	.section	.text._ZN5aiter36smooth_per_token_scaled_quant_kernelItaLi512ELi16ELb1ELb1ELb1ELi1024EEEvPT0_PfPT_S3_PiS6_iiPKiiiiiiiii,"axG",@progbits,_ZN5aiter36smooth_per_token_scaled_quant_kernelItaLi512ELi16ELb1ELb1ELb1ELi1024EEEvPT0_PfPT_S3_PiS6_iiPKiiiiiiiii,comdat
.Lfunc_end123:
	.size	_ZN5aiter36smooth_per_token_scaled_quant_kernelItaLi512ELi16ELb1ELb1ELb1ELi1024EEEvPT0_PfPT_S3_PiS6_iiPKiiiiiiiii, .Lfunc_end123-_ZN5aiter36smooth_per_token_scaled_quant_kernelItaLi512ELi16ELb1ELb1ELb1ELi1024EEEvPT0_PfPT_S3_PiS6_iiPKiiiiiiiii
                                        ; -- End function
	.section	.AMDGPU.csdata,"",@progbits
; Kernel info:
; codeLenInByte = 3920
; NumSgprs: 49
; NumVgprs: 48
; ScratchSize: 0
; MemoryBound: 0
; FloatMode: 240
; IeeeMode: 1
; LDSByteSize: 4160 bytes/workgroup (compile time only)
; SGPRBlocks: 6
; VGPRBlocks: 5
; NumSGPRsForWavesPerEU: 49
; NumVGPRsForWavesPerEU: 48
; Occupancy: 16
; WaveLimiterHint : 0
; COMPUTE_PGM_RSRC2:SCRATCH_EN: 0
; COMPUTE_PGM_RSRC2:USER_SGPR: 15
; COMPUTE_PGM_RSRC2:TRAP_HANDLER: 0
; COMPUTE_PGM_RSRC2:TGID_X_EN: 1
; COMPUTE_PGM_RSRC2:TGID_Y_EN: 0
; COMPUTE_PGM_RSRC2:TGID_Z_EN: 0
; COMPUTE_PGM_RSRC2:TIDIG_COMP_CNT: 0
	.section	.text._ZN5aiter36smooth_per_token_scaled_quant_kernelIDF16_aLi512ELi16ELb1ELb1ELb0ELi1024EEEvPT0_PfPT_S3_PiS6_iiPKiiiiiiiii,"axG",@progbits,_ZN5aiter36smooth_per_token_scaled_quant_kernelIDF16_aLi512ELi16ELb1ELb1ELb0ELi1024EEEvPT0_PfPT_S3_PiS6_iiPKiiiiiiiii,comdat
	.protected	_ZN5aiter36smooth_per_token_scaled_quant_kernelIDF16_aLi512ELi16ELb1ELb1ELb0ELi1024EEEvPT0_PfPT_S3_PiS6_iiPKiiiiiiiii ; -- Begin function _ZN5aiter36smooth_per_token_scaled_quant_kernelIDF16_aLi512ELi16ELb1ELb1ELb0ELi1024EEEvPT0_PfPT_S3_PiS6_iiPKiiiiiiiii
	.globl	_ZN5aiter36smooth_per_token_scaled_quant_kernelIDF16_aLi512ELi16ELb1ELb1ELb0ELi1024EEEvPT0_PfPT_S3_PiS6_iiPKiiiiiiiii
	.p2align	8
	.type	_ZN5aiter36smooth_per_token_scaled_quant_kernelIDF16_aLi512ELi16ELb1ELb1ELb0ELi1024EEEvPT0_PfPT_S3_PiS6_iiPKiiiiiiiii,@function
_ZN5aiter36smooth_per_token_scaled_quant_kernelIDF16_aLi512ELi16ELb1ELb1ELb0ELi1024EEEvPT0_PfPT_S3_PiS6_iiPKiiiiiiiii: ; @_ZN5aiter36smooth_per_token_scaled_quant_kernelIDF16_aLi512ELi16ELb1ELb1ELb0ELi1024EEEvPT0_PfPT_S3_PiS6_iiPKiiiiiiiii
; %bb.0:
	s_clause 0x1
	s_load_b64 s[2:3], s[0:1], 0x38
	s_load_b256 s[4:11], s[0:1], 0x40
	s_waitcnt lgkmcnt(0)
	s_cmp_lg_u64 s[2:3], 0
	s_cbranch_scc0 .LBB124_11
; %bb.1:
	s_load_b32 s2, s[2:3], 0x0
	s_waitcnt lgkmcnt(0)
	s_mul_i32 s4, s2, s4
	s_cbranch_execnz .LBB124_3
.LBB124_2:
	s_mul_i32 s4, s6, s5
.LBB124_3:
	s_load_b64 s[2:3], s[0:1], 0x30
	s_abs_i32 s14, s4
	s_waitcnt lgkmcnt(0)
	s_abs_i32 s11, s2
	s_delay_alu instid0(SALU_CYCLE_1) | instskip(SKIP_1) | instid1(VALU_DEP_1)
	v_cvt_f32_u32_e32 v1, s11
	s_sub_i32 s13, 0, s11
	v_rcp_iflag_f32_e32 v1, v1
	s_waitcnt_depctr 0xfff
	v_mul_f32_e32 v1, 0x4f7ffffe, v1
	s_delay_alu instid0(VALU_DEP_1) | instskip(NEXT) | instid1(VALU_DEP_1)
	v_cvt_u32_f32_e32 v1, v1
	v_readfirstlane_b32 s12, v1
	s_delay_alu instid0(VALU_DEP_1) | instskip(NEXT) | instid1(SALU_CYCLE_1)
	s_mul_i32 s13, s13, s12
	s_mul_hi_u32 s13, s12, s13
	s_delay_alu instid0(SALU_CYCLE_1) | instskip(SKIP_4) | instid1(SALU_CYCLE_1)
	s_add_i32 s12, s12, s13
	s_xor_b32 s13, s4, s2
	s_mul_hi_u32 s12, s14, s12
	s_ashr_i32 s13, s13, 31
	s_mul_i32 s16, s12, s11
	s_sub_i32 s14, s14, s16
	s_add_i32 s16, s12, 1
	s_sub_i32 s17, s14, s11
	s_cmp_ge_u32 s14, s11
	s_cselect_b32 s12, s16, s12
	s_cselect_b32 s14, s17, s14
	s_add_i32 s16, s12, 1
	s_cmp_ge_u32 s14, s11
	s_cselect_b32 s11, s16, s12
	s_mov_b32 s12, 0
	s_xor_b32 s11, s11, s13
	s_delay_alu instid0(SALU_CYCLE_1) | instskip(NEXT) | instid1(SALU_CYCLE_1)
	s_sub_i32 s11, s11, s13
	s_mul_i32 s2, s11, s2
	s_delay_alu instid0(SALU_CYCLE_1) | instskip(NEXT) | instid1(SALU_CYCLE_1)
	s_sub_i32 s13, s4, s2
	s_cmp_lt_u32 s15, s13
	s_cselect_b32 s2, -1, 0
	s_add_i32 s4, s11, 1
	s_cmp_ge_u32 s15, s13
	s_cbranch_scc0 .LBB124_5
; %bb.4:
	s_sub_i32 s14, s15, s13
	s_mul_i32 s13, s13, s4
	s_mul_i32 s14, s14, s11
	s_delay_alu instid0(SALU_CYCLE_1)
	s_add_i32 s34, s14, s13
	s_and_not1_b32 vcc_lo, exec_lo, s12
	s_cbranch_vccz .LBB124_6
	s_branch .LBB124_7
.LBB124_5:
                                        ; implicit-def: $sgpr34
.LBB124_6:
	s_mul_i32 s34, s4, s15
.LBB124_7:
	v_cndmask_b32_e64 v1, 0, 1, s2
	s_delay_alu instid0(VALU_DEP_1) | instskip(NEXT) | instid1(VALU_DEP_1)
	v_readfirstlane_b32 s2, v1
	s_add_i32 s4, s11, s2
	s_delay_alu instid0(SALU_CYCLE_1)
	s_cmp_lt_i32 s4, 1
	s_cbranch_scc1 .LBB124_35
; %bb.8:
	s_load_b64 s[12:13], s[0:1], 0x20
	s_ashr_i32 s35, s34, 31
	v_and_b32_e32 v1, 31, v0
	s_lshl_b64 s[14:15], s[34:35], 2
	s_mov_b32 s42, -1
	v_lshrrev_b32_e32 v3, 3, v0
	s_mov_b32 s23, s42
	v_cmp_eq_u32_e32 vcc_lo, 31, v1
	v_and_b32_e32 v4, 15, v0
	v_lshlrev_b32_e32 v17, 5, v0
	v_lshlrev_b32_e32 v18, 6, v0
	v_and_b32_e32 v19, 0x7c, v3
	v_lshlrev_b32_e32 v21, 4, v0
	v_lshlrev_b32_e32 v20, 2, v4
	s_mov_b32 s33, s3
	s_waitcnt lgkmcnt(0)
	s_add_u32 s20, s12, s14
	s_addc_u32 s2, s13, s15
	s_abs_i32 s11, s6
	s_lshl_b32 s22, s4, 2
	v_cvt_f32_u32_e32 v2, s11
	s_and_b32 s21, s2, 0xffff
	s_load_b256 s[12:19], s[0:1], 0x0
	s_add_i32 s1, s3, 15
	v_cmp_eq_u32_e64 s0, 0, v0
	v_rcp_iflag_f32_e32 v2, v2
	v_lshlrev_b32_e32 v22, 2, v1
	s_ashr_i32 s2, s1, 31
	s_lshl_b32 s26, s3, 1
	s_lshr_b32 s2, s2, 28
	s_lshl_b32 s30, s3, 2
	s_add_i32 s1, s1, s2
	s_ashr_i32 s40, s6, 31
	s_ashr_i32 s1, s1, 4
	s_waitcnt_depctr 0xfff
	v_mul_f32_e32 v1, 0x4f7ffffe, v2
	buffer_load_b32 v16, v22, s[20:23], 0 offen
	s_add_i32 s23, s3, 3
	v_cmp_gt_u32_e64 s1, s1, v0
	s_ashr_i32 s2, s23, 31
	v_cvt_u32_f32_e32 v1, v1
	s_lshr_b32 s2, s2, 30
	s_waitcnt vmcnt(3) expcnt(0) lgkmcnt(55)
	s_add_i32 s23, s23, s2
	s_sub_i32 s2, 0, s11
	v_readfirstlane_b32 s41, v1
	s_and_b32 s38, s23, -4
	s_waitcnt vmcnt(0) lgkmcnt(0)
	s_barrier
	buffer_gl0_inv
	s_mul_i32 s23, s2, s41
	s_delay_alu instid0(SALU_CYCLE_1) | instskip(NEXT) | instid1(SALU_CYCLE_1)
	s_mul_hi_u32 s23, s41, s23
	s_add_i32 s41, s41, s23
	v_readlane_b32 s2, v16, 0
	s_delay_alu instid0(VALU_DEP_1)
	s_cmp_lt_i32 s2, 0
	s_cbranch_scc1 .LBB124_12
; %bb.9:
	s_abs_i32 s23, s34
	s_xor_b32 s27, s35, s40
	s_mul_hi_u32 s24, s23, s41
	s_mov_b32 s31, -1
	s_mul_i32 s25, s24, s11
	s_add_i32 s28, s24, 1
	s_sub_i32 s25, s23, s25
	s_delay_alu instid0(SALU_CYCLE_1)
	s_sub_i32 s29, s25, s11
	s_cmp_ge_u32 s25, s11
	s_cselect_b32 s24, s28, s24
	s_cselect_b32 s25, s29, s25
	s_add_i32 s28, s24, 1
	s_cmp_ge_u32 s25, s11
	s_cselect_b32 s24, s28, s24
	s_delay_alu instid0(SALU_CYCLE_1) | instskip(NEXT) | instid1(SALU_CYCLE_1)
	s_xor_b32 s24, s24, s27
	s_sub_i32 s24, s24, s27
	s_delay_alu instid0(SALU_CYCLE_1) | instskip(SKIP_2) | instid1(SALU_CYCLE_1)
	s_mul_i32 s25, s24, s6
	s_mul_i32 s24, s24, s7
	s_sub_i32 s25, s34, s25
	s_mul_i32 s25, s25, s8
	s_delay_alu instid0(SALU_CYCLE_1) | instskip(NEXT) | instid1(SALU_CYCLE_1)
	s_add_i32 s42, s25, s24
	s_cmp_eq_u32 s42, -1
	s_cbranch_scc1 .LBB124_13
; %bb.10:
	s_mul_hi_i32 s25, s42, s33
	s_mul_i32 s24, s42, s33
	s_mov_b32 s27, s31
	s_lshl_b64 s[24:25], s[24:25], 1
	s_delay_alu instid0(SALU_CYCLE_1) | instskip(SKIP_1) | instid1(SALU_CYCLE_1)
	s_add_u32 s24, s16, s24
	s_addc_u32 s25, s17, s25
	s_and_b32 s25, s25, 0xffff
	s_clause 0x1
	buffer_load_b128 v[4:7], v17, s[24:27], 0 offen
	buffer_load_b128 v[12:15], v17, s[24:27], 16 offen
	s_waitcnt vmcnt(1)
	v_cvt_f32_f16_e32 v0, v4
	v_lshrrev_b32_e32 v1, 16, v4
	v_cvt_f32_f16_e32 v2, v5
	v_lshrrev_b32_e32 v3, 16, v5
	;; [unrolled: 2-line block ×4, first 2 shown]
	s_waitcnt vmcnt(0)
	v_cvt_f32_f16_e32 v8, v12
	v_lshrrev_b32_e32 v9, 16, v12
	v_cvt_f32_f16_e32 v10, v13
	v_lshrrev_b32_e32 v11, 16, v13
	;; [unrolled: 2-line block ×4, first 2 shown]
	v_cvt_f32_f16_e32 v1, v1
	v_cvt_f32_f16_e32 v3, v3
	v_cvt_f32_f16_e32 v5, v5
	v_cvt_f32_f16_e32 v7, v7
	v_cvt_f32_f16_e32 v9, v9
	v_cvt_f32_f16_e32 v11, v11
	v_cvt_f32_f16_e32 v13, v13
	v_cvt_f32_f16_e32 v15, v15
	s_branch .LBB124_14
.LBB124_11:
                                        ; implicit-def: $sgpr4
	s_branch .LBB124_2
.LBB124_12:
                                        ; implicit-def: $vgpr0_vgpr1_vgpr2_vgpr3_vgpr4_vgpr5_vgpr6_vgpr7_vgpr8_vgpr9_vgpr10_vgpr11_vgpr12_vgpr13_vgpr14_vgpr15
	s_cmp_eq_u32 s4, 1
	s_mov_b32 s35, 1
	s_cbranch_scc0 .LBB124_21
	s_branch .LBB124_35
.LBB124_13:
                                        ; implicit-def: $vgpr0_vgpr1_vgpr2_vgpr3_vgpr4_vgpr5_vgpr6_vgpr7_vgpr8_vgpr9_vgpr10_vgpr11_vgpr12_vgpr13_vgpr14_vgpr15
.LBB124_14:
	s_mul_i32 s24, s2, s3
	s_delay_alu instid0(SALU_CYCLE_1) | instskip(NEXT) | instid1(SALU_CYCLE_1)
	s_ashr_i32 s25, s24, 31
	s_lshl_b64 s[24:25], s[24:25], 2
	s_delay_alu instid0(SALU_CYCLE_1) | instskip(SKIP_1) | instid1(SALU_CYCLE_1)
	s_add_u32 s28, s18, s24
	s_addc_u32 s2, s19, s25
	s_and_b32 s29, s2, 0xffff
	s_clause 0x3
	buffer_load_b128 v[23:26], v18, s[28:31], 0 offen
	buffer_load_b128 v[27:30], v18, s[28:31], 16 offen
	buffer_load_b128 v[39:42], v18, s[28:31], 32 offen
	buffer_load_b128 v[43:46], v18, s[28:31], 48 offen
	s_waitcnt vmcnt(3)
	v_dual_mul_f32 v37, v0, v23 :: v_dual_mul_f32 v38, v1, v24
	v_dual_mul_f32 v31, v2, v25 :: v_dual_mul_f32 v32, v3, v26
	s_waitcnt vmcnt(2)
	v_dual_mul_f32 v33, v4, v27 :: v_dual_mul_f32 v34, v5, v28
	s_delay_alu instid0(VALU_DEP_3) | instskip(SKIP_3) | instid1(VALU_DEP_3)
	v_max3_f32 v23, |v37|, 0x2edbe6ff, |v38|
	v_dual_mul_f32 v35, v6, v29 :: v_dual_mul_f32 v36, v7, v30
	s_waitcnt vmcnt(1)
	v_dual_mul_f32 v28, v8, v39 :: v_dual_mul_f32 v29, v9, v40
	v_max3_f32 v23, v23, |v31|, |v32|
	s_waitcnt vmcnt(0)
	v_mul_f32_e32 v26, v12, v43
	v_dual_mul_f32 v30, v13, v44 :: v_dual_mul_f32 v27, v15, v46
	v_mul_f32_e32 v24, v11, v42
	v_max3_f32 v23, v23, |v33|, |v34|
	s_delay_alu instid0(VALU_DEP_1) | instskip(SKIP_1) | instid1(VALU_DEP_2)
	v_max3_f32 v25, v23, |v35|, |v36|
	v_mul_f32_e32 v23, v10, v41
	v_max3_f32 v25, v25, |v28|, |v29|
	s_delay_alu instid0(VALU_DEP_1) | instskip(SKIP_1) | instid1(VALU_DEP_2)
	v_max3_f32 v39, v25, |v23|, |v24|
	v_mul_f32_e32 v25, v14, v45
	v_max3_f32 v39, v39, |v26|, |v30|
	s_delay_alu instid0(VALU_DEP_1) | instskip(NEXT) | instid1(VALU_DEP_1)
	v_max3_f32 v39, v39, |v25|, |v27|
	v_mov_b32_dpp v40, v39 quad_perm:[1,0,3,2] row_mask:0xf bank_mask:0xf
	s_delay_alu instid0(VALU_DEP_1) | instskip(NEXT) | instid1(VALU_DEP_1)
	v_cmp_gt_f32_e64 s2, v39, v40
	v_cndmask_b32_e64 v39, v40, v39, s2
	s_delay_alu instid0(VALU_DEP_1) | instskip(NEXT) | instid1(VALU_DEP_1)
	v_mov_b32_dpp v40, v39 quad_perm:[2,3,0,1] row_mask:0xf bank_mask:0xf
	v_cmp_gt_f32_e64 s2, v39, v40
	s_delay_alu instid0(VALU_DEP_1) | instskip(NEXT) | instid1(VALU_DEP_1)
	v_cndmask_b32_e64 v39, v40, v39, s2
	v_mov_b32_dpp v40, v39 row_xmask:7 row_mask:0xf bank_mask:0xf
	s_delay_alu instid0(VALU_DEP_1) | instskip(NEXT) | instid1(VALU_DEP_1)
	v_cmp_gt_f32_e64 s2, v39, v40
	v_cndmask_b32_e64 v39, v40, v39, s2
	s_delay_alu instid0(VALU_DEP_1) | instskip(NEXT) | instid1(VALU_DEP_1)
	v_mov_b32_dpp v40, v39 row_xmask:15 row_mask:0xf bank_mask:0xf
	v_cmp_gt_f32_e64 s2, v39, v40
	s_and_saveexec_b32 s24, vcc_lo
	s_cbranch_execz .LBB124_16
; %bb.15:
	s_delay_alu instid0(VALU_DEP_1)
	v_cndmask_b32_e64 v39, v40, v39, s2
	s_mov_b32 s2, 0x76543210
	s_delay_alu instid0(VALU_DEP_1) | instid1(SALU_CYCLE_1)
	v_permlanex16_b32 v40, v39, s2, 0xfedcba98 op_sel:[1,1]
	s_delay_alu instid0(VALU_DEP_1) | instskip(NEXT) | instid1(VALU_DEP_1)
	v_cmp_gt_f32_e64 s2, v39, v40
	v_cndmask_b32_e64 v39, v40, v39, s2
	ds_store_b32 v19, v39
.LBB124_16:
	s_or_b32 exec_lo, exec_lo, s24
	s_waitcnt lgkmcnt(0)
	s_barrier
	buffer_gl0_inv
	ds_load_b32 v39, v20
	s_abs_i32 s24, s5
	s_delay_alu instid0(SALU_CYCLE_1) | instskip(NEXT) | instid1(VALU_DEP_1)
	v_cvt_f32_u32_e32 v40, s24
	v_rcp_iflag_f32_e32 v40, v40
	s_waitcnt_depctr 0xfff
	v_mul_f32_e32 v40, 0x4f7ffffe, v40
	s_waitcnt lgkmcnt(0)
	v_mov_b32_dpp v41, v39 quad_perm:[1,0,3,2] row_mask:0xf bank_mask:0xf
	s_delay_alu instid0(VALU_DEP_2) | instskip(NEXT) | instid1(VALU_DEP_2)
	v_cvt_u32_f32_e32 v40, v40
	v_cmp_gt_f32_e64 s2, v39, v41
	s_delay_alu instid0(VALU_DEP_2) | instskip(NEXT) | instid1(VALU_DEP_2)
	v_readfirstlane_b32 s25, v40
	v_cndmask_b32_e64 v39, v41, v39, s2
	s_sub_i32 s2, 0, s24
	s_delay_alu instid0(VALU_DEP_2) | instid1(SALU_CYCLE_1)
	s_mul_i32 s2, s2, s25
	s_delay_alu instid0(VALU_DEP_1) | instskip(SKIP_1) | instid1(SALU_CYCLE_1)
	v_mov_b32_dpp v40, v39 quad_perm:[2,3,0,1] row_mask:0xf bank_mask:0xf
	s_mul_hi_u32 s27, s25, s2
	s_add_i32 s25, s25, s27
	s_delay_alu instid0(VALU_DEP_1) | instskip(SKIP_1) | instid1(SALU_CYCLE_1)
	v_cmp_gt_f32_e64 s2, v39, v40
	s_mul_hi_u32 s25, s23, s25
	s_mul_i32 s27, s25, s24
	s_delay_alu instid0(VALU_DEP_1)
	v_cndmask_b32_e64 v39, v40, v39, s2
	s_ashr_i32 s2, s5, 31
	s_sub_i32 s23, s23, s27
	s_xor_b32 s28, s35, s2
	s_add_i32 s27, s25, 1
	v_mov_b32_dpp v40, v39 row_xmask:7 row_mask:0xf bank_mask:0xf
	s_sub_i32 s29, s23, s24
	s_cmp_ge_u32 s23, s24
	s_cselect_b32 s23, s29, s23
	s_delay_alu instid0(VALU_DEP_1) | instskip(NEXT) | instid1(VALU_DEP_1)
	v_cmp_gt_f32_e64 s2, v39, v40
	v_cndmask_b32_e64 v39, v40, v39, s2
	s_cselect_b32 s2, s27, s25
	s_delay_alu instid0(SALU_CYCLE_1) | instskip(SKIP_1) | instid1(VALU_DEP_1)
	s_add_i32 s25, s2, 1
	s_cmp_ge_u32 s23, s24
	v_mov_b32_dpp v40, v39 row_xmask:15 row_mask:0xf bank_mask:0xf
	s_cselect_b32 s2, s25, s2
	s_delay_alu instid0(SALU_CYCLE_1) | instskip(NEXT) | instid1(VALU_DEP_1)
	s_xor_b32 s23, s2, s28
	v_cmp_gt_f32_e64 s2, v39, v40
	s_delay_alu instid0(VALU_DEP_1) | instskip(SKIP_1) | instid1(SALU_CYCLE_1)
	v_cndmask_b32_e64 v39, v40, v39, s2
	s_sub_i32 s2, s23, s28
	s_mul_i32 s23, s2, s5
	s_mul_i32 s2, s2, s9
	s_sub_i32 s23, s34, s23
	v_mul_f32_e32 v39, 0x3c010204, v39
	s_mul_i32 s23, s23, s10
	s_delay_alu instid0(SALU_CYCLE_1)
	s_add_i32 s24, s23, s2
	s_and_saveexec_b32 s2, s0
	s_cbranch_execz .LBB124_18
; %bb.17:
	s_ashr_i32 s25, s24, 31
	v_mov_b32_e32 v40, 0
	s_lshl_b64 s[28:29], s[24:25], 2
	s_delay_alu instid0(SALU_CYCLE_1)
	s_add_u32 s28, s14, s28
	s_addc_u32 s29, s15, s29
	global_store_b32 v40, v39, s[28:29]
.LBB124_18:
	s_or_b32 exec_lo, exec_lo, s2
	s_and_saveexec_b32 s2, s1
	s_cbranch_execz .LBB124_20
; %bb.19:
	v_rcp_f32_e32 v39, v39
	s_mul_i32 s23, s24, s33
	s_mul_hi_i32 s24, s24, s33
	s_add_u32 s36, s12, s23
	s_addc_u32 s23, s13, s24
	s_mov_b32 s39, -1
	s_and_b32 s37, s23, 0xffff
	s_waitcnt_depctr 0xfff
	v_mul_f32_e32 v30, v30, v39
	v_mul_f32_e32 v26, v26, v39
	;; [unrolled: 1-line block ×5, first 2 shown]
	v_cvt_i32_f32_e32 v30, v30
	v_cvt_i32_f32_e32 v26, v26
	v_mul_f32_e32 v37, v37, v39
	v_mul_f32_e32 v25, v25, v39
	v_cvt_i32_f32_e32 v28, v28
	v_lshlrev_b16 v30, 8, v30
	v_and_b32_e32 v26, 0xff, v26
	v_cvt_i32_f32_e32 v27, v27
	v_cvt_i32_f32_e32 v25, v25
	;; [unrolled: 1-line block ×3, first 2 shown]
	v_mul_f32_e32 v38, v38, v39
	v_or_b32_e32 v26, v26, v30
	v_mul_f32_e32 v33, v33, v39
	v_dual_mul_f32 v31, v31, v39 :: v_dual_and_b32 v28, 0xff, v28
	v_lshlrev_b16 v27, 8, v27
	v_and_b32_e32 v25, 0xff, v25
	v_lshlrev_b16 v29, 8, v29
	v_mul_f32_e32 v24, v24, v39
	v_dual_mul_f32 v23, v23, v39 :: v_dual_and_b32 v26, 0xffff, v26
	v_cvt_i32_f32_e32 v33, v33
	v_mul_f32_e32 v34, v34, v39
	v_or_b32_e32 v25, v25, v27
	v_or_b32_e32 v27, v28, v29
	v_cvt_i32_f32_e32 v24, v24
	v_and_b32_e32 v29, 0xff, v33
	v_cvt_i32_f32_e32 v34, v34
	v_cvt_i32_f32_e32 v23, v23
	v_dual_mul_f32 v32, v32, v39 :: v_dual_lshlrev_b32 v25, 16, v25
	v_lshlrev_b16 v24, 8, v24
	s_delay_alu instid0(VALU_DEP_4) | instskip(NEXT) | instid1(VALU_DEP_4)
	v_lshlrev_b16 v28, 8, v34
	v_and_b32_e32 v23, 0xff, v23
	v_cvt_i32_f32_e32 v37, v37
	v_mul_f32_e32 v36, v36, v39
	v_cvt_i32_f32_e32 v38, v38
	v_cvt_i32_f32_e32 v31, v31
	v_or_b32_e32 v23, v23, v24
	v_or_b32_e32 v24, v29, v28
	v_mul_f32_e32 v35, v35, v39
	v_cvt_i32_f32_e32 v32, v32
	v_lshlrev_b16 v34, 8, v38
	v_and_b32_e32 v31, 0xff, v31
	v_and_b32_e32 v24, 0xffff, v24
	v_cvt_i32_f32_e32 v35, v35
	v_lshlrev_b16 v32, 8, v32
	v_and_b32_e32 v27, 0xffff, v27
	v_lshlrev_b32_e32 v23, 16, v23
	v_or_b32_e32 v26, v26, v25
	v_and_b32_e32 v33, 0xff, v35
	v_and_b32_e32 v35, 0xff, v37
	v_cvt_i32_f32_e32 v36, v36
	v_or_b32_e32 v25, v27, v23
	s_delay_alu instid0(VALU_DEP_3) | instskip(NEXT) | instid1(VALU_DEP_3)
	v_or_b32_e32 v29, v35, v34
	v_lshlrev_b16 v30, 8, v36
	s_delay_alu instid0(VALU_DEP_2) | instskip(NEXT) | instid1(VALU_DEP_2)
	v_and_b32_e32 v29, 0xffff, v29
	v_or_b32_e32 v28, v33, v30
	v_or_b32_e32 v30, v31, v32
	s_delay_alu instid0(VALU_DEP_2) | instskip(NEXT) | instid1(VALU_DEP_2)
	v_lshlrev_b32_e32 v28, 16, v28
	v_lshlrev_b32_e32 v30, 16, v30
	s_delay_alu instid0(VALU_DEP_2) | instskip(NEXT) | instid1(VALU_DEP_2)
	v_or_b32_e32 v24, v24, v28
	v_or_b32_e32 v23, v29, v30
	buffer_store_b128 v[23:26], v21, s[36:39], 0 offen
	;;#ASMSTART
	s_nop 0
	;;#ASMEND
.LBB124_20:
	s_or_b32 exec_lo, exec_lo, s2
	s_cmp_eq_u32 s4, 1
	s_mov_b32 s35, 1
	s_cbranch_scc1 .LBB124_35
.LBB124_21:
	s_abs_i32 s43, s5
	s_ashr_i32 s44, s5, 31
	v_cvt_f32_u32_e32 v23, s43
	s_sub_i32 s23, 0, s43
	s_mov_b32 s31, -1
	s_mov_b32 s46, 0x76543210
	v_add_nc_u32_e32 v22, 4, v22
	v_rcp_iflag_f32_e32 v23, v23
	s_waitcnt_depctr 0xfff
	v_mul_f32_e32 v23, 0x4f7ffffe, v23
	s_delay_alu instid0(VALU_DEP_1) | instskip(NEXT) | instid1(VALU_DEP_1)
	v_cvt_u32_f32_e32 v23, v23
	v_readfirstlane_b32 s2, v23
	v_mov_b32_e32 v23, 0
	s_delay_alu instid0(VALU_DEP_2) | instskip(NEXT) | instid1(SALU_CYCLE_1)
	s_mul_i32 s23, s23, s2
	s_mul_hi_u32 s23, s2, s23
	s_delay_alu instid0(SALU_CYCLE_1)
	s_add_i32 s45, s2, s23
	s_branch .LBB124_24
.LBB124_22:                             ;   in Loop: Header=BB124_24 Depth=1
	s_or_b32 exec_lo, exec_lo, s2
.LBB124_23:                             ;   in Loop: Header=BB124_24 Depth=1
	v_add_nc_u32_e32 v22, 4, v22
	s_add_i32 s35, s35, 1
	s_delay_alu instid0(SALU_CYCLE_1)
	s_cmp_eq_u32 s4, s35
	s_cbranch_scc1 .LBB124_35
.LBB124_24:                             ; =>This Inner Loop Header: Depth=1
	s_and_b32 s2, s35, 31
	s_delay_alu instid0(SALU_CYCLE_1)
	s_cmp_lg_u32 s2, 0
	s_cbranch_scc1 .LBB124_26
; %bb.25:                               ;   in Loop: Header=BB124_24 Depth=1
	s_mov_b32 s23, s31
	buffer_load_b32 v16, v22, s[20:23], 0 offen
	s_waitcnt vmcnt(3) expcnt(0) lgkmcnt(55)
.LBB124_26:                             ;   in Loop: Header=BB124_24 Depth=1
	s_waitcnt vmcnt(0)
	v_readlane_b32 s2, v16, s2
	s_delay_alu instid0(VALU_DEP_1)
	s_cmp_lt_i32 s2, 0
	s_cbranch_scc1 .LBB124_23
; %bb.27:                               ;   in Loop: Header=BB124_24 Depth=1
	s_add_i32 s23, s34, s35
	s_delay_alu instid0(SALU_CYCLE_1)
	s_abs_i32 s36, s23
	s_ashr_i32 s37, s23, 31
	s_mul_hi_u32 s24, s36, s41
	s_xor_b32 s27, s37, s40
	s_mul_i32 s25, s24, s11
	s_add_i32 s28, s24, 1
	s_sub_i32 s25, s36, s25
	s_delay_alu instid0(SALU_CYCLE_1)
	s_sub_i32 s29, s25, s11
	s_cmp_ge_u32 s25, s11
	s_cselect_b32 s24, s28, s24
	s_cselect_b32 s25, s29, s25
	s_add_i32 s28, s24, 1
	s_cmp_ge_u32 s25, s11
	s_cselect_b32 s24, s28, s24
	s_delay_alu instid0(SALU_CYCLE_1) | instskip(NEXT) | instid1(SALU_CYCLE_1)
	s_xor_b32 s24, s24, s27
	s_sub_i32 s24, s24, s27
	s_delay_alu instid0(SALU_CYCLE_1) | instskip(SKIP_2) | instid1(SALU_CYCLE_1)
	s_mul_i32 s25, s24, s6
	s_mul_i32 s24, s24, s7
	s_sub_i32 s25, s23, s25
	s_mul_i32 s28, s25, s8
	s_delay_alu instid0(SALU_CYCLE_1) | instskip(NEXT) | instid1(SALU_CYCLE_1)
	s_add_i32 s28, s28, s24
	s_cmp_eq_u32 s28, s42
	s_cbranch_scc1 .LBB124_29
; %bb.28:                               ;   in Loop: Header=BB124_24 Depth=1
	s_mul_hi_i32 s25, s28, s33
	s_mul_i32 s24, s28, s33
	s_mov_b32 s27, s31
	s_lshl_b64 s[24:25], s[24:25], 1
	s_mov_b32 s42, s28
	s_add_u32 s24, s16, s24
	s_addc_u32 s25, s17, s25
	s_delay_alu instid0(SALU_CYCLE_1)
	s_and_b32 s25, s25, 0xffff
	s_clause 0x1
	buffer_load_b128 v[4:7], v17, s[24:27], 0 offen
	buffer_load_b128 v[12:15], v17, s[24:27], 16 offen
	s_waitcnt vmcnt(1)
	v_cvt_f32_f16_e32 v0, v4
	v_lshrrev_b32_e32 v1, 16, v4
	v_cvt_f32_f16_e32 v2, v5
	v_lshrrev_b32_e32 v3, 16, v5
	;; [unrolled: 2-line block ×4, first 2 shown]
	s_waitcnt vmcnt(0)
	v_cvt_f32_f16_e32 v8, v12
	v_lshrrev_b32_e32 v9, 16, v12
	v_cvt_f32_f16_e32 v10, v13
	v_lshrrev_b32_e32 v11, 16, v13
	v_cvt_f32_f16_e32 v12, v14
	v_lshrrev_b32_e32 v13, 16, v14
	v_cvt_f32_f16_e32 v14, v15
	v_lshrrev_b32_e32 v15, 16, v15
	v_cvt_f32_f16_e32 v1, v1
	v_cvt_f32_f16_e32 v3, v3
	;; [unrolled: 1-line block ×8, first 2 shown]
.LBB124_29:                             ;   in Loop: Header=BB124_24 Depth=1
	s_mul_i32 s24, s2, s3
	s_delay_alu instid0(SALU_CYCLE_1) | instskip(NEXT) | instid1(SALU_CYCLE_1)
	s_ashr_i32 s25, s24, 31
	s_lshl_b64 s[24:25], s[24:25], 2
	s_delay_alu instid0(SALU_CYCLE_1) | instskip(SKIP_1) | instid1(SALU_CYCLE_1)
	s_add_u32 s28, s18, s24
	s_addc_u32 s2, s19, s25
	s_and_b32 s29, s2, 0xffff
	s_clause 0x3
	buffer_load_b128 v[24:27], v18, s[28:31], 0 offen
	buffer_load_b128 v[28:31], v18, s[28:31], 16 offen
	;; [unrolled: 1-line block ×4, first 2 shown]
	s_waitcnt vmcnt(3)
	v_dual_mul_f32 v38, v0, v24 :: v_dual_mul_f32 v39, v1, v25
	v_dual_mul_f32 v32, v2, v26 :: v_dual_mul_f32 v33, v3, v27
	s_waitcnt vmcnt(2)
	v_dual_mul_f32 v34, v4, v28 :: v_dual_mul_f32 v35, v5, v29
	s_delay_alu instid0(VALU_DEP_3) | instskip(SKIP_3) | instid1(VALU_DEP_3)
	v_max3_f32 v24, |v38|, 0x2edbe6ff, |v39|
	v_dual_mul_f32 v36, v6, v30 :: v_dual_mul_f32 v37, v7, v31
	s_waitcnt vmcnt(1)
	v_dual_mul_f32 v29, v8, v40 :: v_dual_mul_f32 v30, v9, v41
	v_max3_f32 v24, v24, |v32|, |v33|
	s_waitcnt vmcnt(0)
	v_mul_f32_e32 v27, v12, v44
	v_dual_mul_f32 v31, v13, v45 :: v_dual_mul_f32 v28, v15, v47
	v_mul_f32_e32 v25, v11, v43
	v_max3_f32 v24, v24, |v34|, |v35|
	s_delay_alu instid0(VALU_DEP_1) | instskip(SKIP_1) | instid1(VALU_DEP_2)
	v_max3_f32 v26, v24, |v36|, |v37|
	v_mul_f32_e32 v24, v10, v42
	v_max3_f32 v26, v26, |v29|, |v30|
	s_delay_alu instid0(VALU_DEP_1) | instskip(SKIP_1) | instid1(VALU_DEP_2)
	v_max3_f32 v40, v26, |v24|, |v25|
	v_mul_f32_e32 v26, v14, v46
	v_max3_f32 v40, v40, |v27|, |v31|
	s_delay_alu instid0(VALU_DEP_1) | instskip(NEXT) | instid1(VALU_DEP_1)
	v_max3_f32 v40, v40, |v26|, |v28|
	v_mov_b32_dpp v41, v40 quad_perm:[1,0,3,2] row_mask:0xf bank_mask:0xf
	s_delay_alu instid0(VALU_DEP_1) | instskip(NEXT) | instid1(VALU_DEP_1)
	v_cmp_gt_f32_e64 s2, v40, v41
	v_cndmask_b32_e64 v40, v41, v40, s2
	s_delay_alu instid0(VALU_DEP_1) | instskip(NEXT) | instid1(VALU_DEP_1)
	v_mov_b32_dpp v41, v40 quad_perm:[2,3,0,1] row_mask:0xf bank_mask:0xf
	v_cmp_gt_f32_e64 s2, v40, v41
	s_delay_alu instid0(VALU_DEP_1) | instskip(NEXT) | instid1(VALU_DEP_1)
	v_cndmask_b32_e64 v40, v41, v40, s2
	v_mov_b32_dpp v41, v40 row_xmask:7 row_mask:0xf bank_mask:0xf
	s_delay_alu instid0(VALU_DEP_1) | instskip(NEXT) | instid1(VALU_DEP_1)
	v_cmp_gt_f32_e64 s2, v40, v41
	v_cndmask_b32_e64 v40, v41, v40, s2
	s_delay_alu instid0(VALU_DEP_1) | instskip(NEXT) | instid1(VALU_DEP_1)
	v_mov_b32_dpp v41, v40 row_xmask:15 row_mask:0xf bank_mask:0xf
	v_cmp_gt_f32_e64 s2, v40, v41
	s_and_saveexec_b32 s24, vcc_lo
	s_cbranch_execz .LBB124_31
; %bb.30:                               ;   in Loop: Header=BB124_24 Depth=1
	s_delay_alu instid0(VALU_DEP_1) | instskip(NEXT) | instid1(VALU_DEP_1)
	v_cndmask_b32_e64 v40, v41, v40, s2
	v_permlanex16_b32 v41, v40, s46, 0xfedcba98 op_sel:[1,1]
	s_delay_alu instid0(VALU_DEP_1) | instskip(NEXT) | instid1(VALU_DEP_1)
	v_cmp_gt_f32_e64 s2, v40, v41
	v_cndmask_b32_e64 v40, v41, v40, s2
	ds_store_b32 v19, v40
.LBB124_31:                             ;   in Loop: Header=BB124_24 Depth=1
	s_or_b32 exec_lo, exec_lo, s24
	s_waitcnt lgkmcnt(0)
	s_waitcnt_vscnt null, 0x0
	s_barrier
	buffer_gl0_inv
	ds_load_b32 v40, v20
	s_mul_hi_u32 s24, s36, s45
	s_xor_b32 s27, s37, s44
	s_mul_i32 s25, s24, s43
	s_waitcnt lgkmcnt(0)
	v_mov_b32_dpp v41, v40 quad_perm:[1,0,3,2] row_mask:0xf bank_mask:0xf
	s_delay_alu instid0(VALU_DEP_1) | instskip(NEXT) | instid1(VALU_DEP_1)
	v_cmp_gt_f32_e64 s2, v40, v41
	v_cndmask_b32_e64 v40, v41, v40, s2
	s_delay_alu instid0(VALU_DEP_1) | instskip(NEXT) | instid1(VALU_DEP_1)
	v_mov_b32_dpp v41, v40 quad_perm:[2,3,0,1] row_mask:0xf bank_mask:0xf
	v_cmp_gt_f32_e64 s2, v40, v41
	s_delay_alu instid0(VALU_DEP_1)
	v_cndmask_b32_e64 v40, v41, v40, s2
	s_sub_i32 s2, s36, s25
	s_add_i32 s25, s24, 1
	s_sub_i32 s28, s2, s43
	s_cmp_ge_u32 s2, s43
	v_mov_b32_dpp v41, v40 row_xmask:7 row_mask:0xf bank_mask:0xf
	s_cselect_b32 s24, s25, s24
	s_cselect_b32 s25, s28, s2
	s_delay_alu instid0(VALU_DEP_1) | instskip(NEXT) | instid1(VALU_DEP_1)
	v_cmp_gt_f32_e64 s2, v40, v41
	v_cndmask_b32_e64 v40, v41, v40, s2
	s_add_i32 s2, s24, 1
	s_cmp_ge_u32 s25, s43
	s_cselect_b32 s2, s2, s24
	s_delay_alu instid0(VALU_DEP_1) | instskip(SKIP_1) | instid1(SALU_CYCLE_1)
	v_mov_b32_dpp v41, v40 row_xmask:15 row_mask:0xf bank_mask:0xf
	s_xor_b32 s2, s2, s27
	s_sub_i32 s24, s2, s27
	s_delay_alu instid0(VALU_DEP_1) | instskip(NEXT) | instid1(VALU_DEP_1)
	v_cmp_gt_f32_e64 s2, v40, v41
	v_cndmask_b32_e64 v40, v41, v40, s2
	s_mul_i32 s2, s24, s5
	s_mul_i32 s24, s24, s9
	s_sub_i32 s2, s23, s2
	s_delay_alu instid0(VALU_DEP_1) | instskip(SKIP_1) | instid1(SALU_CYCLE_1)
	v_mul_f32_e32 v40, 0x3c010204, v40
	s_mul_i32 s2, s2, s10
	s_add_i32 s24, s2, s24
	s_and_saveexec_b32 s2, s0
	s_cbranch_execz .LBB124_33
; %bb.32:                               ;   in Loop: Header=BB124_24 Depth=1
	s_ashr_i32 s25, s24, 31
	s_delay_alu instid0(SALU_CYCLE_1) | instskip(NEXT) | instid1(SALU_CYCLE_1)
	s_lshl_b64 s[28:29], s[24:25], 2
	s_add_u32 s28, s14, s28
	s_addc_u32 s29, s15, s29
	global_store_b32 v23, v40, s[28:29]
.LBB124_33:                             ;   in Loop: Header=BB124_24 Depth=1
	s_or_b32 exec_lo, exec_lo, s2
	s_and_saveexec_b32 s2, s1
	s_cbranch_execz .LBB124_22
; %bb.34:                               ;   in Loop: Header=BB124_24 Depth=1
	v_rcp_f32_e32 v40, v40
	s_mul_i32 s23, s24, s33
	s_mul_hi_i32 s24, s24, s33
	s_add_u32 s36, s12, s23
	s_addc_u32 s23, s13, s24
	s_mov_b32 s39, s31
	s_and_b32 s37, s23, 0xffff
	s_waitcnt_depctr 0xfff
	v_mul_f32_e32 v31, v31, v40
	v_mul_f32_e32 v27, v27, v40
	;; [unrolled: 1-line block ×5, first 2 shown]
	v_cvt_i32_f32_e32 v31, v31
	v_cvt_i32_f32_e32 v27, v27
	v_mul_f32_e32 v38, v38, v40
	v_mul_f32_e32 v26, v26, v40
	v_cvt_i32_f32_e32 v29, v29
	v_lshlrev_b16 v31, 8, v31
	v_and_b32_e32 v27, 0xff, v27
	v_cvt_i32_f32_e32 v28, v28
	v_cvt_i32_f32_e32 v26, v26
	;; [unrolled: 1-line block ×3, first 2 shown]
	v_mul_f32_e32 v39, v39, v40
	v_or_b32_e32 v27, v27, v31
	v_mul_f32_e32 v34, v34, v40
	v_dual_mul_f32 v32, v32, v40 :: v_dual_and_b32 v29, 0xff, v29
	v_lshlrev_b16 v28, 8, v28
	v_and_b32_e32 v26, 0xff, v26
	v_lshlrev_b16 v30, 8, v30
	v_mul_f32_e32 v25, v25, v40
	v_dual_mul_f32 v24, v24, v40 :: v_dual_and_b32 v27, 0xffff, v27
	v_cvt_i32_f32_e32 v34, v34
	v_mul_f32_e32 v35, v35, v40
	v_or_b32_e32 v26, v26, v28
	v_or_b32_e32 v28, v29, v30
	v_cvt_i32_f32_e32 v25, v25
	v_and_b32_e32 v30, 0xff, v34
	v_cvt_i32_f32_e32 v35, v35
	v_cvt_i32_f32_e32 v24, v24
	v_dual_mul_f32 v33, v33, v40 :: v_dual_lshlrev_b32 v26, 16, v26
	v_lshlrev_b16 v25, 8, v25
	s_delay_alu instid0(VALU_DEP_4) | instskip(NEXT) | instid1(VALU_DEP_4)
	v_lshlrev_b16 v29, 8, v35
	v_and_b32_e32 v24, 0xff, v24
	v_cvt_i32_f32_e32 v38, v38
	v_mul_f32_e32 v37, v37, v40
	v_cvt_i32_f32_e32 v39, v39
	v_cvt_i32_f32_e32 v32, v32
	v_or_b32_e32 v24, v24, v25
	v_or_b32_e32 v25, v30, v29
	v_mul_f32_e32 v36, v36, v40
	v_cvt_i32_f32_e32 v33, v33
	v_lshlrev_b16 v35, 8, v39
	v_and_b32_e32 v32, 0xff, v32
	v_and_b32_e32 v25, 0xffff, v25
	v_cvt_i32_f32_e32 v36, v36
	v_lshlrev_b16 v33, 8, v33
	v_and_b32_e32 v28, 0xffff, v28
	v_lshlrev_b32_e32 v24, 16, v24
	v_or_b32_e32 v27, v27, v26
	v_and_b32_e32 v34, 0xff, v36
	v_and_b32_e32 v36, 0xff, v38
	v_cvt_i32_f32_e32 v37, v37
	v_or_b32_e32 v26, v28, v24
	s_delay_alu instid0(VALU_DEP_3) | instskip(NEXT) | instid1(VALU_DEP_3)
	v_or_b32_e32 v30, v36, v35
	v_lshlrev_b16 v31, 8, v37
	s_delay_alu instid0(VALU_DEP_2) | instskip(NEXT) | instid1(VALU_DEP_2)
	v_and_b32_e32 v30, 0xffff, v30
	v_or_b32_e32 v29, v34, v31
	v_or_b32_e32 v31, v32, v33
	s_delay_alu instid0(VALU_DEP_2) | instskip(NEXT) | instid1(VALU_DEP_2)
	v_lshlrev_b32_e32 v29, 16, v29
	v_lshlrev_b32_e32 v31, 16, v31
	s_delay_alu instid0(VALU_DEP_2) | instskip(NEXT) | instid1(VALU_DEP_2)
	v_or_b32_e32 v25, v25, v29
	v_or_b32_e32 v24, v30, v31
	buffer_store_b128 v[24:27], v21, s[36:39], 0 offen
	;;#ASMSTART
	s_nop 0
	;;#ASMEND
	s_branch .LBB124_22
.LBB124_35:
	s_nop 0
	s_sendmsg sendmsg(MSG_DEALLOC_VGPRS)
	s_endpgm
	.section	.rodata,"a",@progbits
	.p2align	6, 0x0
	.amdhsa_kernel _ZN5aiter36smooth_per_token_scaled_quant_kernelIDF16_aLi512ELi16ELb1ELb1ELb0ELi1024EEEvPT0_PfPT_S3_PiS6_iiPKiiiiiiiii
		.amdhsa_group_segment_fixed_size 64
		.amdhsa_private_segment_fixed_size 0
		.amdhsa_kernarg_size 96
		.amdhsa_user_sgpr_count 15
		.amdhsa_user_sgpr_dispatch_ptr 0
		.amdhsa_user_sgpr_queue_ptr 0
		.amdhsa_user_sgpr_kernarg_segment_ptr 1
		.amdhsa_user_sgpr_dispatch_id 0
		.amdhsa_user_sgpr_private_segment_size 0
		.amdhsa_wavefront_size32 1
		.amdhsa_uses_dynamic_stack 0
		.amdhsa_enable_private_segment 0
		.amdhsa_system_sgpr_workgroup_id_x 1
		.amdhsa_system_sgpr_workgroup_id_y 0
		.amdhsa_system_sgpr_workgroup_id_z 0
		.amdhsa_system_sgpr_workgroup_info 0
		.amdhsa_system_vgpr_workitem_id 0
		.amdhsa_next_free_vgpr 48
		.amdhsa_next_free_sgpr 47
		.amdhsa_reserve_vcc 1
		.amdhsa_float_round_mode_32 0
		.amdhsa_float_round_mode_16_64 0
		.amdhsa_float_denorm_mode_32 3
		.amdhsa_float_denorm_mode_16_64 3
		.amdhsa_dx10_clamp 1
		.amdhsa_ieee_mode 1
		.amdhsa_fp16_overflow 0
		.amdhsa_workgroup_processor_mode 1
		.amdhsa_memory_ordered 1
		.amdhsa_forward_progress 0
		.amdhsa_shared_vgpr_count 0
		.amdhsa_exception_fp_ieee_invalid_op 0
		.amdhsa_exception_fp_denorm_src 0
		.amdhsa_exception_fp_ieee_div_zero 0
		.amdhsa_exception_fp_ieee_overflow 0
		.amdhsa_exception_fp_ieee_underflow 0
		.amdhsa_exception_fp_ieee_inexact 0
		.amdhsa_exception_int_div_zero 0
	.end_amdhsa_kernel
	.section	.text._ZN5aiter36smooth_per_token_scaled_quant_kernelIDF16_aLi512ELi16ELb1ELb1ELb0ELi1024EEEvPT0_PfPT_S3_PiS6_iiPKiiiiiiiii,"axG",@progbits,_ZN5aiter36smooth_per_token_scaled_quant_kernelIDF16_aLi512ELi16ELb1ELb1ELb0ELi1024EEEvPT0_PfPT_S3_PiS6_iiPKiiiiiiiii,comdat
.Lfunc_end124:
	.size	_ZN5aiter36smooth_per_token_scaled_quant_kernelIDF16_aLi512ELi16ELb1ELb1ELb0ELi1024EEEvPT0_PfPT_S3_PiS6_iiPKiiiiiiiii, .Lfunc_end124-_ZN5aiter36smooth_per_token_scaled_quant_kernelIDF16_aLi512ELi16ELb1ELb1ELb0ELi1024EEEvPT0_PfPT_S3_PiS6_iiPKiiiiiiiii
                                        ; -- End function
	.section	.AMDGPU.csdata,"",@progbits
; Kernel info:
; codeLenInByte = 3696
; NumSgprs: 49
; NumVgprs: 48
; ScratchSize: 0
; MemoryBound: 0
; FloatMode: 240
; IeeeMode: 1
; LDSByteSize: 64 bytes/workgroup (compile time only)
; SGPRBlocks: 6
; VGPRBlocks: 5
; NumSGPRsForWavesPerEU: 49
; NumVGPRsForWavesPerEU: 48
; Occupancy: 16
; WaveLimiterHint : 0
; COMPUTE_PGM_RSRC2:SCRATCH_EN: 0
; COMPUTE_PGM_RSRC2:USER_SGPR: 15
; COMPUTE_PGM_RSRC2:TRAP_HANDLER: 0
; COMPUTE_PGM_RSRC2:TGID_X_EN: 1
; COMPUTE_PGM_RSRC2:TGID_Y_EN: 0
; COMPUTE_PGM_RSRC2:TGID_Z_EN: 0
; COMPUTE_PGM_RSRC2:TIDIG_COMP_CNT: 0
	.section	.text._ZN5aiter36smooth_per_token_scaled_quant_kernelItaLi512ELi16ELb1ELb1ELb0ELi1024EEEvPT0_PfPT_S3_PiS6_iiPKiiiiiiiii,"axG",@progbits,_ZN5aiter36smooth_per_token_scaled_quant_kernelItaLi512ELi16ELb1ELb1ELb0ELi1024EEEvPT0_PfPT_S3_PiS6_iiPKiiiiiiiii,comdat
	.protected	_ZN5aiter36smooth_per_token_scaled_quant_kernelItaLi512ELi16ELb1ELb1ELb0ELi1024EEEvPT0_PfPT_S3_PiS6_iiPKiiiiiiiii ; -- Begin function _ZN5aiter36smooth_per_token_scaled_quant_kernelItaLi512ELi16ELb1ELb1ELb0ELi1024EEEvPT0_PfPT_S3_PiS6_iiPKiiiiiiiii
	.globl	_ZN5aiter36smooth_per_token_scaled_quant_kernelItaLi512ELi16ELb1ELb1ELb0ELi1024EEEvPT0_PfPT_S3_PiS6_iiPKiiiiiiiii
	.p2align	8
	.type	_ZN5aiter36smooth_per_token_scaled_quant_kernelItaLi512ELi16ELb1ELb1ELb0ELi1024EEEvPT0_PfPT_S3_PiS6_iiPKiiiiiiiii,@function
_ZN5aiter36smooth_per_token_scaled_quant_kernelItaLi512ELi16ELb1ELb1ELb0ELi1024EEEvPT0_PfPT_S3_PiS6_iiPKiiiiiiiii: ; @_ZN5aiter36smooth_per_token_scaled_quant_kernelItaLi512ELi16ELb1ELb1ELb0ELi1024EEEvPT0_PfPT_S3_PiS6_iiPKiiiiiiiii
; %bb.0:
	s_clause 0x1
	s_load_b64 s[2:3], s[0:1], 0x38
	s_load_b256 s[4:11], s[0:1], 0x40
	s_waitcnt lgkmcnt(0)
	s_cmp_lg_u64 s[2:3], 0
	s_cbranch_scc0 .LBB125_11
; %bb.1:
	s_load_b32 s2, s[2:3], 0x0
	s_waitcnt lgkmcnt(0)
	s_mul_i32 s4, s2, s4
	s_cbranch_execnz .LBB125_3
.LBB125_2:
	s_mul_i32 s4, s6, s5
.LBB125_3:
	s_load_b64 s[2:3], s[0:1], 0x30
	s_abs_i32 s14, s4
	s_waitcnt lgkmcnt(0)
	s_abs_i32 s11, s2
	s_delay_alu instid0(SALU_CYCLE_1) | instskip(SKIP_1) | instid1(VALU_DEP_1)
	v_cvt_f32_u32_e32 v1, s11
	s_sub_i32 s13, 0, s11
	v_rcp_iflag_f32_e32 v1, v1
	s_waitcnt_depctr 0xfff
	v_mul_f32_e32 v1, 0x4f7ffffe, v1
	s_delay_alu instid0(VALU_DEP_1) | instskip(NEXT) | instid1(VALU_DEP_1)
	v_cvt_u32_f32_e32 v1, v1
	v_readfirstlane_b32 s12, v1
	s_delay_alu instid0(VALU_DEP_1) | instskip(NEXT) | instid1(SALU_CYCLE_1)
	s_mul_i32 s13, s13, s12
	s_mul_hi_u32 s13, s12, s13
	s_delay_alu instid0(SALU_CYCLE_1) | instskip(SKIP_4) | instid1(SALU_CYCLE_1)
	s_add_i32 s12, s12, s13
	s_xor_b32 s13, s4, s2
	s_mul_hi_u32 s12, s14, s12
	s_ashr_i32 s13, s13, 31
	s_mul_i32 s16, s12, s11
	s_sub_i32 s14, s14, s16
	s_add_i32 s16, s12, 1
	s_sub_i32 s17, s14, s11
	s_cmp_ge_u32 s14, s11
	s_cselect_b32 s12, s16, s12
	s_cselect_b32 s14, s17, s14
	s_add_i32 s16, s12, 1
	s_cmp_ge_u32 s14, s11
	s_cselect_b32 s11, s16, s12
	s_mov_b32 s12, 0
	s_xor_b32 s11, s11, s13
	s_delay_alu instid0(SALU_CYCLE_1) | instskip(NEXT) | instid1(SALU_CYCLE_1)
	s_sub_i32 s11, s11, s13
	s_mul_i32 s2, s11, s2
	s_delay_alu instid0(SALU_CYCLE_1) | instskip(NEXT) | instid1(SALU_CYCLE_1)
	s_sub_i32 s13, s4, s2
	s_cmp_lt_u32 s15, s13
	s_cselect_b32 s2, -1, 0
	s_add_i32 s4, s11, 1
	s_cmp_ge_u32 s15, s13
	s_cbranch_scc0 .LBB125_5
; %bb.4:
	s_sub_i32 s14, s15, s13
	s_mul_i32 s13, s13, s4
	s_mul_i32 s14, s14, s11
	s_delay_alu instid0(SALU_CYCLE_1)
	s_add_i32 s34, s14, s13
	s_and_not1_b32 vcc_lo, exec_lo, s12
	s_cbranch_vccz .LBB125_6
	s_branch .LBB125_7
.LBB125_5:
                                        ; implicit-def: $sgpr34
.LBB125_6:
	s_mul_i32 s34, s4, s15
.LBB125_7:
	v_cndmask_b32_e64 v1, 0, 1, s2
	s_delay_alu instid0(VALU_DEP_1) | instskip(NEXT) | instid1(VALU_DEP_1)
	v_readfirstlane_b32 s2, v1
	s_add_i32 s4, s11, s2
	s_delay_alu instid0(SALU_CYCLE_1)
	s_cmp_lt_i32 s4, 1
	s_cbranch_scc1 .LBB125_35
; %bb.8:
	s_load_b64 s[12:13], s[0:1], 0x20
	s_ashr_i32 s35, s34, 31
	v_and_b32_e32 v1, 31, v0
	s_lshl_b64 s[14:15], s[34:35], 2
	s_mov_b32 s42, -1
	v_lshrrev_b32_e32 v3, 3, v0
	s_mov_b32 s23, s42
	v_cmp_eq_u32_e32 vcc_lo, 31, v1
	v_and_b32_e32 v4, 15, v0
	v_lshlrev_b32_e32 v17, 5, v0
	v_lshlrev_b32_e32 v18, 6, v0
	v_and_b32_e32 v19, 0x7c, v3
	v_lshlrev_b32_e32 v21, 4, v0
	v_lshlrev_b32_e32 v20, 2, v4
	s_mov_b32 s33, s3
	s_waitcnt lgkmcnt(0)
	s_add_u32 s20, s12, s14
	s_addc_u32 s2, s13, s15
	s_abs_i32 s11, s6
	s_lshl_b32 s22, s4, 2
	v_cvt_f32_u32_e32 v2, s11
	s_and_b32 s21, s2, 0xffff
	s_load_b256 s[12:19], s[0:1], 0x0
	s_add_i32 s1, s3, 15
	v_cmp_eq_u32_e64 s0, 0, v0
	v_rcp_iflag_f32_e32 v2, v2
	v_lshlrev_b32_e32 v22, 2, v1
	s_ashr_i32 s2, s1, 31
	s_lshl_b32 s26, s3, 1
	s_lshr_b32 s2, s2, 28
	s_lshl_b32 s30, s3, 2
	s_add_i32 s1, s1, s2
	s_ashr_i32 s40, s6, 31
	s_ashr_i32 s1, s1, 4
	s_waitcnt_depctr 0xfff
	v_mul_f32_e32 v1, 0x4f7ffffe, v2
	buffer_load_b32 v16, v22, s[20:23], 0 offen
	s_add_i32 s23, s3, 3
	v_cmp_gt_u32_e64 s1, s1, v0
	s_ashr_i32 s2, s23, 31
	v_cvt_u32_f32_e32 v1, v1
	s_lshr_b32 s2, s2, 30
	s_waitcnt vmcnt(3) expcnt(0) lgkmcnt(55)
	s_add_i32 s23, s23, s2
	s_sub_i32 s2, 0, s11
	v_readfirstlane_b32 s41, v1
	s_and_b32 s38, s23, -4
	s_waitcnt vmcnt(0) lgkmcnt(0)
	s_barrier
	buffer_gl0_inv
	s_mul_i32 s23, s2, s41
	s_delay_alu instid0(SALU_CYCLE_1) | instskip(NEXT) | instid1(SALU_CYCLE_1)
	s_mul_hi_u32 s23, s41, s23
	s_add_i32 s41, s41, s23
	v_readlane_b32 s2, v16, 0
	s_delay_alu instid0(VALU_DEP_1)
	s_cmp_lt_i32 s2, 0
	s_cbranch_scc1 .LBB125_12
; %bb.9:
	s_abs_i32 s23, s34
	s_xor_b32 s27, s35, s40
	s_mul_hi_u32 s24, s23, s41
	s_mov_b32 s31, -1
	s_mul_i32 s25, s24, s11
	s_add_i32 s28, s24, 1
	s_sub_i32 s25, s23, s25
	s_delay_alu instid0(SALU_CYCLE_1)
	s_sub_i32 s29, s25, s11
	s_cmp_ge_u32 s25, s11
	s_cselect_b32 s24, s28, s24
	s_cselect_b32 s25, s29, s25
	s_add_i32 s28, s24, 1
	s_cmp_ge_u32 s25, s11
	s_cselect_b32 s24, s28, s24
	s_delay_alu instid0(SALU_CYCLE_1) | instskip(NEXT) | instid1(SALU_CYCLE_1)
	s_xor_b32 s24, s24, s27
	s_sub_i32 s24, s24, s27
	s_delay_alu instid0(SALU_CYCLE_1) | instskip(SKIP_2) | instid1(SALU_CYCLE_1)
	s_mul_i32 s25, s24, s6
	s_mul_i32 s24, s24, s7
	s_sub_i32 s25, s34, s25
	s_mul_i32 s25, s25, s8
	s_delay_alu instid0(SALU_CYCLE_1) | instskip(NEXT) | instid1(SALU_CYCLE_1)
	s_add_i32 s42, s25, s24
	s_cmp_eq_u32 s42, -1
	s_cbranch_scc1 .LBB125_13
; %bb.10:
	s_mul_hi_i32 s25, s42, s33
	s_mul_i32 s24, s42, s33
	s_mov_b32 s27, s31
	s_lshl_b64 s[24:25], s[24:25], 1
	s_delay_alu instid0(SALU_CYCLE_1) | instskip(SKIP_1) | instid1(SALU_CYCLE_1)
	s_add_u32 s24, s16, s24
	s_addc_u32 s25, s17, s25
	s_and_b32 s25, s25, 0xffff
	s_clause 0x1
	buffer_load_b128 v[0:3], v17, s[24:27], 0 offen
	buffer_load_b128 v[4:7], v17, s[24:27], 16 offen
	s_waitcnt vmcnt(1)
	v_lshrrev_b32_e32 v8, 16, v0
	v_and_b32_e32 v0, 0xffff, v0
	v_lshrrev_b32_e32 v9, 16, v1
	v_and_b32_e32 v10, 0xffff, v1
	;; [unrolled: 2-line block ×4, first 2 shown]
	s_waitcnt vmcnt(0)
	v_lshrrev_b32_e32 v15, 16, v4
	v_and_b32_e32 v23, 0xffff, v4
	v_lshrrev_b32_e32 v24, 16, v5
	v_and_b32_e32 v25, 0xffff, v5
	;; [unrolled: 2-line block ×4, first 2 shown]
	v_cvt_f32_u32_e32 v1, v8
	v_cvt_f32_u32_e32 v0, v0
	v_cvt_f32_u32_e32 v3, v9
	v_cvt_f32_u32_e32 v2, v10
	v_cvt_f32_u32_e32 v5, v11
	v_cvt_f32_u32_e32 v4, v12
	v_cvt_f32_u32_e32 v7, v13
	v_cvt_f32_u32_e32 v6, v14
	v_cvt_f32_u32_e32 v9, v15
	v_cvt_f32_u32_e32 v8, v23
	v_cvt_f32_u32_e32 v11, v24
	v_cvt_f32_u32_e32 v10, v25
	v_cvt_f32_u32_e32 v13, v26
	v_cvt_f32_u32_e32 v12, v27
	v_cvt_f32_u32_e32 v15, v28
	v_cvt_f32_u32_e32 v14, v29
	s_branch .LBB125_14
.LBB125_11:
                                        ; implicit-def: $sgpr4
	s_branch .LBB125_2
.LBB125_12:
                                        ; implicit-def: $vgpr0_vgpr1_vgpr2_vgpr3_vgpr4_vgpr5_vgpr6_vgpr7_vgpr8_vgpr9_vgpr10_vgpr11_vgpr12_vgpr13_vgpr14_vgpr15
	s_cmp_eq_u32 s4, 1
	s_mov_b32 s35, 1
	s_cbranch_scc0 .LBB125_21
	s_branch .LBB125_35
.LBB125_13:
                                        ; implicit-def: $vgpr0_vgpr1_vgpr2_vgpr3_vgpr4_vgpr5_vgpr6_vgpr7_vgpr8_vgpr9_vgpr10_vgpr11_vgpr12_vgpr13_vgpr14_vgpr15
.LBB125_14:
	s_mul_i32 s24, s2, s3
	s_delay_alu instid0(SALU_CYCLE_1) | instskip(NEXT) | instid1(SALU_CYCLE_1)
	s_ashr_i32 s25, s24, 31
	s_lshl_b64 s[24:25], s[24:25], 2
	s_delay_alu instid0(SALU_CYCLE_1) | instskip(SKIP_1) | instid1(SALU_CYCLE_1)
	s_add_u32 s28, s18, s24
	s_addc_u32 s2, s19, s25
	s_and_b32 s29, s2, 0xffff
	s_clause 0x3
	buffer_load_b128 v[23:26], v18, s[28:31], 0 offen
	buffer_load_b128 v[27:30], v18, s[28:31], 16 offen
	;; [unrolled: 1-line block ×4, first 2 shown]
	s_waitcnt vmcnt(3)
	v_dual_mul_f32 v37, v0, v23 :: v_dual_mul_f32 v38, v1, v24
	v_dual_mul_f32 v31, v2, v25 :: v_dual_mul_f32 v32, v3, v26
	s_waitcnt vmcnt(2)
	v_dual_mul_f32 v33, v4, v27 :: v_dual_mul_f32 v34, v5, v28
	s_delay_alu instid0(VALU_DEP_3) | instskip(SKIP_3) | instid1(VALU_DEP_3)
	v_max3_f32 v23, |v37|, 0x2edbe6ff, |v38|
	v_dual_mul_f32 v35, v6, v29 :: v_dual_mul_f32 v36, v7, v30
	s_waitcnt vmcnt(1)
	v_dual_mul_f32 v28, v8, v39 :: v_dual_mul_f32 v29, v9, v40
	v_max3_f32 v23, v23, |v31|, |v32|
	s_waitcnt vmcnt(0)
	v_mul_f32_e32 v26, v12, v43
	v_dual_mul_f32 v30, v13, v44 :: v_dual_mul_f32 v27, v15, v46
	v_mul_f32_e32 v24, v11, v42
	v_max3_f32 v23, v23, |v33|, |v34|
	s_delay_alu instid0(VALU_DEP_1) | instskip(SKIP_1) | instid1(VALU_DEP_2)
	v_max3_f32 v25, v23, |v35|, |v36|
	v_mul_f32_e32 v23, v10, v41
	v_max3_f32 v25, v25, |v28|, |v29|
	s_delay_alu instid0(VALU_DEP_1) | instskip(SKIP_1) | instid1(VALU_DEP_2)
	v_max3_f32 v39, v25, |v23|, |v24|
	v_mul_f32_e32 v25, v14, v45
	v_max3_f32 v39, v39, |v26|, |v30|
	s_delay_alu instid0(VALU_DEP_1) | instskip(NEXT) | instid1(VALU_DEP_1)
	v_max3_f32 v39, v39, |v25|, |v27|
	v_mov_b32_dpp v40, v39 quad_perm:[1,0,3,2] row_mask:0xf bank_mask:0xf
	s_delay_alu instid0(VALU_DEP_1) | instskip(NEXT) | instid1(VALU_DEP_1)
	v_cmp_gt_f32_e64 s2, v39, v40
	v_cndmask_b32_e64 v39, v40, v39, s2
	s_delay_alu instid0(VALU_DEP_1) | instskip(NEXT) | instid1(VALU_DEP_1)
	v_mov_b32_dpp v40, v39 quad_perm:[2,3,0,1] row_mask:0xf bank_mask:0xf
	v_cmp_gt_f32_e64 s2, v39, v40
	s_delay_alu instid0(VALU_DEP_1) | instskip(NEXT) | instid1(VALU_DEP_1)
	v_cndmask_b32_e64 v39, v40, v39, s2
	v_mov_b32_dpp v40, v39 row_xmask:7 row_mask:0xf bank_mask:0xf
	s_delay_alu instid0(VALU_DEP_1) | instskip(NEXT) | instid1(VALU_DEP_1)
	v_cmp_gt_f32_e64 s2, v39, v40
	v_cndmask_b32_e64 v39, v40, v39, s2
	s_delay_alu instid0(VALU_DEP_1) | instskip(NEXT) | instid1(VALU_DEP_1)
	v_mov_b32_dpp v40, v39 row_xmask:15 row_mask:0xf bank_mask:0xf
	v_cmp_gt_f32_e64 s2, v39, v40
	s_and_saveexec_b32 s24, vcc_lo
	s_cbranch_execz .LBB125_16
; %bb.15:
	s_delay_alu instid0(VALU_DEP_1)
	v_cndmask_b32_e64 v39, v40, v39, s2
	s_mov_b32 s2, 0x76543210
	s_delay_alu instid0(VALU_DEP_1) | instid1(SALU_CYCLE_1)
	v_permlanex16_b32 v40, v39, s2, 0xfedcba98 op_sel:[1,1]
	s_delay_alu instid0(VALU_DEP_1) | instskip(NEXT) | instid1(VALU_DEP_1)
	v_cmp_gt_f32_e64 s2, v39, v40
	v_cndmask_b32_e64 v39, v40, v39, s2
	ds_store_b32 v19, v39
.LBB125_16:
	s_or_b32 exec_lo, exec_lo, s24
	s_waitcnt lgkmcnt(0)
	s_barrier
	buffer_gl0_inv
	ds_load_b32 v39, v20
	s_abs_i32 s24, s5
	s_delay_alu instid0(SALU_CYCLE_1) | instskip(NEXT) | instid1(VALU_DEP_1)
	v_cvt_f32_u32_e32 v40, s24
	v_rcp_iflag_f32_e32 v40, v40
	s_waitcnt_depctr 0xfff
	v_mul_f32_e32 v40, 0x4f7ffffe, v40
	s_waitcnt lgkmcnt(0)
	v_mov_b32_dpp v41, v39 quad_perm:[1,0,3,2] row_mask:0xf bank_mask:0xf
	s_delay_alu instid0(VALU_DEP_2) | instskip(NEXT) | instid1(VALU_DEP_2)
	v_cvt_u32_f32_e32 v40, v40
	v_cmp_gt_f32_e64 s2, v39, v41
	s_delay_alu instid0(VALU_DEP_2) | instskip(NEXT) | instid1(VALU_DEP_2)
	v_readfirstlane_b32 s25, v40
	v_cndmask_b32_e64 v39, v41, v39, s2
	s_sub_i32 s2, 0, s24
	s_delay_alu instid0(VALU_DEP_2) | instid1(SALU_CYCLE_1)
	s_mul_i32 s2, s2, s25
	s_delay_alu instid0(VALU_DEP_1) | instskip(SKIP_1) | instid1(SALU_CYCLE_1)
	v_mov_b32_dpp v40, v39 quad_perm:[2,3,0,1] row_mask:0xf bank_mask:0xf
	s_mul_hi_u32 s27, s25, s2
	s_add_i32 s25, s25, s27
	s_delay_alu instid0(VALU_DEP_1) | instskip(SKIP_1) | instid1(SALU_CYCLE_1)
	v_cmp_gt_f32_e64 s2, v39, v40
	s_mul_hi_u32 s25, s23, s25
	s_mul_i32 s27, s25, s24
	s_delay_alu instid0(VALU_DEP_1)
	v_cndmask_b32_e64 v39, v40, v39, s2
	s_ashr_i32 s2, s5, 31
	s_sub_i32 s23, s23, s27
	s_xor_b32 s28, s35, s2
	s_add_i32 s27, s25, 1
	v_mov_b32_dpp v40, v39 row_xmask:7 row_mask:0xf bank_mask:0xf
	s_sub_i32 s29, s23, s24
	s_cmp_ge_u32 s23, s24
	s_cselect_b32 s23, s29, s23
	s_delay_alu instid0(VALU_DEP_1) | instskip(NEXT) | instid1(VALU_DEP_1)
	v_cmp_gt_f32_e64 s2, v39, v40
	v_cndmask_b32_e64 v39, v40, v39, s2
	s_cselect_b32 s2, s27, s25
	s_delay_alu instid0(SALU_CYCLE_1) | instskip(SKIP_1) | instid1(VALU_DEP_1)
	s_add_i32 s25, s2, 1
	s_cmp_ge_u32 s23, s24
	v_mov_b32_dpp v40, v39 row_xmask:15 row_mask:0xf bank_mask:0xf
	s_cselect_b32 s2, s25, s2
	s_delay_alu instid0(SALU_CYCLE_1) | instskip(NEXT) | instid1(VALU_DEP_1)
	s_xor_b32 s23, s2, s28
	v_cmp_gt_f32_e64 s2, v39, v40
	s_delay_alu instid0(VALU_DEP_1) | instskip(SKIP_1) | instid1(SALU_CYCLE_1)
	v_cndmask_b32_e64 v39, v40, v39, s2
	s_sub_i32 s2, s23, s28
	s_mul_i32 s23, s2, s5
	s_mul_i32 s2, s2, s9
	s_sub_i32 s23, s34, s23
	v_mul_f32_e32 v39, 0x3c010204, v39
	s_mul_i32 s23, s23, s10
	s_delay_alu instid0(SALU_CYCLE_1)
	s_add_i32 s24, s23, s2
	s_and_saveexec_b32 s2, s0
	s_cbranch_execz .LBB125_18
; %bb.17:
	s_ashr_i32 s25, s24, 31
	v_mov_b32_e32 v40, 0
	s_lshl_b64 s[28:29], s[24:25], 2
	s_delay_alu instid0(SALU_CYCLE_1)
	s_add_u32 s28, s14, s28
	s_addc_u32 s29, s15, s29
	global_store_b32 v40, v39, s[28:29]
.LBB125_18:
	s_or_b32 exec_lo, exec_lo, s2
	s_and_saveexec_b32 s2, s1
	s_cbranch_execz .LBB125_20
; %bb.19:
	v_rcp_f32_e32 v39, v39
	s_mul_i32 s23, s24, s33
	s_mul_hi_i32 s24, s24, s33
	s_add_u32 s36, s12, s23
	s_addc_u32 s23, s13, s24
	s_mov_b32 s39, -1
	s_and_b32 s37, s23, 0xffff
	s_waitcnt_depctr 0xfff
	v_mul_f32_e32 v30, v30, v39
	v_mul_f32_e32 v26, v26, v39
	v_mul_f32_e32 v28, v28, v39
	v_mul_f32_e32 v29, v29, v39
	v_mul_f32_e32 v27, v27, v39
	v_cvt_i32_f32_e32 v30, v30
	v_cvt_i32_f32_e32 v26, v26
	v_mul_f32_e32 v37, v37, v39
	v_mul_f32_e32 v25, v25, v39
	v_cvt_i32_f32_e32 v28, v28
	v_lshlrev_b16 v30, 8, v30
	v_and_b32_e32 v26, 0xff, v26
	v_cvt_i32_f32_e32 v27, v27
	v_cvt_i32_f32_e32 v25, v25
	;; [unrolled: 1-line block ×3, first 2 shown]
	v_mul_f32_e32 v38, v38, v39
	v_or_b32_e32 v26, v26, v30
	v_mul_f32_e32 v33, v33, v39
	v_dual_mul_f32 v31, v31, v39 :: v_dual_and_b32 v28, 0xff, v28
	v_lshlrev_b16 v27, 8, v27
	v_and_b32_e32 v25, 0xff, v25
	v_lshlrev_b16 v29, 8, v29
	v_mul_f32_e32 v24, v24, v39
	v_dual_mul_f32 v23, v23, v39 :: v_dual_and_b32 v26, 0xffff, v26
	v_cvt_i32_f32_e32 v33, v33
	v_mul_f32_e32 v34, v34, v39
	v_or_b32_e32 v25, v25, v27
	v_or_b32_e32 v27, v28, v29
	v_cvt_i32_f32_e32 v24, v24
	v_and_b32_e32 v29, 0xff, v33
	v_cvt_i32_f32_e32 v34, v34
	v_cvt_i32_f32_e32 v23, v23
	v_dual_mul_f32 v32, v32, v39 :: v_dual_lshlrev_b32 v25, 16, v25
	v_lshlrev_b16 v24, 8, v24
	s_delay_alu instid0(VALU_DEP_4) | instskip(NEXT) | instid1(VALU_DEP_4)
	v_lshlrev_b16 v28, 8, v34
	v_and_b32_e32 v23, 0xff, v23
	v_cvt_i32_f32_e32 v37, v37
	v_mul_f32_e32 v36, v36, v39
	v_cvt_i32_f32_e32 v38, v38
	v_cvt_i32_f32_e32 v31, v31
	v_or_b32_e32 v23, v23, v24
	v_or_b32_e32 v24, v29, v28
	v_mul_f32_e32 v35, v35, v39
	v_cvt_i32_f32_e32 v32, v32
	v_lshlrev_b16 v34, 8, v38
	v_and_b32_e32 v31, 0xff, v31
	v_and_b32_e32 v24, 0xffff, v24
	v_cvt_i32_f32_e32 v35, v35
	v_lshlrev_b16 v32, 8, v32
	v_and_b32_e32 v27, 0xffff, v27
	v_lshlrev_b32_e32 v23, 16, v23
	v_or_b32_e32 v26, v26, v25
	v_and_b32_e32 v33, 0xff, v35
	v_and_b32_e32 v35, 0xff, v37
	v_cvt_i32_f32_e32 v36, v36
	v_or_b32_e32 v25, v27, v23
	s_delay_alu instid0(VALU_DEP_3) | instskip(NEXT) | instid1(VALU_DEP_3)
	v_or_b32_e32 v29, v35, v34
	v_lshlrev_b16 v30, 8, v36
	s_delay_alu instid0(VALU_DEP_2) | instskip(NEXT) | instid1(VALU_DEP_2)
	v_and_b32_e32 v29, 0xffff, v29
	v_or_b32_e32 v28, v33, v30
	v_or_b32_e32 v30, v31, v32
	s_delay_alu instid0(VALU_DEP_2) | instskip(NEXT) | instid1(VALU_DEP_2)
	v_lshlrev_b32_e32 v28, 16, v28
	v_lshlrev_b32_e32 v30, 16, v30
	s_delay_alu instid0(VALU_DEP_2) | instskip(NEXT) | instid1(VALU_DEP_2)
	v_or_b32_e32 v24, v24, v28
	v_or_b32_e32 v23, v29, v30
	buffer_store_b128 v[23:26], v21, s[36:39], 0 offen
	;;#ASMSTART
	s_nop 0
	;;#ASMEND
.LBB125_20:
	s_or_b32 exec_lo, exec_lo, s2
	s_cmp_eq_u32 s4, 1
	s_mov_b32 s35, 1
	s_cbranch_scc1 .LBB125_35
.LBB125_21:
	s_abs_i32 s43, s5
	s_ashr_i32 s44, s5, 31
	v_cvt_f32_u32_e32 v23, s43
	s_sub_i32 s23, 0, s43
	s_mov_b32 s31, -1
	s_mov_b32 s46, 0x76543210
	v_add_nc_u32_e32 v22, 4, v22
	v_rcp_iflag_f32_e32 v23, v23
	s_waitcnt_depctr 0xfff
	v_mul_f32_e32 v23, 0x4f7ffffe, v23
	s_delay_alu instid0(VALU_DEP_1) | instskip(NEXT) | instid1(VALU_DEP_1)
	v_cvt_u32_f32_e32 v23, v23
	v_readfirstlane_b32 s2, v23
	v_mov_b32_e32 v23, 0
	s_delay_alu instid0(VALU_DEP_2) | instskip(NEXT) | instid1(SALU_CYCLE_1)
	s_mul_i32 s23, s23, s2
	s_mul_hi_u32 s23, s2, s23
	s_delay_alu instid0(SALU_CYCLE_1)
	s_add_i32 s45, s2, s23
	s_branch .LBB125_24
.LBB125_22:                             ;   in Loop: Header=BB125_24 Depth=1
	s_or_b32 exec_lo, exec_lo, s2
.LBB125_23:                             ;   in Loop: Header=BB125_24 Depth=1
	v_add_nc_u32_e32 v22, 4, v22
	s_add_i32 s35, s35, 1
	s_delay_alu instid0(SALU_CYCLE_1)
	s_cmp_eq_u32 s4, s35
	s_cbranch_scc1 .LBB125_35
.LBB125_24:                             ; =>This Inner Loop Header: Depth=1
	s_and_b32 s2, s35, 31
	s_delay_alu instid0(SALU_CYCLE_1)
	s_cmp_lg_u32 s2, 0
	s_cbranch_scc1 .LBB125_26
; %bb.25:                               ;   in Loop: Header=BB125_24 Depth=1
	s_mov_b32 s23, s31
	buffer_load_b32 v16, v22, s[20:23], 0 offen
	s_waitcnt vmcnt(3) expcnt(0) lgkmcnt(55)
.LBB125_26:                             ;   in Loop: Header=BB125_24 Depth=1
	s_waitcnt vmcnt(0)
	v_readlane_b32 s2, v16, s2
	s_delay_alu instid0(VALU_DEP_1)
	s_cmp_lt_i32 s2, 0
	s_cbranch_scc1 .LBB125_23
; %bb.27:                               ;   in Loop: Header=BB125_24 Depth=1
	s_add_i32 s23, s34, s35
	s_delay_alu instid0(SALU_CYCLE_1)
	s_abs_i32 s36, s23
	s_ashr_i32 s37, s23, 31
	s_mul_hi_u32 s24, s36, s41
	s_xor_b32 s27, s37, s40
	s_mul_i32 s25, s24, s11
	s_add_i32 s28, s24, 1
	s_sub_i32 s25, s36, s25
	s_delay_alu instid0(SALU_CYCLE_1)
	s_sub_i32 s29, s25, s11
	s_cmp_ge_u32 s25, s11
	s_cselect_b32 s24, s28, s24
	s_cselect_b32 s25, s29, s25
	s_add_i32 s28, s24, 1
	s_cmp_ge_u32 s25, s11
	s_cselect_b32 s24, s28, s24
	s_delay_alu instid0(SALU_CYCLE_1) | instskip(NEXT) | instid1(SALU_CYCLE_1)
	s_xor_b32 s24, s24, s27
	s_sub_i32 s24, s24, s27
	s_delay_alu instid0(SALU_CYCLE_1) | instskip(SKIP_2) | instid1(SALU_CYCLE_1)
	s_mul_i32 s25, s24, s6
	s_mul_i32 s24, s24, s7
	s_sub_i32 s25, s23, s25
	s_mul_i32 s28, s25, s8
	s_delay_alu instid0(SALU_CYCLE_1) | instskip(NEXT) | instid1(SALU_CYCLE_1)
	s_add_i32 s28, s28, s24
	s_cmp_eq_u32 s28, s42
	s_cbranch_scc1 .LBB125_29
; %bb.28:                               ;   in Loop: Header=BB125_24 Depth=1
	s_mul_hi_i32 s25, s28, s33
	s_mul_i32 s24, s28, s33
	s_mov_b32 s27, s31
	s_lshl_b64 s[24:25], s[24:25], 1
	s_mov_b32 s42, s28
	s_add_u32 s24, s16, s24
	s_addc_u32 s25, s17, s25
	s_delay_alu instid0(SALU_CYCLE_1)
	s_and_b32 s25, s25, 0xffff
	s_clause 0x1
	buffer_load_b128 v[0:3], v17, s[24:27], 0 offen
	buffer_load_b128 v[4:7], v17, s[24:27], 16 offen
	s_waitcnt vmcnt(1)
	v_lshrrev_b32_e32 v8, 16, v0
	v_and_b32_e32 v0, 0xffff, v0
	v_lshrrev_b32_e32 v9, 16, v1
	v_and_b32_e32 v10, 0xffff, v1
	;; [unrolled: 2-line block ×4, first 2 shown]
	s_waitcnt vmcnt(0)
	v_lshrrev_b32_e32 v15, 16, v4
	v_and_b32_e32 v24, 0xffff, v4
	v_lshrrev_b32_e32 v25, 16, v5
	v_and_b32_e32 v26, 0xffff, v5
	v_lshrrev_b32_e32 v27, 16, v6
	v_and_b32_e32 v28, 0xffff, v6
	v_lshrrev_b32_e32 v29, 16, v7
	v_and_b32_e32 v30, 0xffff, v7
	v_cvt_f32_u32_e32 v1, v8
	v_cvt_f32_u32_e32 v0, v0
	;; [unrolled: 1-line block ×16, first 2 shown]
.LBB125_29:                             ;   in Loop: Header=BB125_24 Depth=1
	s_mul_i32 s24, s2, s3
	s_delay_alu instid0(SALU_CYCLE_1) | instskip(NEXT) | instid1(SALU_CYCLE_1)
	s_ashr_i32 s25, s24, 31
	s_lshl_b64 s[24:25], s[24:25], 2
	s_delay_alu instid0(SALU_CYCLE_1) | instskip(SKIP_1) | instid1(SALU_CYCLE_1)
	s_add_u32 s28, s18, s24
	s_addc_u32 s2, s19, s25
	s_and_b32 s29, s2, 0xffff
	s_clause 0x3
	buffer_load_b128 v[24:27], v18, s[28:31], 0 offen
	buffer_load_b128 v[28:31], v18, s[28:31], 16 offen
	;; [unrolled: 1-line block ×4, first 2 shown]
	s_waitcnt vmcnt(3)
	v_dual_mul_f32 v38, v0, v24 :: v_dual_mul_f32 v39, v1, v25
	v_dual_mul_f32 v32, v2, v26 :: v_dual_mul_f32 v33, v3, v27
	s_waitcnt vmcnt(2)
	v_dual_mul_f32 v34, v4, v28 :: v_dual_mul_f32 v35, v5, v29
	s_delay_alu instid0(VALU_DEP_3) | instskip(SKIP_3) | instid1(VALU_DEP_3)
	v_max3_f32 v24, |v38|, 0x2edbe6ff, |v39|
	v_dual_mul_f32 v36, v6, v30 :: v_dual_mul_f32 v37, v7, v31
	s_waitcnt vmcnt(1)
	v_dual_mul_f32 v29, v8, v40 :: v_dual_mul_f32 v30, v9, v41
	v_max3_f32 v24, v24, |v32|, |v33|
	s_waitcnt vmcnt(0)
	v_mul_f32_e32 v27, v12, v44
	v_dual_mul_f32 v31, v13, v45 :: v_dual_mul_f32 v28, v15, v47
	v_mul_f32_e32 v25, v11, v43
	v_max3_f32 v24, v24, |v34|, |v35|
	s_delay_alu instid0(VALU_DEP_1) | instskip(SKIP_1) | instid1(VALU_DEP_2)
	v_max3_f32 v26, v24, |v36|, |v37|
	v_mul_f32_e32 v24, v10, v42
	v_max3_f32 v26, v26, |v29|, |v30|
	s_delay_alu instid0(VALU_DEP_1) | instskip(SKIP_1) | instid1(VALU_DEP_2)
	v_max3_f32 v40, v26, |v24|, |v25|
	v_mul_f32_e32 v26, v14, v46
	v_max3_f32 v40, v40, |v27|, |v31|
	s_delay_alu instid0(VALU_DEP_1) | instskip(NEXT) | instid1(VALU_DEP_1)
	v_max3_f32 v40, v40, |v26|, |v28|
	v_mov_b32_dpp v41, v40 quad_perm:[1,0,3,2] row_mask:0xf bank_mask:0xf
	s_delay_alu instid0(VALU_DEP_1) | instskip(NEXT) | instid1(VALU_DEP_1)
	v_cmp_gt_f32_e64 s2, v40, v41
	v_cndmask_b32_e64 v40, v41, v40, s2
	s_delay_alu instid0(VALU_DEP_1) | instskip(NEXT) | instid1(VALU_DEP_1)
	v_mov_b32_dpp v41, v40 quad_perm:[2,3,0,1] row_mask:0xf bank_mask:0xf
	v_cmp_gt_f32_e64 s2, v40, v41
	s_delay_alu instid0(VALU_DEP_1) | instskip(NEXT) | instid1(VALU_DEP_1)
	v_cndmask_b32_e64 v40, v41, v40, s2
	v_mov_b32_dpp v41, v40 row_xmask:7 row_mask:0xf bank_mask:0xf
	s_delay_alu instid0(VALU_DEP_1) | instskip(NEXT) | instid1(VALU_DEP_1)
	v_cmp_gt_f32_e64 s2, v40, v41
	v_cndmask_b32_e64 v40, v41, v40, s2
	s_delay_alu instid0(VALU_DEP_1) | instskip(NEXT) | instid1(VALU_DEP_1)
	v_mov_b32_dpp v41, v40 row_xmask:15 row_mask:0xf bank_mask:0xf
	v_cmp_gt_f32_e64 s2, v40, v41
	s_and_saveexec_b32 s24, vcc_lo
	s_cbranch_execz .LBB125_31
; %bb.30:                               ;   in Loop: Header=BB125_24 Depth=1
	s_delay_alu instid0(VALU_DEP_1) | instskip(NEXT) | instid1(VALU_DEP_1)
	v_cndmask_b32_e64 v40, v41, v40, s2
	v_permlanex16_b32 v41, v40, s46, 0xfedcba98 op_sel:[1,1]
	s_delay_alu instid0(VALU_DEP_1) | instskip(NEXT) | instid1(VALU_DEP_1)
	v_cmp_gt_f32_e64 s2, v40, v41
	v_cndmask_b32_e64 v40, v41, v40, s2
	ds_store_b32 v19, v40
.LBB125_31:                             ;   in Loop: Header=BB125_24 Depth=1
	s_or_b32 exec_lo, exec_lo, s24
	s_waitcnt lgkmcnt(0)
	s_waitcnt_vscnt null, 0x0
	s_barrier
	buffer_gl0_inv
	ds_load_b32 v40, v20
	s_mul_hi_u32 s24, s36, s45
	s_xor_b32 s27, s37, s44
	s_mul_i32 s25, s24, s43
	s_waitcnt lgkmcnt(0)
	v_mov_b32_dpp v41, v40 quad_perm:[1,0,3,2] row_mask:0xf bank_mask:0xf
	s_delay_alu instid0(VALU_DEP_1) | instskip(NEXT) | instid1(VALU_DEP_1)
	v_cmp_gt_f32_e64 s2, v40, v41
	v_cndmask_b32_e64 v40, v41, v40, s2
	s_delay_alu instid0(VALU_DEP_1) | instskip(NEXT) | instid1(VALU_DEP_1)
	v_mov_b32_dpp v41, v40 quad_perm:[2,3,0,1] row_mask:0xf bank_mask:0xf
	v_cmp_gt_f32_e64 s2, v40, v41
	s_delay_alu instid0(VALU_DEP_1)
	v_cndmask_b32_e64 v40, v41, v40, s2
	s_sub_i32 s2, s36, s25
	s_add_i32 s25, s24, 1
	s_sub_i32 s28, s2, s43
	s_cmp_ge_u32 s2, s43
	v_mov_b32_dpp v41, v40 row_xmask:7 row_mask:0xf bank_mask:0xf
	s_cselect_b32 s24, s25, s24
	s_cselect_b32 s25, s28, s2
	s_delay_alu instid0(VALU_DEP_1) | instskip(NEXT) | instid1(VALU_DEP_1)
	v_cmp_gt_f32_e64 s2, v40, v41
	v_cndmask_b32_e64 v40, v41, v40, s2
	s_add_i32 s2, s24, 1
	s_cmp_ge_u32 s25, s43
	s_cselect_b32 s2, s2, s24
	s_delay_alu instid0(VALU_DEP_1) | instskip(SKIP_1) | instid1(SALU_CYCLE_1)
	v_mov_b32_dpp v41, v40 row_xmask:15 row_mask:0xf bank_mask:0xf
	s_xor_b32 s2, s2, s27
	s_sub_i32 s24, s2, s27
	s_delay_alu instid0(VALU_DEP_1) | instskip(NEXT) | instid1(VALU_DEP_1)
	v_cmp_gt_f32_e64 s2, v40, v41
	v_cndmask_b32_e64 v40, v41, v40, s2
	s_mul_i32 s2, s24, s5
	s_mul_i32 s24, s24, s9
	s_sub_i32 s2, s23, s2
	s_delay_alu instid0(VALU_DEP_1) | instskip(SKIP_1) | instid1(SALU_CYCLE_1)
	v_mul_f32_e32 v40, 0x3c010204, v40
	s_mul_i32 s2, s2, s10
	s_add_i32 s24, s2, s24
	s_and_saveexec_b32 s2, s0
	s_cbranch_execz .LBB125_33
; %bb.32:                               ;   in Loop: Header=BB125_24 Depth=1
	s_ashr_i32 s25, s24, 31
	s_delay_alu instid0(SALU_CYCLE_1) | instskip(NEXT) | instid1(SALU_CYCLE_1)
	s_lshl_b64 s[28:29], s[24:25], 2
	s_add_u32 s28, s14, s28
	s_addc_u32 s29, s15, s29
	global_store_b32 v23, v40, s[28:29]
.LBB125_33:                             ;   in Loop: Header=BB125_24 Depth=1
	s_or_b32 exec_lo, exec_lo, s2
	s_and_saveexec_b32 s2, s1
	s_cbranch_execz .LBB125_22
; %bb.34:                               ;   in Loop: Header=BB125_24 Depth=1
	v_rcp_f32_e32 v40, v40
	s_mul_i32 s23, s24, s33
	s_mul_hi_i32 s24, s24, s33
	s_add_u32 s36, s12, s23
	s_addc_u32 s23, s13, s24
	s_mov_b32 s39, s31
	s_and_b32 s37, s23, 0xffff
	s_waitcnt_depctr 0xfff
	v_mul_f32_e32 v31, v31, v40
	v_mul_f32_e32 v27, v27, v40
	;; [unrolled: 1-line block ×5, first 2 shown]
	v_cvt_i32_f32_e32 v31, v31
	v_cvt_i32_f32_e32 v27, v27
	v_mul_f32_e32 v38, v38, v40
	v_mul_f32_e32 v26, v26, v40
	v_cvt_i32_f32_e32 v29, v29
	v_lshlrev_b16 v31, 8, v31
	v_and_b32_e32 v27, 0xff, v27
	v_cvt_i32_f32_e32 v28, v28
	v_cvt_i32_f32_e32 v26, v26
	;; [unrolled: 1-line block ×3, first 2 shown]
	v_mul_f32_e32 v39, v39, v40
	v_or_b32_e32 v27, v27, v31
	v_mul_f32_e32 v34, v34, v40
	v_dual_mul_f32 v32, v32, v40 :: v_dual_and_b32 v29, 0xff, v29
	v_lshlrev_b16 v28, 8, v28
	v_and_b32_e32 v26, 0xff, v26
	v_lshlrev_b16 v30, 8, v30
	v_mul_f32_e32 v25, v25, v40
	v_dual_mul_f32 v24, v24, v40 :: v_dual_and_b32 v27, 0xffff, v27
	v_cvt_i32_f32_e32 v34, v34
	v_mul_f32_e32 v35, v35, v40
	v_or_b32_e32 v26, v26, v28
	v_or_b32_e32 v28, v29, v30
	v_cvt_i32_f32_e32 v25, v25
	v_and_b32_e32 v30, 0xff, v34
	v_cvt_i32_f32_e32 v35, v35
	v_cvt_i32_f32_e32 v24, v24
	v_dual_mul_f32 v33, v33, v40 :: v_dual_lshlrev_b32 v26, 16, v26
	v_lshlrev_b16 v25, 8, v25
	s_delay_alu instid0(VALU_DEP_4) | instskip(NEXT) | instid1(VALU_DEP_4)
	v_lshlrev_b16 v29, 8, v35
	v_and_b32_e32 v24, 0xff, v24
	v_cvt_i32_f32_e32 v38, v38
	v_mul_f32_e32 v37, v37, v40
	v_cvt_i32_f32_e32 v39, v39
	v_cvt_i32_f32_e32 v32, v32
	v_or_b32_e32 v24, v24, v25
	v_or_b32_e32 v25, v30, v29
	v_mul_f32_e32 v36, v36, v40
	v_cvt_i32_f32_e32 v33, v33
	v_lshlrev_b16 v35, 8, v39
	v_and_b32_e32 v32, 0xff, v32
	v_and_b32_e32 v25, 0xffff, v25
	v_cvt_i32_f32_e32 v36, v36
	v_lshlrev_b16 v33, 8, v33
	v_and_b32_e32 v28, 0xffff, v28
	v_lshlrev_b32_e32 v24, 16, v24
	v_or_b32_e32 v27, v27, v26
	v_and_b32_e32 v34, 0xff, v36
	v_and_b32_e32 v36, 0xff, v38
	v_cvt_i32_f32_e32 v37, v37
	v_or_b32_e32 v26, v28, v24
	s_delay_alu instid0(VALU_DEP_3) | instskip(NEXT) | instid1(VALU_DEP_3)
	v_or_b32_e32 v30, v36, v35
	v_lshlrev_b16 v31, 8, v37
	s_delay_alu instid0(VALU_DEP_2) | instskip(NEXT) | instid1(VALU_DEP_2)
	v_and_b32_e32 v30, 0xffff, v30
	v_or_b32_e32 v29, v34, v31
	v_or_b32_e32 v31, v32, v33
	s_delay_alu instid0(VALU_DEP_2) | instskip(NEXT) | instid1(VALU_DEP_2)
	v_lshlrev_b32_e32 v29, 16, v29
	v_lshlrev_b32_e32 v31, 16, v31
	s_delay_alu instid0(VALU_DEP_2) | instskip(NEXT) | instid1(VALU_DEP_2)
	v_or_b32_e32 v25, v25, v29
	v_or_b32_e32 v24, v30, v31
	buffer_store_b128 v[24:27], v21, s[36:39], 0 offen
	;;#ASMSTART
	s_nop 0
	;;#ASMEND
	s_branch .LBB125_22
.LBB125_35:
	s_nop 0
	s_sendmsg sendmsg(MSG_DEALLOC_VGPRS)
	s_endpgm
	.section	.rodata,"a",@progbits
	.p2align	6, 0x0
	.amdhsa_kernel _ZN5aiter36smooth_per_token_scaled_quant_kernelItaLi512ELi16ELb1ELb1ELb0ELi1024EEEvPT0_PfPT_S3_PiS6_iiPKiiiiiiiii
		.amdhsa_group_segment_fixed_size 64
		.amdhsa_private_segment_fixed_size 0
		.amdhsa_kernarg_size 96
		.amdhsa_user_sgpr_count 15
		.amdhsa_user_sgpr_dispatch_ptr 0
		.amdhsa_user_sgpr_queue_ptr 0
		.amdhsa_user_sgpr_kernarg_segment_ptr 1
		.amdhsa_user_sgpr_dispatch_id 0
		.amdhsa_user_sgpr_private_segment_size 0
		.amdhsa_wavefront_size32 1
		.amdhsa_uses_dynamic_stack 0
		.amdhsa_enable_private_segment 0
		.amdhsa_system_sgpr_workgroup_id_x 1
		.amdhsa_system_sgpr_workgroup_id_y 0
		.amdhsa_system_sgpr_workgroup_id_z 0
		.amdhsa_system_sgpr_workgroup_info 0
		.amdhsa_system_vgpr_workitem_id 0
		.amdhsa_next_free_vgpr 48
		.amdhsa_next_free_sgpr 47
		.amdhsa_reserve_vcc 1
		.amdhsa_float_round_mode_32 0
		.amdhsa_float_round_mode_16_64 0
		.amdhsa_float_denorm_mode_32 3
		.amdhsa_float_denorm_mode_16_64 3
		.amdhsa_dx10_clamp 1
		.amdhsa_ieee_mode 1
		.amdhsa_fp16_overflow 0
		.amdhsa_workgroup_processor_mode 1
		.amdhsa_memory_ordered 1
		.amdhsa_forward_progress 0
		.amdhsa_shared_vgpr_count 0
		.amdhsa_exception_fp_ieee_invalid_op 0
		.amdhsa_exception_fp_denorm_src 0
		.amdhsa_exception_fp_ieee_div_zero 0
		.amdhsa_exception_fp_ieee_overflow 0
		.amdhsa_exception_fp_ieee_underflow 0
		.amdhsa_exception_fp_ieee_inexact 0
		.amdhsa_exception_int_div_zero 0
	.end_amdhsa_kernel
	.section	.text._ZN5aiter36smooth_per_token_scaled_quant_kernelItaLi512ELi16ELb1ELb1ELb0ELi1024EEEvPT0_PfPT_S3_PiS6_iiPKiiiiiiiii,"axG",@progbits,_ZN5aiter36smooth_per_token_scaled_quant_kernelItaLi512ELi16ELb1ELb1ELb0ELi1024EEEvPT0_PfPT_S3_PiS6_iiPKiiiiiiiii,comdat
.Lfunc_end125:
	.size	_ZN5aiter36smooth_per_token_scaled_quant_kernelItaLi512ELi16ELb1ELb1ELb0ELi1024EEEvPT0_PfPT_S3_PiS6_iiPKiiiiiiiii, .Lfunc_end125-_ZN5aiter36smooth_per_token_scaled_quant_kernelItaLi512ELi16ELb1ELb1ELb0ELi1024EEEvPT0_PfPT_S3_PiS6_iiPKiiiiiiiii
                                        ; -- End function
	.section	.AMDGPU.csdata,"",@progbits
; Kernel info:
; codeLenInByte = 3824
; NumSgprs: 49
; NumVgprs: 48
; ScratchSize: 0
; MemoryBound: 0
; FloatMode: 240
; IeeeMode: 1
; LDSByteSize: 64 bytes/workgroup (compile time only)
; SGPRBlocks: 6
; VGPRBlocks: 5
; NumSGPRsForWavesPerEU: 49
; NumVGPRsForWavesPerEU: 48
; Occupancy: 16
; WaveLimiterHint : 0
; COMPUTE_PGM_RSRC2:SCRATCH_EN: 0
; COMPUTE_PGM_RSRC2:USER_SGPR: 15
; COMPUTE_PGM_RSRC2:TRAP_HANDLER: 0
; COMPUTE_PGM_RSRC2:TGID_X_EN: 1
; COMPUTE_PGM_RSRC2:TGID_Y_EN: 0
; COMPUTE_PGM_RSRC2:TGID_Z_EN: 0
; COMPUTE_PGM_RSRC2:TIDIG_COMP_CNT: 0
	.section	.text._ZN5aiter36smooth_per_token_scaled_quant_kernelIDF16_aLi512ELi16ELb1ELb0ELb0ELi1024EEEvPT0_PfPT_S3_PiS6_iiPKiiiiiiiii,"axG",@progbits,_ZN5aiter36smooth_per_token_scaled_quant_kernelIDF16_aLi512ELi16ELb1ELb0ELb0ELi1024EEEvPT0_PfPT_S3_PiS6_iiPKiiiiiiiii,comdat
	.protected	_ZN5aiter36smooth_per_token_scaled_quant_kernelIDF16_aLi512ELi16ELb1ELb0ELb0ELi1024EEEvPT0_PfPT_S3_PiS6_iiPKiiiiiiiii ; -- Begin function _ZN5aiter36smooth_per_token_scaled_quant_kernelIDF16_aLi512ELi16ELb1ELb0ELb0ELi1024EEEvPT0_PfPT_S3_PiS6_iiPKiiiiiiiii
	.globl	_ZN5aiter36smooth_per_token_scaled_quant_kernelIDF16_aLi512ELi16ELb1ELb0ELb0ELi1024EEEvPT0_PfPT_S3_PiS6_iiPKiiiiiiiii
	.p2align	8
	.type	_ZN5aiter36smooth_per_token_scaled_quant_kernelIDF16_aLi512ELi16ELb1ELb0ELb0ELi1024EEEvPT0_PfPT_S3_PiS6_iiPKiiiiiiiii,@function
_ZN5aiter36smooth_per_token_scaled_quant_kernelIDF16_aLi512ELi16ELb1ELb0ELb0ELi1024EEEvPT0_PfPT_S3_PiS6_iiPKiiiiiiiii: ; @_ZN5aiter36smooth_per_token_scaled_quant_kernelIDF16_aLi512ELi16ELb1ELb0ELb0ELi1024EEEvPT0_PfPT_S3_PiS6_iiPKiiiiiiiii
; %bb.0:
	s_clause 0x1
	s_load_b64 s[2:3], s[0:1], 0x38
	s_load_b256 s[4:11], s[0:1], 0x40
	s_waitcnt lgkmcnt(0)
	s_cmp_lg_u64 s[2:3], 0
	s_cbranch_scc0 .LBB126_19
; %bb.1:
	s_load_b32 s2, s[2:3], 0x0
	s_waitcnt lgkmcnt(0)
	s_mul_i32 s4, s2, s4
	s_cbranch_execnz .LBB126_3
.LBB126_2:
	s_mul_i32 s4, s6, s5
.LBB126_3:
	s_load_b64 s[2:3], s[0:1], 0x30
	s_abs_i32 s14, s4
	s_waitcnt lgkmcnt(0)
	s_abs_i32 s11, s2
	s_delay_alu instid0(SALU_CYCLE_1) | instskip(SKIP_1) | instid1(VALU_DEP_1)
	v_cvt_f32_u32_e32 v1, s11
	s_sub_i32 s13, 0, s11
	v_rcp_iflag_f32_e32 v1, v1
	s_waitcnt_depctr 0xfff
	v_mul_f32_e32 v1, 0x4f7ffffe, v1
	s_delay_alu instid0(VALU_DEP_1) | instskip(NEXT) | instid1(VALU_DEP_1)
	v_cvt_u32_f32_e32 v1, v1
	v_readfirstlane_b32 s12, v1
	s_delay_alu instid0(VALU_DEP_1) | instskip(NEXT) | instid1(SALU_CYCLE_1)
	s_mul_i32 s13, s13, s12
	s_mul_hi_u32 s13, s12, s13
	s_delay_alu instid0(SALU_CYCLE_1) | instskip(SKIP_4) | instid1(SALU_CYCLE_1)
	s_add_i32 s12, s12, s13
	s_xor_b32 s13, s4, s2
	s_mul_hi_u32 s12, s14, s12
	s_ashr_i32 s13, s13, 31
	s_mul_i32 s16, s12, s11
	s_sub_i32 s14, s14, s16
	s_add_i32 s16, s12, 1
	s_sub_i32 s17, s14, s11
	s_cmp_ge_u32 s14, s11
	s_cselect_b32 s12, s16, s12
	s_cselect_b32 s14, s17, s14
	s_add_i32 s16, s12, 1
	s_cmp_ge_u32 s14, s11
	s_cselect_b32 s11, s16, s12
	s_delay_alu instid0(SALU_CYCLE_1) | instskip(NEXT) | instid1(SALU_CYCLE_1)
	s_xor_b32 s11, s11, s13
	s_sub_i32 s11, s11, s13
	s_mov_b32 s13, 0
	s_mul_i32 s2, s11, s2
	s_delay_alu instid0(SALU_CYCLE_1) | instskip(NEXT) | instid1(SALU_CYCLE_1)
	s_sub_i32 s4, s4, s2
	s_cmp_lt_u32 s15, s4
	s_cselect_b32 s2, -1, 0
	s_add_i32 s12, s11, 1
	s_cmp_ge_u32 s15, s4
	s_cbranch_scc0 .LBB126_5
; %bb.4:
	s_sub_i32 s14, s15, s4
	s_mul_i32 s4, s4, s12
	s_mul_i32 s14, s14, s11
	s_delay_alu instid0(SALU_CYCLE_1)
	s_add_i32 s4, s14, s4
	s_and_not1_b32 vcc_lo, exec_lo, s13
	s_cbranch_vccz .LBB126_6
	s_branch .LBB126_7
.LBB126_5:
                                        ; implicit-def: $sgpr4
.LBB126_6:
	s_mul_i32 s4, s12, s15
.LBB126_7:
	v_cndmask_b32_e64 v1, 0, 1, s2
	s_delay_alu instid0(VALU_DEP_1) | instskip(NEXT) | instid1(VALU_DEP_1)
	v_readfirstlane_b32 s2, v1
	s_add_i32 s11, s11, s2
	s_delay_alu instid0(SALU_CYCLE_1)
	s_cmp_lt_i32 s11, 1
	s_cbranch_scc1 .LBB126_18
; %bb.8:
	s_abs_i32 s34, s6
	s_abs_i32 s35, s5
	v_cvt_f32_u32_e32 v6, s34
	v_cvt_f32_u32_e32 v7, s35
	v_and_b32_e32 v3, 31, v0
	v_lshrrev_b32_e32 v4, 3, v0
	v_and_b32_e32 v5, 15, v0
	v_rcp_iflag_f32_e32 v6, v6
	v_rcp_iflag_f32_e32 v7, v7
	s_load_b256 s[12:19], s[0:1], 0x0
	s_add_i32 s1, s3, 15
	v_lshlrev_b32_e32 v2, 6, v0
	s_ashr_i32 s0, s1, 31
	v_cmp_eq_u32_e32 vcc_lo, 31, v3
	v_and_b32_e32 v3, 0x7c, v4
	v_lshlrev_b32_e32 v4, 2, v5
	s_lshr_b32 s2, s0, 28
	s_waitcnt_depctr 0xfff
	v_mul_f32_e32 v5, 0x4f7ffffe, v6
	v_dual_mul_f32 v6, 0x4f7ffffe, v7 :: v_dual_lshlrev_b32 v1, 5, v0
	s_add_i32 s1, s1, s2
	s_add_i32 s2, s3, 3
	s_mov_b32 s33, s3
	s_lshl_b32 s22, s3, 1
	s_lshl_b32 s26, s3, 2
	s_ashr_i32 s3, s2, 31
	v_cvt_u32_f32_e32 v5, v5
	s_lshr_b32 s3, s3, 30
	v_cvt_u32_f32_e32 v6, v6
	s_add_i32 s2, s2, s3
	s_sub_i32 s3, 0, s34
	s_and_b32 s30, s2, -4
	v_readfirstlane_b32 s2, v5
	v_readfirstlane_b32 s20, v6
	s_sub_i32 s21, 0, s35
	s_ashr_i32 s1, s1, 4
	v_cmp_eq_u32_e64 s0, 0, v0
	s_mul_i32 s3, s3, s2
	s_mul_i32 s21, s21, s20
	s_mul_hi_u32 s3, s2, s3
	v_cmp_gt_u32_e64 s1, s1, v0
	v_dual_mov_b32 v5, 0 :: v_dual_lshlrev_b32 v0, 4, v0
	s_mov_b32 s23, -1
	s_waitcnt lgkmcnt(0)
	s_and_b32 s19, s19, 0xffff
	s_add_i32 s37, s2, s3
	s_mul_hi_u32 s2, s20, s21
	s_mov_b32 s27, s23
	s_ashr_i32 s36, s6, 31
	s_ashr_i32 s38, s5, 31
	s_add_i32 s39, s20, s2
	s_mov_b32 s24, s18
	s_mov_b32 s25, s19
	;; [unrolled: 1-line block ×4, first 2 shown]
                                        ; implicit-def: $vgpr6
                                        ; implicit-def: $vgpr11
                                        ; implicit-def: $vgpr7
                                        ; implicit-def: $vgpr13
                                        ; implicit-def: $vgpr8
                                        ; implicit-def: $vgpr14
                                        ; implicit-def: $vgpr9
                                        ; implicit-def: $vgpr16
                                        ; implicit-def: $vgpr10
                                        ; implicit-def: $vgpr18
                                        ; implicit-def: $vgpr12
                                        ; implicit-def: $vgpr19
                                        ; implicit-def: $vgpr15
                                        ; implicit-def: $vgpr20
                                        ; implicit-def: $vgpr17
                                        ; implicit-def: $vgpr21
	s_branch .LBB126_10
.LBB126_9:                              ;   in Loop: Header=BB126_10 Depth=1
	s_or_b32 exec_lo, exec_lo, s3
	s_add_i32 s11, s11, -1
	s_add_i32 s4, s4, 1
	s_cmp_eq_u32 s11, 0
	s_cbranch_scc1 .LBB126_18
.LBB126_10:                             ; =>This Inner Loop Header: Depth=1
	s_abs_i32 s3, s4
	s_ashr_i32 s28, s4, 31
	s_mul_hi_u32 s2, s3, s37
	s_xor_b32 s21, s28, s36
	s_mul_i32 s20, s2, s34
	s_add_i32 s29, s2, 1
	s_sub_i32 s20, s3, s20
	s_delay_alu instid0(SALU_CYCLE_1)
	s_sub_i32 s31, s20, s34
	s_cmp_ge_u32 s20, s34
	s_cselect_b32 s2, s29, s2
	s_cselect_b32 s20, s31, s20
	s_add_i32 s29, s2, 1
	s_cmp_ge_u32 s20, s34
	s_cselect_b32 s2, s29, s2
	s_delay_alu instid0(SALU_CYCLE_1) | instskip(NEXT) | instid1(SALU_CYCLE_1)
	s_xor_b32 s2, s2, s21
	s_sub_i32 s2, s2, s21
	s_delay_alu instid0(SALU_CYCLE_1) | instskip(SKIP_2) | instid1(SALU_CYCLE_1)
	s_mul_i32 s20, s2, s6
	s_mul_i32 s2, s2, s7
	s_sub_i32 s20, s4, s20
	s_mul_i32 s20, s20, s8
	s_delay_alu instid0(SALU_CYCLE_1) | instskip(NEXT) | instid1(SALU_CYCLE_1)
	s_add_i32 s2, s20, s2
	s_cmp_eq_u32 s2, s19
	s_cbranch_scc1 .LBB126_12
; %bb.11:                               ;   in Loop: Header=BB126_10 Depth=1
	s_mul_hi_i32 s21, s2, s33
	s_mul_i32 s20, s2, s33
	s_delay_alu instid0(SALU_CYCLE_1) | instskip(NEXT) | instid1(SALU_CYCLE_1)
	s_lshl_b64 s[20:21], s[20:21], 1
	s_add_u32 s20, s16, s20
	s_addc_u32 s19, s17, s21
	s_delay_alu instid0(SALU_CYCLE_1)
	s_and_b32 s21, s19, 0xffff
	s_clause 0x1
	buffer_load_b128 v[7:10], v1, s[20:23], 0 offen
	buffer_load_b128 v[15:18], v1, s[20:23], 16 offen
	s_mov_b32 s19, s2
	s_waitcnt vmcnt(1)
	v_lshrrev_b32_e32 v11, 16, v7
	v_lshrrev_b32_e32 v13, 16, v8
	;; [unrolled: 1-line block ×4, first 2 shown]
	s_waitcnt vmcnt(0)
	v_lshrrev_b32_e32 v20, 16, v15
	v_lshrrev_b32_e32 v21, 16, v16
	;; [unrolled: 1-line block ×4, first 2 shown]
	v_cvt_f32_f16_e32 v6, v7
	v_cvt_f32_f16_e32 v7, v8
	;; [unrolled: 1-line block ×16, first 2 shown]
.LBB126_12:                             ;   in Loop: Header=BB126_10 Depth=1
	s_clause 0x3
	buffer_load_b128 v[22:25], v2, s[24:27], 0 offen
	buffer_load_b128 v[26:29], v2, s[24:27], 16 offen
	;; [unrolled: 1-line block ×4, first 2 shown]
	s_waitcnt vmcnt(3)
	v_dual_mul_f32 v36, v6, v22 :: v_dual_mul_f32 v37, v11, v23
	v_dual_mul_f32 v30, v7, v24 :: v_dual_mul_f32 v31, v13, v25
	s_waitcnt vmcnt(2)
	v_dual_mul_f32 v32, v8, v26 :: v_dual_mul_f32 v33, v14, v27
	s_delay_alu instid0(VALU_DEP_3) | instskip(SKIP_3) | instid1(VALU_DEP_3)
	v_max3_f32 v22, |v36|, 0x2edbe6ff, |v37|
	v_dual_mul_f32 v34, v9, v28 :: v_dual_mul_f32 v35, v16, v29
	s_waitcnt vmcnt(1)
	v_dual_mul_f32 v26, v10, v38 :: v_dual_mul_f32 v23, v19, v41
	v_max3_f32 v22, v22, |v30|, |v31|
	v_mul_f32_e32 v27, v18, v39
	s_waitcnt vmcnt(0)
	v_dual_mul_f32 v25, v15, v42 :: v_dual_mul_f32 v28, v20, v43
	v_mul_f32_e32 v29, v21, v45
	v_max3_f32 v22, v22, |v32|, |v33|
	s_delay_alu instid0(VALU_DEP_1) | instskip(SKIP_1) | instid1(VALU_DEP_2)
	v_max3_f32 v24, v22, |v34|, |v35|
	v_mul_f32_e32 v22, v12, v40
	v_max3_f32 v24, v24, |v26|, |v27|
	s_delay_alu instid0(VALU_DEP_1) | instskip(SKIP_1) | instid1(VALU_DEP_2)
	v_max3_f32 v38, v24, |v22|, |v23|
	v_mul_f32_e32 v24, v17, v44
	v_max3_f32 v38, v38, |v25|, |v28|
	s_delay_alu instid0(VALU_DEP_1) | instskip(NEXT) | instid1(VALU_DEP_1)
	v_max3_f32 v38, v38, |v24|, |v29|
	v_mov_b32_dpp v39, v38 quad_perm:[1,0,3,2] row_mask:0xf bank_mask:0xf
	s_delay_alu instid0(VALU_DEP_1) | instskip(NEXT) | instid1(VALU_DEP_1)
	v_cmp_gt_f32_e64 s2, v38, v39
	v_cndmask_b32_e64 v38, v39, v38, s2
	s_delay_alu instid0(VALU_DEP_1) | instskip(NEXT) | instid1(VALU_DEP_1)
	v_mov_b32_dpp v39, v38 quad_perm:[2,3,0,1] row_mask:0xf bank_mask:0xf
	v_cmp_gt_f32_e64 s2, v38, v39
	s_delay_alu instid0(VALU_DEP_1) | instskip(NEXT) | instid1(VALU_DEP_1)
	v_cndmask_b32_e64 v38, v39, v38, s2
	v_mov_b32_dpp v39, v38 row_xmask:7 row_mask:0xf bank_mask:0xf
	s_delay_alu instid0(VALU_DEP_1) | instskip(NEXT) | instid1(VALU_DEP_1)
	v_cmp_gt_f32_e64 s2, v38, v39
	v_cndmask_b32_e64 v38, v39, v38, s2
	s_delay_alu instid0(VALU_DEP_1) | instskip(NEXT) | instid1(VALU_DEP_1)
	v_mov_b32_dpp v39, v38 row_xmask:15 row_mask:0xf bank_mask:0xf
	v_cmp_gt_f32_e64 s2, v38, v39
	s_and_saveexec_b32 s20, vcc_lo
	s_cbranch_execz .LBB126_14
; %bb.13:                               ;   in Loop: Header=BB126_10 Depth=1
	s_delay_alu instid0(VALU_DEP_1) | instskip(NEXT) | instid1(VALU_DEP_1)
	v_cndmask_b32_e64 v38, v39, v38, s2
	v_permlanex16_b32 v39, v38, s18, 0xfedcba98 op_sel:[1,1]
	s_delay_alu instid0(VALU_DEP_1) | instskip(NEXT) | instid1(VALU_DEP_1)
	v_cmp_gt_f32_e64 s2, v38, v39
	v_cndmask_b32_e64 v38, v39, v38, s2
	ds_store_b32 v3, v38
.LBB126_14:                             ;   in Loop: Header=BB126_10 Depth=1
	s_or_b32 exec_lo, exec_lo, s20
	s_waitcnt lgkmcnt(0)
	s_waitcnt_vscnt null, 0x0
	s_barrier
	buffer_gl0_inv
	ds_load_b32 v38, v4
	s_mul_hi_u32 s20, s3, s39
	s_xor_b32 s28, s28, s38
	s_mul_i32 s21, s20, s35
	s_waitcnt lgkmcnt(0)
	v_mov_b32_dpp v39, v38 quad_perm:[1,0,3,2] row_mask:0xf bank_mask:0xf
	s_delay_alu instid0(VALU_DEP_1) | instskip(NEXT) | instid1(VALU_DEP_1)
	v_cmp_gt_f32_e64 s2, v38, v39
	v_cndmask_b32_e64 v38, v39, v38, s2
	s_delay_alu instid0(VALU_DEP_1) | instskip(NEXT) | instid1(VALU_DEP_1)
	v_mov_b32_dpp v39, v38 quad_perm:[2,3,0,1] row_mask:0xf bank_mask:0xf
	v_cmp_gt_f32_e64 s2, v38, v39
	s_delay_alu instid0(VALU_DEP_1)
	v_cndmask_b32_e64 v38, v39, v38, s2
	s_sub_i32 s2, s3, s21
	s_add_i32 s3, s20, 1
	s_sub_i32 s21, s2, s35
	s_cmp_ge_u32 s2, s35
	v_mov_b32_dpp v39, v38 row_xmask:7 row_mask:0xf bank_mask:0xf
	s_cselect_b32 s3, s3, s20
	s_cselect_b32 s20, s21, s2
	s_delay_alu instid0(VALU_DEP_1) | instskip(NEXT) | instid1(VALU_DEP_1)
	v_cmp_gt_f32_e64 s2, v38, v39
	v_cndmask_b32_e64 v38, v39, v38, s2
	s_add_i32 s2, s3, 1
	s_cmp_ge_u32 s20, s35
	s_cselect_b32 s2, s2, s3
	s_delay_alu instid0(VALU_DEP_1) | instskip(SKIP_1) | instid1(SALU_CYCLE_1)
	v_mov_b32_dpp v39, v38 row_xmask:15 row_mask:0xf bank_mask:0xf
	s_xor_b32 s2, s2, s28
	s_sub_i32 s3, s2, s28
	s_delay_alu instid0(VALU_DEP_1) | instskip(NEXT) | instid1(VALU_DEP_1)
	v_cmp_gt_f32_e64 s2, v38, v39
	v_cndmask_b32_e64 v38, v39, v38, s2
	s_mul_i32 s2, s3, s5
	s_mul_i32 s3, s3, s9
	s_sub_i32 s2, s4, s2
	s_delay_alu instid0(VALU_DEP_1) | instskip(SKIP_1) | instid1(SALU_CYCLE_1)
	v_mul_f32_e32 v38, 0x3c010204, v38
	s_mul_i32 s2, s2, s10
	s_add_i32 s2, s2, s3
	s_and_saveexec_b32 s20, s0
	s_cbranch_execz .LBB126_16
; %bb.15:                               ;   in Loop: Header=BB126_10 Depth=1
	s_ashr_i32 s3, s2, 31
	s_delay_alu instid0(SALU_CYCLE_1) | instskip(NEXT) | instid1(SALU_CYCLE_1)
	s_lshl_b64 s[28:29], s[2:3], 2
	s_add_u32 s28, s14, s28
	s_addc_u32 s29, s15, s29
	global_store_b32 v5, v38, s[28:29]
.LBB126_16:                             ;   in Loop: Header=BB126_10 Depth=1
	s_or_b32 exec_lo, exec_lo, s20
	s_and_saveexec_b32 s3, s1
	s_cbranch_execz .LBB126_9
; %bb.17:                               ;   in Loop: Header=BB126_10 Depth=1
	v_rcp_f32_e32 v38, v38
	s_mul_i32 s20, s2, s33
	s_mul_hi_i32 s2, s2, s33
	s_add_u32 s28, s12, s20
	s_addc_u32 s2, s13, s2
	s_mov_b32 s31, s23
	s_and_b32 s29, s2, 0xffff
	s_waitcnt_depctr 0xfff
	v_mul_f32_e32 v28, v28, v38
	v_mul_f32_e32 v25, v25, v38
	;; [unrolled: 1-line block ×5, first 2 shown]
	v_cvt_i32_f32_e32 v28, v28
	v_cvt_i32_f32_e32 v25, v25
	;; [unrolled: 1-line block ×4, first 2 shown]
	v_mul_f32_e32 v36, v36, v38
	v_mul_f32_e32 v37, v37, v38
	v_mul_f32_e32 v34, v34, v38
	v_mul_f32_e32 v26, v26, v38
	v_mul_f32_e32 v27, v27, v38
	v_lshlrev_b16 v28, 8, v28
	v_and_b32_e32 v25, 0xff, v25
	v_lshlrev_b16 v29, 8, v29
	v_and_b32_e32 v24, 0xff, v24
	v_cvt_i32_f32_e32 v36, v36
	v_mul_f32_e32 v35, v35, v38
	v_cvt_i32_f32_e32 v32, v32
	v_mul_f32_e32 v33, v33, v38
	v_cvt_i32_f32_e32 v34, v34
	v_cvt_i32_f32_e32 v26, v26
	;; [unrolled: 1-line block ×3, first 2 shown]
	v_mul_f32_e32 v23, v23, v38
	v_mul_f32_e32 v22, v22, v38
	v_or_b32_e32 v25, v25, v28
	v_and_b32_e32 v28, 0xff, v32
	v_mul_f32_e32 v30, v30, v38
	v_or_b32_e32 v24, v24, v29
	v_mul_f32_e32 v31, v31, v38
	v_cvt_i32_f32_e32 v37, v37
	v_cvt_i32_f32_e32 v33, v33
	v_lshlrev_b16 v27, 8, v27
	v_lshlrev_b32_e32 v24, 16, v24
	v_cvt_i32_f32_e32 v31, v31
	v_and_b32_e32 v26, 0xff, v26
	v_cvt_i32_f32_e32 v23, v23
	v_cvt_i32_f32_e32 v22, v22
	v_and_b32_e32 v25, 0xffff, v25
	v_cvt_i32_f32_e32 v30, v30
	v_and_b32_e32 v32, 0xff, v34
	v_and_b32_e32 v34, 0xff, v36
	v_cvt_i32_f32_e32 v35, v35
	v_or_b32_e32 v26, v26, v27
	v_lshlrev_b16 v23, 8, v23
	v_and_b32_e32 v22, 0xff, v22
	v_lshlrev_b16 v27, 8, v33
	v_lshlrev_b16 v29, 8, v35
	;; [unrolled: 1-line block ×4, first 2 shown]
	v_and_b32_e32 v30, 0xff, v30
	v_or_b32_e32 v22, v22, v23
	v_or_b32_e32 v23, v28, v27
	;; [unrolled: 1-line block ×5, first 2 shown]
	v_and_b32_e32 v26, 0xffff, v26
	v_lshlrev_b32_e32 v22, 16, v22
	v_and_b32_e32 v23, 0xffff, v23
	v_lshlrev_b32_e32 v27, 16, v27
	;; [unrolled: 2-line block ×3, first 2 shown]
	v_or_b32_e32 v25, v25, v24
	v_or_b32_e32 v24, v26, v22
	;; [unrolled: 1-line block ×3, first 2 shown]
	s_delay_alu instid0(VALU_DEP_4)
	v_or_b32_e32 v22, v28, v29
	buffer_store_b128 v[22:25], v0, s[28:31], 0 offen
	;;#ASMSTART
	s_nop 0
	;;#ASMEND
	s_branch .LBB126_9
.LBB126_18:
	s_nop 0
	s_sendmsg sendmsg(MSG_DEALLOC_VGPRS)
	s_endpgm
.LBB126_19:
                                        ; implicit-def: $sgpr4
	s_branch .LBB126_2
	.section	.rodata,"a",@progbits
	.p2align	6, 0x0
	.amdhsa_kernel _ZN5aiter36smooth_per_token_scaled_quant_kernelIDF16_aLi512ELi16ELb1ELb0ELb0ELi1024EEEvPT0_PfPT_S3_PiS6_iiPKiiiiiiiii
		.amdhsa_group_segment_fixed_size 64
		.amdhsa_private_segment_fixed_size 0
		.amdhsa_kernarg_size 96
		.amdhsa_user_sgpr_count 15
		.amdhsa_user_sgpr_dispatch_ptr 0
		.amdhsa_user_sgpr_queue_ptr 0
		.amdhsa_user_sgpr_kernarg_segment_ptr 1
		.amdhsa_user_sgpr_dispatch_id 0
		.amdhsa_user_sgpr_private_segment_size 0
		.amdhsa_wavefront_size32 1
		.amdhsa_uses_dynamic_stack 0
		.amdhsa_enable_private_segment 0
		.amdhsa_system_sgpr_workgroup_id_x 1
		.amdhsa_system_sgpr_workgroup_id_y 0
		.amdhsa_system_sgpr_workgroup_id_z 0
		.amdhsa_system_sgpr_workgroup_info 0
		.amdhsa_system_vgpr_workitem_id 0
		.amdhsa_next_free_vgpr 46
		.amdhsa_next_free_sgpr 40
		.amdhsa_reserve_vcc 1
		.amdhsa_float_round_mode_32 0
		.amdhsa_float_round_mode_16_64 0
		.amdhsa_float_denorm_mode_32 3
		.amdhsa_float_denorm_mode_16_64 3
		.amdhsa_dx10_clamp 1
		.amdhsa_ieee_mode 1
		.amdhsa_fp16_overflow 0
		.amdhsa_workgroup_processor_mode 1
		.amdhsa_memory_ordered 1
		.amdhsa_forward_progress 0
		.amdhsa_shared_vgpr_count 0
		.amdhsa_exception_fp_ieee_invalid_op 0
		.amdhsa_exception_fp_denorm_src 0
		.amdhsa_exception_fp_ieee_div_zero 0
		.amdhsa_exception_fp_ieee_overflow 0
		.amdhsa_exception_fp_ieee_underflow 0
		.amdhsa_exception_fp_ieee_inexact 0
		.amdhsa_exception_int_div_zero 0
	.end_amdhsa_kernel
	.section	.text._ZN5aiter36smooth_per_token_scaled_quant_kernelIDF16_aLi512ELi16ELb1ELb0ELb0ELi1024EEEvPT0_PfPT_S3_PiS6_iiPKiiiiiiiii,"axG",@progbits,_ZN5aiter36smooth_per_token_scaled_quant_kernelIDF16_aLi512ELi16ELb1ELb0ELb0ELi1024EEEvPT0_PfPT_S3_PiS6_iiPKiiiiiiiii,comdat
.Lfunc_end126:
	.size	_ZN5aiter36smooth_per_token_scaled_quant_kernelIDF16_aLi512ELi16ELb1ELb0ELb0ELi1024EEEvPT0_PfPT_S3_PiS6_iiPKiiiiiiiii, .Lfunc_end126-_ZN5aiter36smooth_per_token_scaled_quant_kernelIDF16_aLi512ELi16ELb1ELb0ELb0ELi1024EEEvPT0_PfPT_S3_PiS6_iiPKiiiiiiiii
                                        ; -- End function
	.section	.AMDGPU.csdata,"",@progbits
; Kernel info:
; codeLenInByte = 1960
; NumSgprs: 42
; NumVgprs: 46
; ScratchSize: 0
; MemoryBound: 0
; FloatMode: 240
; IeeeMode: 1
; LDSByteSize: 64 bytes/workgroup (compile time only)
; SGPRBlocks: 5
; VGPRBlocks: 5
; NumSGPRsForWavesPerEU: 42
; NumVGPRsForWavesPerEU: 46
; Occupancy: 16
; WaveLimiterHint : 0
; COMPUTE_PGM_RSRC2:SCRATCH_EN: 0
; COMPUTE_PGM_RSRC2:USER_SGPR: 15
; COMPUTE_PGM_RSRC2:TRAP_HANDLER: 0
; COMPUTE_PGM_RSRC2:TGID_X_EN: 1
; COMPUTE_PGM_RSRC2:TGID_Y_EN: 0
; COMPUTE_PGM_RSRC2:TGID_Z_EN: 0
; COMPUTE_PGM_RSRC2:TIDIG_COMP_CNT: 0
	.section	.text._ZN5aiter36smooth_per_token_scaled_quant_kernelItaLi512ELi16ELb1ELb0ELb0ELi1024EEEvPT0_PfPT_S3_PiS6_iiPKiiiiiiiii,"axG",@progbits,_ZN5aiter36smooth_per_token_scaled_quant_kernelItaLi512ELi16ELb1ELb0ELb0ELi1024EEEvPT0_PfPT_S3_PiS6_iiPKiiiiiiiii,comdat
	.protected	_ZN5aiter36smooth_per_token_scaled_quant_kernelItaLi512ELi16ELb1ELb0ELb0ELi1024EEEvPT0_PfPT_S3_PiS6_iiPKiiiiiiiii ; -- Begin function _ZN5aiter36smooth_per_token_scaled_quant_kernelItaLi512ELi16ELb1ELb0ELb0ELi1024EEEvPT0_PfPT_S3_PiS6_iiPKiiiiiiiii
	.globl	_ZN5aiter36smooth_per_token_scaled_quant_kernelItaLi512ELi16ELb1ELb0ELb0ELi1024EEEvPT0_PfPT_S3_PiS6_iiPKiiiiiiiii
	.p2align	8
	.type	_ZN5aiter36smooth_per_token_scaled_quant_kernelItaLi512ELi16ELb1ELb0ELb0ELi1024EEEvPT0_PfPT_S3_PiS6_iiPKiiiiiiiii,@function
_ZN5aiter36smooth_per_token_scaled_quant_kernelItaLi512ELi16ELb1ELb0ELb0ELi1024EEEvPT0_PfPT_S3_PiS6_iiPKiiiiiiiii: ; @_ZN5aiter36smooth_per_token_scaled_quant_kernelItaLi512ELi16ELb1ELb0ELb0ELi1024EEEvPT0_PfPT_S3_PiS6_iiPKiiiiiiiii
; %bb.0:
	s_clause 0x1
	s_load_b64 s[2:3], s[0:1], 0x38
	s_load_b256 s[4:11], s[0:1], 0x40
	s_waitcnt lgkmcnt(0)
	s_cmp_lg_u64 s[2:3], 0
	s_cbranch_scc0 .LBB127_19
; %bb.1:
	s_load_b32 s2, s[2:3], 0x0
	s_waitcnt lgkmcnt(0)
	s_mul_i32 s4, s2, s4
	s_cbranch_execnz .LBB127_3
.LBB127_2:
	s_mul_i32 s4, s6, s5
.LBB127_3:
	s_load_b64 s[2:3], s[0:1], 0x30
	s_abs_i32 s14, s4
	s_waitcnt lgkmcnt(0)
	s_abs_i32 s11, s2
	s_delay_alu instid0(SALU_CYCLE_1) | instskip(SKIP_1) | instid1(VALU_DEP_1)
	v_cvt_f32_u32_e32 v1, s11
	s_sub_i32 s13, 0, s11
	v_rcp_iflag_f32_e32 v1, v1
	s_waitcnt_depctr 0xfff
	v_mul_f32_e32 v1, 0x4f7ffffe, v1
	s_delay_alu instid0(VALU_DEP_1) | instskip(NEXT) | instid1(VALU_DEP_1)
	v_cvt_u32_f32_e32 v1, v1
	v_readfirstlane_b32 s12, v1
	s_delay_alu instid0(VALU_DEP_1) | instskip(NEXT) | instid1(SALU_CYCLE_1)
	s_mul_i32 s13, s13, s12
	s_mul_hi_u32 s13, s12, s13
	s_delay_alu instid0(SALU_CYCLE_1) | instskip(SKIP_4) | instid1(SALU_CYCLE_1)
	s_add_i32 s12, s12, s13
	s_xor_b32 s13, s4, s2
	s_mul_hi_u32 s12, s14, s12
	s_ashr_i32 s13, s13, 31
	s_mul_i32 s16, s12, s11
	s_sub_i32 s14, s14, s16
	s_add_i32 s16, s12, 1
	s_sub_i32 s17, s14, s11
	s_cmp_ge_u32 s14, s11
	s_cselect_b32 s12, s16, s12
	s_cselect_b32 s14, s17, s14
	s_add_i32 s16, s12, 1
	s_cmp_ge_u32 s14, s11
	s_cselect_b32 s11, s16, s12
	s_delay_alu instid0(SALU_CYCLE_1) | instskip(NEXT) | instid1(SALU_CYCLE_1)
	s_xor_b32 s11, s11, s13
	s_sub_i32 s11, s11, s13
	s_mov_b32 s13, 0
	s_mul_i32 s2, s11, s2
	s_delay_alu instid0(SALU_CYCLE_1) | instskip(NEXT) | instid1(SALU_CYCLE_1)
	s_sub_i32 s4, s4, s2
	s_cmp_lt_u32 s15, s4
	s_cselect_b32 s2, -1, 0
	s_add_i32 s12, s11, 1
	s_cmp_ge_u32 s15, s4
	s_cbranch_scc0 .LBB127_5
; %bb.4:
	s_sub_i32 s14, s15, s4
	s_mul_i32 s4, s4, s12
	s_mul_i32 s14, s14, s11
	s_delay_alu instid0(SALU_CYCLE_1)
	s_add_i32 s4, s14, s4
	s_and_not1_b32 vcc_lo, exec_lo, s13
	s_cbranch_vccz .LBB127_6
	s_branch .LBB127_7
.LBB127_5:
                                        ; implicit-def: $sgpr4
.LBB127_6:
	s_mul_i32 s4, s12, s15
.LBB127_7:
	v_cndmask_b32_e64 v1, 0, 1, s2
	s_delay_alu instid0(VALU_DEP_1) | instskip(NEXT) | instid1(VALU_DEP_1)
	v_readfirstlane_b32 s2, v1
	s_add_i32 s11, s11, s2
	s_delay_alu instid0(SALU_CYCLE_1)
	s_cmp_lt_i32 s11, 1
	s_cbranch_scc1 .LBB127_18
; %bb.8:
	s_abs_i32 s34, s6
	s_abs_i32 s35, s5
	v_cvt_f32_u32_e32 v6, s34
	v_cvt_f32_u32_e32 v7, s35
	v_and_b32_e32 v3, 31, v0
	v_lshrrev_b32_e32 v4, 3, v0
	v_and_b32_e32 v5, 15, v0
	v_rcp_iflag_f32_e32 v6, v6
	v_rcp_iflag_f32_e32 v7, v7
	s_load_b256 s[12:19], s[0:1], 0x0
	s_add_i32 s1, s3, 15
	v_lshlrev_b32_e32 v2, 6, v0
	s_ashr_i32 s0, s1, 31
	v_cmp_eq_u32_e32 vcc_lo, 31, v3
	v_and_b32_e32 v3, 0x7c, v4
	v_lshlrev_b32_e32 v4, 2, v5
	s_lshr_b32 s2, s0, 28
	s_waitcnt_depctr 0xfff
	v_mul_f32_e32 v5, 0x4f7ffffe, v6
	v_dual_mul_f32 v6, 0x4f7ffffe, v7 :: v_dual_lshlrev_b32 v1, 5, v0
	s_add_i32 s1, s1, s2
	s_add_i32 s2, s3, 3
	s_mov_b32 s33, s3
	s_lshl_b32 s22, s3, 1
	s_lshl_b32 s26, s3, 2
	s_ashr_i32 s3, s2, 31
	v_cvt_u32_f32_e32 v5, v5
	s_lshr_b32 s3, s3, 30
	v_cvt_u32_f32_e32 v6, v6
	s_add_i32 s2, s2, s3
	s_sub_i32 s3, 0, s34
	s_and_b32 s30, s2, -4
	v_readfirstlane_b32 s2, v5
	v_readfirstlane_b32 s20, v6
	s_sub_i32 s21, 0, s35
	s_ashr_i32 s1, s1, 4
	v_cmp_eq_u32_e64 s0, 0, v0
	s_mul_i32 s3, s3, s2
	s_mul_i32 s21, s21, s20
	s_mul_hi_u32 s3, s2, s3
	v_cmp_gt_u32_e64 s1, s1, v0
	v_dual_mov_b32 v5, 0 :: v_dual_lshlrev_b32 v0, 4, v0
	s_mov_b32 s23, -1
	s_waitcnt lgkmcnt(0)
	s_and_b32 s19, s19, 0xffff
	s_add_i32 s37, s2, s3
	s_mul_hi_u32 s2, s20, s21
	s_mov_b32 s27, s23
	s_ashr_i32 s36, s6, 31
	s_ashr_i32 s38, s5, 31
	s_add_i32 s39, s20, s2
	s_mov_b32 s24, s18
	s_mov_b32 s25, s19
	;; [unrolled: 1-line block ×4, first 2 shown]
                                        ; implicit-def: $vgpr6
                                        ; implicit-def: $vgpr7
                                        ; implicit-def: $vgpr8
                                        ; implicit-def: $vgpr9
                                        ; implicit-def: $vgpr10
                                        ; implicit-def: $vgpr11
                                        ; implicit-def: $vgpr12
                                        ; implicit-def: $vgpr13
                                        ; implicit-def: $vgpr14
                                        ; implicit-def: $vgpr15
                                        ; implicit-def: $vgpr16
                                        ; implicit-def: $vgpr17
                                        ; implicit-def: $vgpr18
                                        ; implicit-def: $vgpr19
                                        ; implicit-def: $vgpr20
                                        ; implicit-def: $vgpr21
	s_branch .LBB127_10
.LBB127_9:                              ;   in Loop: Header=BB127_10 Depth=1
	s_or_b32 exec_lo, exec_lo, s3
	s_add_i32 s11, s11, -1
	s_add_i32 s4, s4, 1
	s_cmp_eq_u32 s11, 0
	s_cbranch_scc1 .LBB127_18
.LBB127_10:                             ; =>This Inner Loop Header: Depth=1
	s_abs_i32 s3, s4
	s_ashr_i32 s28, s4, 31
	s_mul_hi_u32 s2, s3, s37
	s_xor_b32 s21, s28, s36
	s_mul_i32 s20, s2, s34
	s_add_i32 s29, s2, 1
	s_sub_i32 s20, s3, s20
	s_delay_alu instid0(SALU_CYCLE_1)
	s_sub_i32 s31, s20, s34
	s_cmp_ge_u32 s20, s34
	s_cselect_b32 s2, s29, s2
	s_cselect_b32 s20, s31, s20
	s_add_i32 s29, s2, 1
	s_cmp_ge_u32 s20, s34
	s_cselect_b32 s2, s29, s2
	s_delay_alu instid0(SALU_CYCLE_1) | instskip(NEXT) | instid1(SALU_CYCLE_1)
	s_xor_b32 s2, s2, s21
	s_sub_i32 s2, s2, s21
	s_delay_alu instid0(SALU_CYCLE_1) | instskip(SKIP_2) | instid1(SALU_CYCLE_1)
	s_mul_i32 s20, s2, s6
	s_mul_i32 s2, s2, s7
	s_sub_i32 s20, s4, s20
	s_mul_i32 s20, s20, s8
	s_delay_alu instid0(SALU_CYCLE_1) | instskip(NEXT) | instid1(SALU_CYCLE_1)
	s_add_i32 s2, s20, s2
	s_cmp_eq_u32 s2, s19
	s_cbranch_scc1 .LBB127_12
; %bb.11:                               ;   in Loop: Header=BB127_10 Depth=1
	s_mul_hi_i32 s21, s2, s33
	s_mul_i32 s20, s2, s33
	s_delay_alu instid0(SALU_CYCLE_1) | instskip(NEXT) | instid1(SALU_CYCLE_1)
	s_lshl_b64 s[20:21], s[20:21], 1
	s_add_u32 s20, s16, s20
	s_addc_u32 s19, s17, s21
	s_delay_alu instid0(SALU_CYCLE_1)
	s_and_b32 s21, s19, 0xffff
	s_clause 0x1
	buffer_load_b128 v[6:9], v1, s[20:23], 0 offen
	buffer_load_b128 v[10:13], v1, s[20:23], 16 offen
	s_mov_b32 s19, s2
	s_waitcnt vmcnt(1)
	v_and_b32_e32 v14, 0xffff, v6
	v_lshrrev_b32_e32 v15, 16, v6
	v_and_b32_e32 v16, 0xffff, v7
	v_lshrrev_b32_e32 v17, 16, v7
	;; [unrolled: 2-line block ×4, first 2 shown]
	s_waitcnt vmcnt(0)
	v_and_b32_e32 v22, 0xffff, v10
	v_lshrrev_b32_e32 v23, 16, v10
	v_and_b32_e32 v24, 0xffff, v11
	v_lshrrev_b32_e32 v25, 16, v11
	;; [unrolled: 2-line block ×4, first 2 shown]
	v_cvt_f32_u32_e32 v6, v14
	v_cvt_f32_u32_e32 v7, v15
	;; [unrolled: 1-line block ×16, first 2 shown]
.LBB127_12:                             ;   in Loop: Header=BB127_10 Depth=1
	s_clause 0x3
	buffer_load_b128 v[22:25], v2, s[24:27], 0 offen
	buffer_load_b128 v[26:29], v2, s[24:27], 16 offen
	;; [unrolled: 1-line block ×4, first 2 shown]
	s_waitcnt vmcnt(3)
	v_dual_mul_f32 v36, v6, v22 :: v_dual_mul_f32 v37, v7, v23
	v_dual_mul_f32 v30, v8, v24 :: v_dual_mul_f32 v31, v9, v25
	s_waitcnt vmcnt(2)
	v_dual_mul_f32 v32, v10, v26 :: v_dual_mul_f32 v33, v11, v27
	s_delay_alu instid0(VALU_DEP_3) | instskip(SKIP_3) | instid1(VALU_DEP_3)
	v_max3_f32 v22, |v36|, 0x2edbe6ff, |v37|
	v_dual_mul_f32 v34, v12, v28 :: v_dual_mul_f32 v35, v13, v29
	s_waitcnt vmcnt(1)
	v_dual_mul_f32 v26, v14, v38 :: v_dual_mul_f32 v27, v15, v39
	v_max3_f32 v22, v22, |v30|, |v31|
	s_waitcnt vmcnt(0)
	v_dual_mul_f32 v25, v18, v42 :: v_dual_mul_f32 v28, v19, v43
	v_mul_f32_e32 v23, v17, v41
	v_mul_f32_e32 v29, v21, v45
	v_max3_f32 v22, v22, |v32|, |v33|
	s_delay_alu instid0(VALU_DEP_1) | instskip(SKIP_1) | instid1(VALU_DEP_2)
	v_max3_f32 v24, v22, |v34|, |v35|
	v_mul_f32_e32 v22, v16, v40
	v_max3_f32 v24, v24, |v26|, |v27|
	s_delay_alu instid0(VALU_DEP_1) | instskip(SKIP_1) | instid1(VALU_DEP_2)
	v_max3_f32 v38, v24, |v22|, |v23|
	v_mul_f32_e32 v24, v20, v44
	v_max3_f32 v38, v38, |v25|, |v28|
	s_delay_alu instid0(VALU_DEP_1) | instskip(NEXT) | instid1(VALU_DEP_1)
	v_max3_f32 v38, v38, |v24|, |v29|
	v_mov_b32_dpp v39, v38 quad_perm:[1,0,3,2] row_mask:0xf bank_mask:0xf
	s_delay_alu instid0(VALU_DEP_1) | instskip(NEXT) | instid1(VALU_DEP_1)
	v_cmp_gt_f32_e64 s2, v38, v39
	v_cndmask_b32_e64 v38, v39, v38, s2
	s_delay_alu instid0(VALU_DEP_1) | instskip(NEXT) | instid1(VALU_DEP_1)
	v_mov_b32_dpp v39, v38 quad_perm:[2,3,0,1] row_mask:0xf bank_mask:0xf
	v_cmp_gt_f32_e64 s2, v38, v39
	s_delay_alu instid0(VALU_DEP_1) | instskip(NEXT) | instid1(VALU_DEP_1)
	v_cndmask_b32_e64 v38, v39, v38, s2
	v_mov_b32_dpp v39, v38 row_xmask:7 row_mask:0xf bank_mask:0xf
	s_delay_alu instid0(VALU_DEP_1) | instskip(NEXT) | instid1(VALU_DEP_1)
	v_cmp_gt_f32_e64 s2, v38, v39
	v_cndmask_b32_e64 v38, v39, v38, s2
	s_delay_alu instid0(VALU_DEP_1) | instskip(NEXT) | instid1(VALU_DEP_1)
	v_mov_b32_dpp v39, v38 row_xmask:15 row_mask:0xf bank_mask:0xf
	v_cmp_gt_f32_e64 s2, v38, v39
	s_and_saveexec_b32 s20, vcc_lo
	s_cbranch_execz .LBB127_14
; %bb.13:                               ;   in Loop: Header=BB127_10 Depth=1
	s_delay_alu instid0(VALU_DEP_1) | instskip(NEXT) | instid1(VALU_DEP_1)
	v_cndmask_b32_e64 v38, v39, v38, s2
	v_permlanex16_b32 v39, v38, s18, 0xfedcba98 op_sel:[1,1]
	s_delay_alu instid0(VALU_DEP_1) | instskip(NEXT) | instid1(VALU_DEP_1)
	v_cmp_gt_f32_e64 s2, v38, v39
	v_cndmask_b32_e64 v38, v39, v38, s2
	ds_store_b32 v3, v38
.LBB127_14:                             ;   in Loop: Header=BB127_10 Depth=1
	s_or_b32 exec_lo, exec_lo, s20
	s_waitcnt lgkmcnt(0)
	s_waitcnt_vscnt null, 0x0
	s_barrier
	buffer_gl0_inv
	ds_load_b32 v38, v4
	s_mul_hi_u32 s20, s3, s39
	s_xor_b32 s28, s28, s38
	s_mul_i32 s21, s20, s35
	s_waitcnt lgkmcnt(0)
	v_mov_b32_dpp v39, v38 quad_perm:[1,0,3,2] row_mask:0xf bank_mask:0xf
	s_delay_alu instid0(VALU_DEP_1) | instskip(NEXT) | instid1(VALU_DEP_1)
	v_cmp_gt_f32_e64 s2, v38, v39
	v_cndmask_b32_e64 v38, v39, v38, s2
	s_delay_alu instid0(VALU_DEP_1) | instskip(NEXT) | instid1(VALU_DEP_1)
	v_mov_b32_dpp v39, v38 quad_perm:[2,3,0,1] row_mask:0xf bank_mask:0xf
	v_cmp_gt_f32_e64 s2, v38, v39
	s_delay_alu instid0(VALU_DEP_1)
	v_cndmask_b32_e64 v38, v39, v38, s2
	s_sub_i32 s2, s3, s21
	s_add_i32 s3, s20, 1
	s_sub_i32 s21, s2, s35
	s_cmp_ge_u32 s2, s35
	v_mov_b32_dpp v39, v38 row_xmask:7 row_mask:0xf bank_mask:0xf
	s_cselect_b32 s3, s3, s20
	s_cselect_b32 s20, s21, s2
	s_delay_alu instid0(VALU_DEP_1) | instskip(NEXT) | instid1(VALU_DEP_1)
	v_cmp_gt_f32_e64 s2, v38, v39
	v_cndmask_b32_e64 v38, v39, v38, s2
	s_add_i32 s2, s3, 1
	s_cmp_ge_u32 s20, s35
	s_cselect_b32 s2, s2, s3
	s_delay_alu instid0(VALU_DEP_1) | instskip(SKIP_1) | instid1(SALU_CYCLE_1)
	v_mov_b32_dpp v39, v38 row_xmask:15 row_mask:0xf bank_mask:0xf
	s_xor_b32 s2, s2, s28
	s_sub_i32 s3, s2, s28
	s_delay_alu instid0(VALU_DEP_1) | instskip(NEXT) | instid1(VALU_DEP_1)
	v_cmp_gt_f32_e64 s2, v38, v39
	v_cndmask_b32_e64 v38, v39, v38, s2
	s_mul_i32 s2, s3, s5
	s_mul_i32 s3, s3, s9
	s_sub_i32 s2, s4, s2
	s_delay_alu instid0(VALU_DEP_1) | instskip(SKIP_1) | instid1(SALU_CYCLE_1)
	v_mul_f32_e32 v38, 0x3c010204, v38
	s_mul_i32 s2, s2, s10
	s_add_i32 s2, s2, s3
	s_and_saveexec_b32 s20, s0
	s_cbranch_execz .LBB127_16
; %bb.15:                               ;   in Loop: Header=BB127_10 Depth=1
	s_ashr_i32 s3, s2, 31
	s_delay_alu instid0(SALU_CYCLE_1) | instskip(NEXT) | instid1(SALU_CYCLE_1)
	s_lshl_b64 s[28:29], s[2:3], 2
	s_add_u32 s28, s14, s28
	s_addc_u32 s29, s15, s29
	global_store_b32 v5, v38, s[28:29]
.LBB127_16:                             ;   in Loop: Header=BB127_10 Depth=1
	s_or_b32 exec_lo, exec_lo, s20
	s_and_saveexec_b32 s3, s1
	s_cbranch_execz .LBB127_9
; %bb.17:                               ;   in Loop: Header=BB127_10 Depth=1
	v_rcp_f32_e32 v38, v38
	s_mul_i32 s20, s2, s33
	s_mul_hi_i32 s2, s2, s33
	s_add_u32 s28, s12, s20
	s_addc_u32 s2, s13, s2
	s_mov_b32 s31, s23
	s_and_b32 s29, s2, 0xffff
	s_waitcnt_depctr 0xfff
	v_mul_f32_e32 v28, v28, v38
	v_mul_f32_e32 v25, v25, v38
	;; [unrolled: 1-line block ×5, first 2 shown]
	v_cvt_i32_f32_e32 v28, v28
	v_cvt_i32_f32_e32 v25, v25
	;; [unrolled: 1-line block ×4, first 2 shown]
	v_mul_f32_e32 v36, v36, v38
	v_mul_f32_e32 v37, v37, v38
	;; [unrolled: 1-line block ×5, first 2 shown]
	v_lshlrev_b16 v28, 8, v28
	v_and_b32_e32 v25, 0xff, v25
	v_lshlrev_b16 v29, 8, v29
	v_and_b32_e32 v24, 0xff, v24
	v_cvt_i32_f32_e32 v36, v36
	v_mul_f32_e32 v35, v35, v38
	v_cvt_i32_f32_e32 v32, v32
	v_mul_f32_e32 v33, v33, v38
	v_cvt_i32_f32_e32 v34, v34
	v_cvt_i32_f32_e32 v26, v26
	;; [unrolled: 1-line block ×3, first 2 shown]
	v_mul_f32_e32 v23, v23, v38
	v_mul_f32_e32 v22, v22, v38
	v_or_b32_e32 v25, v25, v28
	v_and_b32_e32 v28, 0xff, v32
	v_mul_f32_e32 v30, v30, v38
	v_or_b32_e32 v24, v24, v29
	v_mul_f32_e32 v31, v31, v38
	v_cvt_i32_f32_e32 v37, v37
	v_cvt_i32_f32_e32 v33, v33
	v_lshlrev_b16 v27, 8, v27
	v_lshlrev_b32_e32 v24, 16, v24
	v_cvt_i32_f32_e32 v31, v31
	v_and_b32_e32 v26, 0xff, v26
	v_cvt_i32_f32_e32 v23, v23
	v_cvt_i32_f32_e32 v22, v22
	v_and_b32_e32 v25, 0xffff, v25
	v_cvt_i32_f32_e32 v30, v30
	v_and_b32_e32 v32, 0xff, v34
	v_and_b32_e32 v34, 0xff, v36
	v_cvt_i32_f32_e32 v35, v35
	v_or_b32_e32 v26, v26, v27
	v_lshlrev_b16 v23, 8, v23
	v_and_b32_e32 v22, 0xff, v22
	v_lshlrev_b16 v27, 8, v33
	v_lshlrev_b16 v29, 8, v35
	;; [unrolled: 1-line block ×4, first 2 shown]
	v_and_b32_e32 v30, 0xff, v30
	v_or_b32_e32 v22, v22, v23
	v_or_b32_e32 v23, v28, v27
	;; [unrolled: 1-line block ×5, first 2 shown]
	v_and_b32_e32 v26, 0xffff, v26
	v_lshlrev_b32_e32 v22, 16, v22
	v_and_b32_e32 v23, 0xffff, v23
	v_lshlrev_b32_e32 v27, 16, v27
	;; [unrolled: 2-line block ×3, first 2 shown]
	v_or_b32_e32 v25, v25, v24
	v_or_b32_e32 v24, v26, v22
	;; [unrolled: 1-line block ×3, first 2 shown]
	s_delay_alu instid0(VALU_DEP_4)
	v_or_b32_e32 v22, v28, v29
	buffer_store_b128 v[22:25], v0, s[28:31], 0 offen
	;;#ASMSTART
	s_nop 0
	;;#ASMEND
	s_branch .LBB127_9
.LBB127_18:
	s_nop 0
	s_sendmsg sendmsg(MSG_DEALLOC_VGPRS)
	s_endpgm
.LBB127_19:
                                        ; implicit-def: $sgpr4
	s_branch .LBB127_2
	.section	.rodata,"a",@progbits
	.p2align	6, 0x0
	.amdhsa_kernel _ZN5aiter36smooth_per_token_scaled_quant_kernelItaLi512ELi16ELb1ELb0ELb0ELi1024EEEvPT0_PfPT_S3_PiS6_iiPKiiiiiiiii
		.amdhsa_group_segment_fixed_size 64
		.amdhsa_private_segment_fixed_size 0
		.amdhsa_kernarg_size 96
		.amdhsa_user_sgpr_count 15
		.amdhsa_user_sgpr_dispatch_ptr 0
		.amdhsa_user_sgpr_queue_ptr 0
		.amdhsa_user_sgpr_kernarg_segment_ptr 1
		.amdhsa_user_sgpr_dispatch_id 0
		.amdhsa_user_sgpr_private_segment_size 0
		.amdhsa_wavefront_size32 1
		.amdhsa_uses_dynamic_stack 0
		.amdhsa_enable_private_segment 0
		.amdhsa_system_sgpr_workgroup_id_x 1
		.amdhsa_system_sgpr_workgroup_id_y 0
		.amdhsa_system_sgpr_workgroup_id_z 0
		.amdhsa_system_sgpr_workgroup_info 0
		.amdhsa_system_vgpr_workitem_id 0
		.amdhsa_next_free_vgpr 46
		.amdhsa_next_free_sgpr 40
		.amdhsa_reserve_vcc 1
		.amdhsa_float_round_mode_32 0
		.amdhsa_float_round_mode_16_64 0
		.amdhsa_float_denorm_mode_32 3
		.amdhsa_float_denorm_mode_16_64 3
		.amdhsa_dx10_clamp 1
		.amdhsa_ieee_mode 1
		.amdhsa_fp16_overflow 0
		.amdhsa_workgroup_processor_mode 1
		.amdhsa_memory_ordered 1
		.amdhsa_forward_progress 0
		.amdhsa_shared_vgpr_count 0
		.amdhsa_exception_fp_ieee_invalid_op 0
		.amdhsa_exception_fp_denorm_src 0
		.amdhsa_exception_fp_ieee_div_zero 0
		.amdhsa_exception_fp_ieee_overflow 0
		.amdhsa_exception_fp_ieee_underflow 0
		.amdhsa_exception_fp_ieee_inexact 0
		.amdhsa_exception_int_div_zero 0
	.end_amdhsa_kernel
	.section	.text._ZN5aiter36smooth_per_token_scaled_quant_kernelItaLi512ELi16ELb1ELb0ELb0ELi1024EEEvPT0_PfPT_S3_PiS6_iiPKiiiiiiiii,"axG",@progbits,_ZN5aiter36smooth_per_token_scaled_quant_kernelItaLi512ELi16ELb1ELb0ELb0ELi1024EEEvPT0_PfPT_S3_PiS6_iiPKiiiiiiiii,comdat
.Lfunc_end127:
	.size	_ZN5aiter36smooth_per_token_scaled_quant_kernelItaLi512ELi16ELb1ELb0ELb0ELi1024EEEvPT0_PfPT_S3_PiS6_iiPKiiiiiiiii, .Lfunc_end127-_ZN5aiter36smooth_per_token_scaled_quant_kernelItaLi512ELi16ELb1ELb0ELb0ELi1024EEEvPT0_PfPT_S3_PiS6_iiPKiiiiiiiii
                                        ; -- End function
	.section	.AMDGPU.csdata,"",@progbits
; Kernel info:
; codeLenInByte = 2024
; NumSgprs: 42
; NumVgprs: 46
; ScratchSize: 0
; MemoryBound: 0
; FloatMode: 240
; IeeeMode: 1
; LDSByteSize: 64 bytes/workgroup (compile time only)
; SGPRBlocks: 5
; VGPRBlocks: 5
; NumSGPRsForWavesPerEU: 42
; NumVGPRsForWavesPerEU: 46
; Occupancy: 16
; WaveLimiterHint : 0
; COMPUTE_PGM_RSRC2:SCRATCH_EN: 0
; COMPUTE_PGM_RSRC2:USER_SGPR: 15
; COMPUTE_PGM_RSRC2:TRAP_HANDLER: 0
; COMPUTE_PGM_RSRC2:TGID_X_EN: 1
; COMPUTE_PGM_RSRC2:TGID_Y_EN: 0
; COMPUTE_PGM_RSRC2:TGID_Z_EN: 0
; COMPUTE_PGM_RSRC2:TIDIG_COMP_CNT: 0
	.section	.text._ZN5aiter36smooth_per_token_scaled_quant_kernelIDF16_aLi512ELi16ELb0ELb1ELb1ELi1024EEEvPT0_PfPT_S3_PiS6_iiPKiiiiiiiii,"axG",@progbits,_ZN5aiter36smooth_per_token_scaled_quant_kernelIDF16_aLi512ELi16ELb0ELb1ELb1ELi1024EEEvPT0_PfPT_S3_PiS6_iiPKiiiiiiiii,comdat
	.protected	_ZN5aiter36smooth_per_token_scaled_quant_kernelIDF16_aLi512ELi16ELb0ELb1ELb1ELi1024EEEvPT0_PfPT_S3_PiS6_iiPKiiiiiiiii ; -- Begin function _ZN5aiter36smooth_per_token_scaled_quant_kernelIDF16_aLi512ELi16ELb0ELb1ELb1ELi1024EEEvPT0_PfPT_S3_PiS6_iiPKiiiiiiiii
	.globl	_ZN5aiter36smooth_per_token_scaled_quant_kernelIDF16_aLi512ELi16ELb0ELb1ELb1ELi1024EEEvPT0_PfPT_S3_PiS6_iiPKiiiiiiiii
	.p2align	8
	.type	_ZN5aiter36smooth_per_token_scaled_quant_kernelIDF16_aLi512ELi16ELb0ELb1ELb1ELi1024EEEvPT0_PfPT_S3_PiS6_iiPKiiiiiiiii,@function
_ZN5aiter36smooth_per_token_scaled_quant_kernelIDF16_aLi512ELi16ELb0ELb1ELb1ELi1024EEEvPT0_PfPT_S3_PiS6_iiPKiiiiiiiii: ; @_ZN5aiter36smooth_per_token_scaled_quant_kernelIDF16_aLi512ELi16ELb0ELb1ELb1ELi1024EEEvPT0_PfPT_S3_PiS6_iiPKiiiiiiiii
; %bb.0:
	s_clause 0x2
	s_load_b64 s[2:3], s[0:1], 0x38
	s_load_b64 s[16:17], s[0:1], 0x28
	s_load_b256 s[4:11], s[0:1], 0x40
	s_waitcnt lgkmcnt(0)
	s_cmp_lg_u64 s[2:3], 0
	s_cbranch_scc0 .LBB128_11
; %bb.1:
	s_load_b32 s2, s[2:3], 0x0
	s_waitcnt lgkmcnt(0)
	s_mul_i32 s4, s2, s4
	s_cbranch_execnz .LBB128_3
.LBB128_2:
	s_mul_i32 s4, s6, s5
.LBB128_3:
	v_lshlrev_b32_e32 v1, 2, v0
	s_lshl_b32 s18, s11, 2
	s_and_b32 s17, s17, 0xffff
	s_mov_b32 s19, -1
	s_load_b64 s[2:3], s[0:1], 0x30
	s_clause 0x1
	buffer_load_b32 v2, v1, s[16:19], 0 offen
	buffer_load_b32 v3, v1, s[16:19], 0 offen offset:2048
	s_abs_i32 s13, s4
	s_waitcnt lgkmcnt(0)
	s_abs_i32 s5, s2
	s_delay_alu instid0(SALU_CYCLE_1) | instskip(SKIP_1) | instid1(VALU_DEP_1)
	v_cvt_f32_u32_e32 v4, s5
	s_sub_i32 s12, 0, s5
	v_rcp_iflag_f32_e32 v4, v4
	s_waitcnt_depctr 0xfff
	v_mul_f32_e32 v4, 0x4f7ffffe, v4
	s_delay_alu instid0(VALU_DEP_1) | instskip(NEXT) | instid1(VALU_DEP_1)
	v_cvt_u32_f32_e32 v4, v4
	v_readfirstlane_b32 s11, v4
	s_delay_alu instid0(VALU_DEP_1) | instskip(NEXT) | instid1(SALU_CYCLE_1)
	s_mul_i32 s12, s12, s11
	s_mul_hi_u32 s12, s11, s12
	s_delay_alu instid0(SALU_CYCLE_1) | instskip(SKIP_4) | instid1(SALU_CYCLE_1)
	s_add_i32 s11, s11, s12
	s_xor_b32 s12, s4, s2
	s_mul_hi_u32 s11, s13, s11
	s_ashr_i32 s12, s12, 31
	s_mul_i32 s14, s11, s5
	s_sub_i32 s13, s13, s14
	s_add_i32 s14, s11, 1
	s_sub_i32 s16, s13, s5
	s_cmp_ge_u32 s13, s5
	s_cselect_b32 s11, s14, s11
	s_cselect_b32 s13, s16, s13
	s_add_i32 s14, s11, 1
	s_cmp_ge_u32 s13, s5
	s_cselect_b32 s5, s14, s11
	s_delay_alu instid0(SALU_CYCLE_1) | instskip(NEXT) | instid1(SALU_CYCLE_1)
	s_xor_b32 s5, s5, s12
	s_sub_i32 s11, s5, s12
	s_delay_alu instid0(SALU_CYCLE_1) | instskip(NEXT) | instid1(SALU_CYCLE_1)
	s_mul_i32 s2, s11, s2
	s_sub_i32 s12, s4, s2
                                        ; implicit-def: $sgpr4
	s_delay_alu instid0(SALU_CYCLE_1)
	s_cmp_lt_u32 s15, s12
	s_cselect_b32 s2, -1, 0
	s_add_i32 s5, s11, 1
	s_cmp_ge_u32 s15, s12
	s_waitcnt vmcnt(0)
	ds_store_2addr_stride64_b32 v1, v2, v3 offset1:8
	s_cbranch_scc0 .LBB128_5
; %bb.4:
	s_sub_i32 s4, s15, s12
	s_mul_i32 s12, s12, s5
	s_mul_i32 s4, s4, s11
	s_mov_b32 s19, 0
	s_add_i32 s4, s4, s12
.LBB128_5:
	s_and_not1_b32 vcc_lo, exec_lo, s19
	s_cbranch_vccnz .LBB128_7
; %bb.6:
	s_mul_i32 s4, s5, s15
.LBB128_7:
	v_cndmask_b32_e64 v1, 0, 1, s2
	s_delay_alu instid0(VALU_DEP_1) | instskip(NEXT) | instid1(VALU_DEP_1)
	v_readfirstlane_b32 s2, v1
	s_add_i32 s11, s11, s2
	s_delay_alu instid0(SALU_CYCLE_1)
	s_cmp_lt_i32 s11, 1
	s_cbranch_scc1 .LBB128_35
; %bb.8:
	s_load_b64 s[12:13], s[0:1], 0x20
	s_ashr_i32 s5, s4, 31
	v_and_b32_e32 v1, 31, v0
	s_lshl_b64 s[14:15], s[4:5], 2
	s_mov_b32 s34, -1
	v_and_b32_e32 v4, 15, v0
	s_mov_b32 s23, s34
	v_cmp_eq_u32_e32 vcc_lo, 31, v1
	v_lshlrev_b32_e32 v16, 5, v0
	v_lshlrev_b32_e32 v17, 6, v0
	v_lshl_or_b32 v19, v4, 2, 0x1000
	v_lshlrev_b32_e32 v21, 4, v0
	s_mov_b32 s41, s3
	s_waitcnt lgkmcnt(0)
	s_add_u32 s20, s12, s14
	s_addc_u32 s2, s13, s15
	s_abs_i32 s33, s6
	s_lshl_b32 s22, s11, 2
	v_cvt_f32_u32_e32 v3, s33
	s_and_b32 s21, s2, 0xffff
	s_load_b256 s[12:19], s[0:1], 0x0
	s_movk_i32 s0, 0x7c
	s_add_i32 s1, s3, 15
	v_rcp_iflag_f32_e32 v3, v3
	v_lshlrev_b32_e32 v22, 2, v1
	v_lshrrev_b32_e32 v1, 3, v0
	s_ashr_i32 s2, s1, 31
	s_lshl_b32 s26, s3, 1
	s_lshr_b32 s2, s2, 28
	s_lshl_b32 s30, s3, 2
	v_and_or_b32 v18, v1, s0, 0x1000
	s_add_i32 s1, s1, s2
	v_cmp_eq_u32_e64 s0, 0, v0
	s_waitcnt_depctr 0xfff
	v_mul_f32_e32 v1, 0x4f7ffffe, v3
	buffer_load_b32 v2, v22, s[20:23], 0 offen
	s_waitcnt vmcnt(0) expcnt(0) lgkmcnt(0)
	s_barrier
	buffer_gl0_inv
	v_cvt_u32_f32_e32 v1, v1
	s_add_i32 s23, s3, 3
	s_ashr_i32 s1, s1, 4
	s_ashr_i32 s2, s23, 31
	v_cmp_gt_u32_e64 s1, s1, v0
	v_readfirstlane_b32 s40, v1
	s_lshr_b32 s2, s2, 30
	s_ashr_i32 s35, s6, 31
	s_add_i32 s23, s23, s2
	s_sub_i32 s2, 0, s33
	s_and_b32 s38, s23, -4
	s_mul_i32 s23, s2, s40
	s_delay_alu instid0(SALU_CYCLE_1) | instskip(NEXT) | instid1(SALU_CYCLE_1)
	s_mul_hi_u32 s23, s40, s23
	s_add_i32 s40, s40, s23
	v_lshlrev_b32_e32 v2, 2, v2
	ds_load_b32 v20, v2
	s_waitcnt lgkmcnt(0)
	v_readlane_b32 s2, v20, 0
	s_delay_alu instid0(VALU_DEP_1)
	s_cmp_lt_i32 s2, 0
	s_cbranch_scc1 .LBB128_12
; %bb.9:
	s_abs_i32 s23, s4
	s_xor_b32 s5, s5, s35
	s_mul_hi_u32 s24, s23, s40
	s_mov_b32 s31, -1
	s_mul_i32 s25, s24, s33
	s_delay_alu instid0(SALU_CYCLE_1)
	s_sub_i32 s23, s23, s25
	s_add_i32 s25, s24, 1
	s_sub_i32 s27, s23, s33
	s_cmp_ge_u32 s23, s33
	s_cselect_b32 s24, s25, s24
	s_cselect_b32 s23, s27, s23
	s_add_i32 s25, s24, 1
	s_cmp_ge_u32 s23, s33
	s_cselect_b32 s23, s25, s24
	s_delay_alu instid0(SALU_CYCLE_1) | instskip(NEXT) | instid1(SALU_CYCLE_1)
	s_xor_b32 s23, s23, s5
	s_sub_i32 s5, s23, s5
	s_delay_alu instid0(SALU_CYCLE_1) | instskip(SKIP_2) | instid1(SALU_CYCLE_1)
	s_mul_i32 s23, s5, s6
	s_mul_i32 s25, s5, s7
	s_sub_i32 s23, s4, s23
	s_mul_i32 s24, s23, s8
	s_delay_alu instid0(SALU_CYCLE_1) | instskip(NEXT) | instid1(SALU_CYCLE_1)
	s_add_i32 s34, s24, s25
	s_cmp_eq_u32 s34, -1
	s_cbranch_scc1 .LBB128_13
; %bb.10:
	s_mul_hi_i32 s25, s34, s41
	s_mul_i32 s24, s34, s41
	s_mov_b32 s27, s31
	s_lshl_b64 s[24:25], s[24:25], 1
	s_delay_alu instid0(SALU_CYCLE_1) | instskip(SKIP_1) | instid1(SALU_CYCLE_1)
	s_add_u32 s24, s16, s24
	s_addc_u32 s25, s17, s25
	s_and_b32 s25, s25, 0xffff
	s_clause 0x1
	buffer_load_b128 v[4:7], v16, s[24:27], 0 offen
	buffer_load_b128 v[12:15], v16, s[24:27], 16 offen
	s_waitcnt vmcnt(1)
	v_cvt_f32_f16_e32 v0, v4
	v_lshrrev_b32_e32 v1, 16, v4
	v_cvt_f32_f16_e32 v2, v5
	v_lshrrev_b32_e32 v3, 16, v5
	;; [unrolled: 2-line block ×4, first 2 shown]
	s_waitcnt vmcnt(0)
	v_cvt_f32_f16_e32 v8, v12
	v_lshrrev_b32_e32 v9, 16, v12
	v_cvt_f32_f16_e32 v10, v13
	v_lshrrev_b32_e32 v11, 16, v13
	;; [unrolled: 2-line block ×4, first 2 shown]
	v_cvt_f32_f16_e32 v1, v1
	v_cvt_f32_f16_e32 v3, v3
	;; [unrolled: 1-line block ×8, first 2 shown]
	s_branch .LBB128_14
.LBB128_11:
                                        ; implicit-def: $sgpr4
	s_branch .LBB128_2
.LBB128_12:
                                        ; implicit-def: $vgpr0_vgpr1_vgpr2_vgpr3_vgpr4_vgpr5_vgpr6_vgpr7_vgpr8_vgpr9_vgpr10_vgpr11_vgpr12_vgpr13_vgpr14_vgpr15
	s_cmp_eq_u32 s11, 1
	s_mov_b32 s5, 1
	s_cbranch_scc0 .LBB128_21
	s_branch .LBB128_35
.LBB128_13:
                                        ; implicit-def: $vgpr0_vgpr1_vgpr2_vgpr3_vgpr4_vgpr5_vgpr6_vgpr7_vgpr8_vgpr9_vgpr10_vgpr11_vgpr12_vgpr13_vgpr14_vgpr15
.LBB128_14:
	s_mul_i32 s24, s2, s3
	s_delay_alu instid0(SALU_CYCLE_1) | instskip(NEXT) | instid1(SALU_CYCLE_1)
	s_ashr_i32 s25, s24, 31
	s_lshl_b64 s[24:25], s[24:25], 2
	s_delay_alu instid0(SALU_CYCLE_1) | instskip(SKIP_1) | instid1(SALU_CYCLE_1)
	s_add_u32 s28, s18, s24
	s_addc_u32 s2, s19, s25
	s_and_b32 s29, s2, 0xffff
	s_clause 0x3
	buffer_load_b128 v[23:26], v17, s[28:31], 0 offen
	buffer_load_b128 v[27:30], v17, s[28:31], 16 offen
	;; [unrolled: 1-line block ×4, first 2 shown]
	s_waitcnt vmcnt(3)
	v_dual_mul_f32 v37, v0, v23 :: v_dual_mul_f32 v38, v1, v24
	v_dual_mul_f32 v31, v2, v25 :: v_dual_mul_f32 v32, v3, v26
	s_waitcnt vmcnt(2)
	v_dual_mul_f32 v33, v4, v27 :: v_dual_mul_f32 v34, v5, v28
	s_delay_alu instid0(VALU_DEP_3) | instskip(SKIP_3) | instid1(VALU_DEP_3)
	v_max3_f32 v23, |v37|, 0x2edbe6ff, |v38|
	v_dual_mul_f32 v35, v6, v29 :: v_dual_mul_f32 v36, v7, v30
	s_waitcnt vmcnt(1)
	v_dual_mul_f32 v28, v8, v39 :: v_dual_mul_f32 v29, v9, v40
	v_max3_f32 v23, v23, |v31|, |v32|
	s_waitcnt vmcnt(0)
	v_mul_f32_e32 v26, v12, v43
	v_dual_mul_f32 v30, v13, v44 :: v_dual_mul_f32 v27, v15, v46
	v_mul_f32_e32 v24, v11, v42
	v_max3_f32 v23, v23, |v33|, |v34|
	s_delay_alu instid0(VALU_DEP_1) | instskip(SKIP_1) | instid1(VALU_DEP_2)
	v_max3_f32 v25, v23, |v35|, |v36|
	v_mul_f32_e32 v23, v10, v41
	v_max3_f32 v25, v25, |v28|, |v29|
	s_delay_alu instid0(VALU_DEP_1) | instskip(SKIP_1) | instid1(VALU_DEP_2)
	v_max3_f32 v39, v25, |v23|, |v24|
	v_mul_f32_e32 v25, v14, v45
	v_max3_f32 v39, v39, |v26|, |v30|
	s_delay_alu instid0(VALU_DEP_1) | instskip(NEXT) | instid1(VALU_DEP_1)
	v_max3_f32 v39, v39, |v25|, |v27|
	v_mov_b32_dpp v40, v39 quad_perm:[1,0,3,2] row_mask:0xf bank_mask:0xf
	s_delay_alu instid0(VALU_DEP_1) | instskip(NEXT) | instid1(VALU_DEP_1)
	v_cmp_gt_f32_e64 s2, v39, v40
	v_cndmask_b32_e64 v39, v40, v39, s2
	s_delay_alu instid0(VALU_DEP_1) | instskip(NEXT) | instid1(VALU_DEP_1)
	v_mov_b32_dpp v40, v39 quad_perm:[2,3,0,1] row_mask:0xf bank_mask:0xf
	v_cmp_gt_f32_e64 s2, v39, v40
	s_delay_alu instid0(VALU_DEP_1) | instskip(NEXT) | instid1(VALU_DEP_1)
	v_cndmask_b32_e64 v39, v40, v39, s2
	v_mov_b32_dpp v40, v39 row_xmask:7 row_mask:0xf bank_mask:0xf
	s_delay_alu instid0(VALU_DEP_1) | instskip(NEXT) | instid1(VALU_DEP_1)
	v_cmp_gt_f32_e64 s2, v39, v40
	v_cndmask_b32_e64 v39, v40, v39, s2
	s_delay_alu instid0(VALU_DEP_1) | instskip(NEXT) | instid1(VALU_DEP_1)
	v_mov_b32_dpp v40, v39 row_xmask:15 row_mask:0xf bank_mask:0xf
	v_cmp_gt_f32_e64 s2, v39, v40
	s_and_saveexec_b32 s24, vcc_lo
	s_cbranch_execz .LBB128_16
; %bb.15:
	s_delay_alu instid0(VALU_DEP_1)
	v_cndmask_b32_e64 v39, v40, v39, s2
	s_mov_b32 s2, 0x76543210
	s_delay_alu instid0(VALU_DEP_1) | instid1(SALU_CYCLE_1)
	v_permlanex16_b32 v40, v39, s2, 0xfedcba98 op_sel:[1,1]
	s_delay_alu instid0(VALU_DEP_1) | instskip(NEXT) | instid1(VALU_DEP_1)
	v_cmp_gt_f32_e64 s2, v39, v40
	v_cndmask_b32_e64 v39, v40, v39, s2
	ds_store_b32 v18, v39
.LBB128_16:
	s_or_b32 exec_lo, exec_lo, s24
	s_waitcnt lgkmcnt(0)
	s_barrier
	buffer_gl0_inv
	ds_load_b32 v39, v19
	s_mul_i32 s5, s5, s9
	s_waitcnt lgkmcnt(0)
	v_mov_b32_dpp v40, v39 quad_perm:[1,0,3,2] row_mask:0xf bank_mask:0xf
	s_delay_alu instid0(VALU_DEP_1) | instskip(NEXT) | instid1(VALU_DEP_1)
	v_cmp_gt_f32_e64 s2, v39, v40
	v_cndmask_b32_e64 v39, v40, v39, s2
	s_delay_alu instid0(VALU_DEP_1) | instskip(NEXT) | instid1(VALU_DEP_1)
	v_mov_b32_dpp v40, v39 quad_perm:[2,3,0,1] row_mask:0xf bank_mask:0xf
	v_cmp_gt_f32_e64 s2, v39, v40
	s_delay_alu instid0(VALU_DEP_1) | instskip(NEXT) | instid1(VALU_DEP_1)
	v_cndmask_b32_e64 v39, v40, v39, s2
	v_mov_b32_dpp v40, v39 row_xmask:7 row_mask:0xf bank_mask:0xf
	s_delay_alu instid0(VALU_DEP_1) | instskip(NEXT) | instid1(VALU_DEP_1)
	v_cmp_gt_f32_e64 s2, v39, v40
	v_cndmask_b32_e64 v39, v40, v39, s2
	s_delay_alu instid0(VALU_DEP_1) | instskip(NEXT) | instid1(VALU_DEP_1)
	v_mov_b32_dpp v40, v39 row_xmask:15 row_mask:0xf bank_mask:0xf
	v_cmp_gt_f32_e64 s2, v39, v40
	s_delay_alu instid0(VALU_DEP_1) | instskip(SKIP_1) | instid1(SALU_CYCLE_1)
	v_cndmask_b32_e64 v39, v40, v39, s2
	s_mul_i32 s2, s23, s10
	s_add_i32 s24, s2, s5
	s_delay_alu instid0(VALU_DEP_1)
	v_mul_f32_e32 v39, 0x3c010204, v39
	s_and_saveexec_b32 s2, s0
	s_cbranch_execz .LBB128_18
; %bb.17:
	s_ashr_i32 s25, s24, 31
	v_mov_b32_e32 v40, 0
	s_lshl_b64 s[28:29], s[24:25], 2
	s_delay_alu instid0(SALU_CYCLE_1)
	s_add_u32 s28, s14, s28
	s_addc_u32 s29, s15, s29
	global_store_b32 v40, v39, s[28:29]
.LBB128_18:
	s_or_b32 exec_lo, exec_lo, s2
	s_and_saveexec_b32 s2, s1
	s_cbranch_execz .LBB128_20
; %bb.19:
	v_rcp_f32_e32 v39, v39
	s_mul_i32 s5, s24, s41
	s_mul_hi_i32 s23, s24, s41
	s_add_u32 s36, s12, s5
	s_addc_u32 s5, s13, s23
	s_mov_b32 s39, -1
	s_and_b32 s37, s5, 0xffff
	s_waitcnt_depctr 0xfff
	v_mul_f32_e32 v30, v30, v39
	v_mul_f32_e32 v26, v26, v39
	v_mul_f32_e32 v28, v28, v39
	v_mul_f32_e32 v29, v29, v39
	v_mul_f32_e32 v27, v27, v39
	v_cvt_i32_f32_e32 v30, v30
	v_cvt_i32_f32_e32 v26, v26
	v_mul_f32_e32 v37, v37, v39
	v_mul_f32_e32 v25, v25, v39
	v_cvt_i32_f32_e32 v28, v28
	v_lshlrev_b16 v30, 8, v30
	v_and_b32_e32 v26, 0xff, v26
	v_cvt_i32_f32_e32 v27, v27
	v_cvt_i32_f32_e32 v25, v25
	;; [unrolled: 1-line block ×3, first 2 shown]
	v_mul_f32_e32 v38, v38, v39
	v_or_b32_e32 v26, v26, v30
	v_mul_f32_e32 v33, v33, v39
	v_dual_mul_f32 v31, v31, v39 :: v_dual_and_b32 v28, 0xff, v28
	v_lshlrev_b16 v27, 8, v27
	v_and_b32_e32 v25, 0xff, v25
	v_lshlrev_b16 v29, 8, v29
	v_mul_f32_e32 v24, v24, v39
	v_dual_mul_f32 v23, v23, v39 :: v_dual_and_b32 v26, 0xffff, v26
	v_cvt_i32_f32_e32 v33, v33
	v_mul_f32_e32 v34, v34, v39
	v_or_b32_e32 v25, v25, v27
	v_or_b32_e32 v27, v28, v29
	v_cvt_i32_f32_e32 v24, v24
	v_and_b32_e32 v29, 0xff, v33
	v_cvt_i32_f32_e32 v34, v34
	v_cvt_i32_f32_e32 v23, v23
	v_dual_mul_f32 v32, v32, v39 :: v_dual_lshlrev_b32 v25, 16, v25
	v_lshlrev_b16 v24, 8, v24
	s_delay_alu instid0(VALU_DEP_4) | instskip(NEXT) | instid1(VALU_DEP_4)
	v_lshlrev_b16 v28, 8, v34
	v_and_b32_e32 v23, 0xff, v23
	v_cvt_i32_f32_e32 v37, v37
	v_mul_f32_e32 v36, v36, v39
	v_cvt_i32_f32_e32 v38, v38
	v_cvt_i32_f32_e32 v31, v31
	v_or_b32_e32 v23, v23, v24
	v_or_b32_e32 v24, v29, v28
	v_mul_f32_e32 v35, v35, v39
	v_cvt_i32_f32_e32 v32, v32
	v_lshlrev_b16 v34, 8, v38
	v_and_b32_e32 v31, 0xff, v31
	v_and_b32_e32 v24, 0xffff, v24
	v_cvt_i32_f32_e32 v35, v35
	v_lshlrev_b16 v32, 8, v32
	v_and_b32_e32 v27, 0xffff, v27
	v_lshlrev_b32_e32 v23, 16, v23
	v_or_b32_e32 v26, v26, v25
	v_and_b32_e32 v33, 0xff, v35
	v_and_b32_e32 v35, 0xff, v37
	v_cvt_i32_f32_e32 v36, v36
	v_or_b32_e32 v25, v27, v23
	s_delay_alu instid0(VALU_DEP_3) | instskip(NEXT) | instid1(VALU_DEP_3)
	v_or_b32_e32 v29, v35, v34
	v_lshlrev_b16 v30, 8, v36
	s_delay_alu instid0(VALU_DEP_2) | instskip(NEXT) | instid1(VALU_DEP_2)
	v_and_b32_e32 v29, 0xffff, v29
	v_or_b32_e32 v28, v33, v30
	v_or_b32_e32 v30, v31, v32
	s_delay_alu instid0(VALU_DEP_2) | instskip(NEXT) | instid1(VALU_DEP_2)
	v_lshlrev_b32_e32 v28, 16, v28
	v_lshlrev_b32_e32 v30, 16, v30
	s_delay_alu instid0(VALU_DEP_2) | instskip(NEXT) | instid1(VALU_DEP_2)
	v_or_b32_e32 v24, v24, v28
	v_or_b32_e32 v23, v29, v30
	buffer_store_b128 v[23:26], v21, s[36:39], 0 offen
	;;#ASMSTART
	s_nop 0
	;;#ASMEND
.LBB128_20:
	s_or_b32 exec_lo, exec_lo, s2
	s_cmp_eq_u32 s11, 1
	s_mov_b32 s5, 1
	s_cbranch_scc1 .LBB128_35
.LBB128_21:
	v_dual_mov_b32 v23, 0 :: v_dual_add_nc_u32 v22, 4, v22
	s_mov_b32 s31, -1
	s_mov_b32 s42, 0x76543210
	s_branch .LBB128_24
.LBB128_22:                             ;   in Loop: Header=BB128_24 Depth=1
	s_or_b32 exec_lo, exec_lo, s2
.LBB128_23:                             ;   in Loop: Header=BB128_24 Depth=1
	v_add_nc_u32_e32 v22, 4, v22
	s_add_i32 s5, s5, 1
	s_delay_alu instid0(SALU_CYCLE_1)
	s_cmp_eq_u32 s11, s5
	s_cbranch_scc1 .LBB128_35
.LBB128_24:                             ; =>This Inner Loop Header: Depth=1
	s_and_b32 s2, s5, 31
	s_delay_alu instid0(SALU_CYCLE_1)
	s_cmp_lg_u32 s2, 0
	s_cbranch_scc1 .LBB128_26
; %bb.25:                               ;   in Loop: Header=BB128_24 Depth=1
	s_mov_b32 s23, s31
	buffer_load_b32 v20, v22, s[20:23], 0 offen
	s_waitcnt vmcnt(0) expcnt(0) lgkmcnt(55)
	v_lshlrev_b32_e32 v20, 2, v20
	ds_load_b32 v20, v20
.LBB128_26:                             ;   in Loop: Header=BB128_24 Depth=1
	s_waitcnt lgkmcnt(0)
	v_readlane_b32 s2, v20, s2
	s_delay_alu instid0(VALU_DEP_1)
	s_cmp_lt_i32 s2, 0
	s_cbranch_scc1 .LBB128_23
; %bb.27:                               ;   in Loop: Header=BB128_24 Depth=1
	s_add_i32 s24, s4, s5
	s_delay_alu instid0(SALU_CYCLE_1) | instskip(SKIP_4) | instid1(SALU_CYCLE_1)
	s_abs_i32 s23, s24
	s_ashr_i32 s27, s24, 31
	s_mul_hi_u32 s25, s23, s40
	s_xor_b32 s27, s27, s35
	s_mul_i32 s28, s25, s33
	s_sub_i32 s23, s23, s28
	s_add_i32 s28, s25, 1
	s_sub_i32 s29, s23, s33
	s_cmp_ge_u32 s23, s33
	s_cselect_b32 s25, s28, s25
	s_cselect_b32 s23, s29, s23
	s_add_i32 s28, s25, 1
	s_cmp_ge_u32 s23, s33
	s_cselect_b32 s23, s28, s25
	s_delay_alu instid0(SALU_CYCLE_1) | instskip(NEXT) | instid1(SALU_CYCLE_1)
	s_xor_b32 s23, s23, s27
	s_sub_i32 s23, s23, s27
	s_delay_alu instid0(SALU_CYCLE_1) | instskip(NEXT) | instid1(SALU_CYCLE_1)
	s_mul_i32 s25, s23, s6
	s_sub_i32 s36, s24, s25
	s_mul_i32 s24, s23, s7
	s_mul_i32 s28, s36, s8
	s_delay_alu instid0(SALU_CYCLE_1) | instskip(NEXT) | instid1(SALU_CYCLE_1)
	s_add_i32 s28, s28, s24
	s_cmp_eq_u32 s28, s34
	s_cbranch_scc1 .LBB128_29
; %bb.28:                               ;   in Loop: Header=BB128_24 Depth=1
	s_mul_hi_i32 s25, s28, s41
	s_mul_i32 s24, s28, s41
	s_mov_b32 s27, s31
	s_lshl_b64 s[24:25], s[24:25], 1
	s_mov_b32 s34, s28
	s_add_u32 s24, s16, s24
	s_addc_u32 s25, s17, s25
	s_delay_alu instid0(SALU_CYCLE_1)
	s_and_b32 s25, s25, 0xffff
	s_clause 0x1
	buffer_load_b128 v[4:7], v16, s[24:27], 0 offen
	buffer_load_b128 v[12:15], v16, s[24:27], 16 offen
	s_waitcnt vmcnt(1)
	v_cvt_f32_f16_e32 v0, v4
	v_lshrrev_b32_e32 v1, 16, v4
	v_cvt_f32_f16_e32 v2, v5
	v_lshrrev_b32_e32 v3, 16, v5
	;; [unrolled: 2-line block ×4, first 2 shown]
	s_waitcnt vmcnt(0)
	v_cvt_f32_f16_e32 v8, v12
	v_lshrrev_b32_e32 v9, 16, v12
	v_cvt_f32_f16_e32 v10, v13
	v_lshrrev_b32_e32 v11, 16, v13
	;; [unrolled: 2-line block ×4, first 2 shown]
	v_cvt_f32_f16_e32 v1, v1
	v_cvt_f32_f16_e32 v3, v3
	;; [unrolled: 1-line block ×8, first 2 shown]
.LBB128_29:                             ;   in Loop: Header=BB128_24 Depth=1
	s_mul_i32 s24, s2, s3
	s_delay_alu instid0(SALU_CYCLE_1) | instskip(NEXT) | instid1(SALU_CYCLE_1)
	s_ashr_i32 s25, s24, 31
	s_lshl_b64 s[24:25], s[24:25], 2
	s_delay_alu instid0(SALU_CYCLE_1) | instskip(SKIP_1) | instid1(SALU_CYCLE_1)
	s_add_u32 s28, s18, s24
	s_addc_u32 s2, s19, s25
	s_and_b32 s29, s2, 0xffff
	s_clause 0x3
	buffer_load_b128 v[24:27], v17, s[28:31], 0 offen
	buffer_load_b128 v[28:31], v17, s[28:31], 16 offen
	;; [unrolled: 1-line block ×4, first 2 shown]
	s_waitcnt vmcnt(3)
	v_dual_mul_f32 v38, v0, v24 :: v_dual_mul_f32 v39, v1, v25
	v_dual_mul_f32 v32, v2, v26 :: v_dual_mul_f32 v33, v3, v27
	s_waitcnt vmcnt(2)
	v_dual_mul_f32 v34, v4, v28 :: v_dual_mul_f32 v35, v5, v29
	s_delay_alu instid0(VALU_DEP_3) | instskip(SKIP_3) | instid1(VALU_DEP_3)
	v_max3_f32 v24, |v38|, 0x2edbe6ff, |v39|
	v_dual_mul_f32 v36, v6, v30 :: v_dual_mul_f32 v37, v7, v31
	s_waitcnt vmcnt(1)
	v_dual_mul_f32 v29, v8, v40 :: v_dual_mul_f32 v30, v9, v41
	v_max3_f32 v24, v24, |v32|, |v33|
	s_waitcnt vmcnt(0)
	v_mul_f32_e32 v27, v12, v44
	v_dual_mul_f32 v31, v13, v45 :: v_dual_mul_f32 v28, v15, v47
	v_mul_f32_e32 v25, v11, v43
	v_max3_f32 v24, v24, |v34|, |v35|
	s_delay_alu instid0(VALU_DEP_1) | instskip(SKIP_1) | instid1(VALU_DEP_2)
	v_max3_f32 v26, v24, |v36|, |v37|
	v_mul_f32_e32 v24, v10, v42
	v_max3_f32 v26, v26, |v29|, |v30|
	s_delay_alu instid0(VALU_DEP_1) | instskip(SKIP_1) | instid1(VALU_DEP_2)
	v_max3_f32 v40, v26, |v24|, |v25|
	v_mul_f32_e32 v26, v14, v46
	v_max3_f32 v40, v40, |v27|, |v31|
	s_delay_alu instid0(VALU_DEP_1) | instskip(NEXT) | instid1(VALU_DEP_1)
	v_max3_f32 v40, v40, |v26|, |v28|
	v_mov_b32_dpp v41, v40 quad_perm:[1,0,3,2] row_mask:0xf bank_mask:0xf
	s_delay_alu instid0(VALU_DEP_1) | instskip(NEXT) | instid1(VALU_DEP_1)
	v_cmp_gt_f32_e64 s2, v40, v41
	v_cndmask_b32_e64 v40, v41, v40, s2
	s_delay_alu instid0(VALU_DEP_1) | instskip(NEXT) | instid1(VALU_DEP_1)
	v_mov_b32_dpp v41, v40 quad_perm:[2,3,0,1] row_mask:0xf bank_mask:0xf
	v_cmp_gt_f32_e64 s2, v40, v41
	s_delay_alu instid0(VALU_DEP_1) | instskip(NEXT) | instid1(VALU_DEP_1)
	v_cndmask_b32_e64 v40, v41, v40, s2
	v_mov_b32_dpp v41, v40 row_xmask:7 row_mask:0xf bank_mask:0xf
	s_delay_alu instid0(VALU_DEP_1) | instskip(NEXT) | instid1(VALU_DEP_1)
	v_cmp_gt_f32_e64 s2, v40, v41
	v_cndmask_b32_e64 v40, v41, v40, s2
	s_delay_alu instid0(VALU_DEP_1) | instskip(NEXT) | instid1(VALU_DEP_1)
	v_mov_b32_dpp v41, v40 row_xmask:15 row_mask:0xf bank_mask:0xf
	v_cmp_gt_f32_e64 s2, v40, v41
	s_and_saveexec_b32 s24, vcc_lo
	s_cbranch_execz .LBB128_31
; %bb.30:                               ;   in Loop: Header=BB128_24 Depth=1
	s_delay_alu instid0(VALU_DEP_1) | instskip(NEXT) | instid1(VALU_DEP_1)
	v_cndmask_b32_e64 v40, v41, v40, s2
	v_permlanex16_b32 v41, v40, s42, 0xfedcba98 op_sel:[1,1]
	s_delay_alu instid0(VALU_DEP_1) | instskip(NEXT) | instid1(VALU_DEP_1)
	v_cmp_gt_f32_e64 s2, v40, v41
	v_cndmask_b32_e64 v40, v41, v40, s2
	ds_store_b32 v18, v40
.LBB128_31:                             ;   in Loop: Header=BB128_24 Depth=1
	s_or_b32 exec_lo, exec_lo, s24
	s_waitcnt lgkmcnt(0)
	s_waitcnt_vscnt null, 0x0
	s_barrier
	buffer_gl0_inv
	ds_load_b32 v40, v19
	s_mul_i32 s23, s23, s9
	s_waitcnt lgkmcnt(0)
	v_mov_b32_dpp v41, v40 quad_perm:[1,0,3,2] row_mask:0xf bank_mask:0xf
	s_delay_alu instid0(VALU_DEP_1) | instskip(NEXT) | instid1(VALU_DEP_1)
	v_cmp_gt_f32_e64 s2, v40, v41
	v_cndmask_b32_e64 v40, v41, v40, s2
	s_delay_alu instid0(VALU_DEP_1) | instskip(NEXT) | instid1(VALU_DEP_1)
	v_mov_b32_dpp v41, v40 quad_perm:[2,3,0,1] row_mask:0xf bank_mask:0xf
	v_cmp_gt_f32_e64 s2, v40, v41
	s_delay_alu instid0(VALU_DEP_1) | instskip(NEXT) | instid1(VALU_DEP_1)
	v_cndmask_b32_e64 v40, v41, v40, s2
	v_mov_b32_dpp v41, v40 row_xmask:7 row_mask:0xf bank_mask:0xf
	s_delay_alu instid0(VALU_DEP_1) | instskip(NEXT) | instid1(VALU_DEP_1)
	v_cmp_gt_f32_e64 s2, v40, v41
	v_cndmask_b32_e64 v40, v41, v40, s2
	s_delay_alu instid0(VALU_DEP_1) | instskip(NEXT) | instid1(VALU_DEP_1)
	v_mov_b32_dpp v41, v40 row_xmask:15 row_mask:0xf bank_mask:0xf
	v_cmp_gt_f32_e64 s2, v40, v41
	s_delay_alu instid0(VALU_DEP_1) | instskip(SKIP_1) | instid1(SALU_CYCLE_1)
	v_cndmask_b32_e64 v40, v41, v40, s2
	s_mul_i32 s2, s36, s10
	s_add_i32 s24, s2, s23
	s_delay_alu instid0(VALU_DEP_1)
	v_mul_f32_e32 v40, 0x3c010204, v40
	s_and_saveexec_b32 s2, s0
	s_cbranch_execz .LBB128_33
; %bb.32:                               ;   in Loop: Header=BB128_24 Depth=1
	s_ashr_i32 s25, s24, 31
	s_delay_alu instid0(SALU_CYCLE_1) | instskip(NEXT) | instid1(SALU_CYCLE_1)
	s_lshl_b64 s[28:29], s[24:25], 2
	s_add_u32 s28, s14, s28
	s_addc_u32 s29, s15, s29
	global_store_b32 v23, v40, s[28:29]
.LBB128_33:                             ;   in Loop: Header=BB128_24 Depth=1
	s_or_b32 exec_lo, exec_lo, s2
	s_and_saveexec_b32 s2, s1
	s_cbranch_execz .LBB128_22
; %bb.34:                               ;   in Loop: Header=BB128_24 Depth=1
	v_rcp_f32_e32 v40, v40
	s_mul_i32 s23, s24, s41
	s_mul_hi_i32 s24, s24, s41
	s_add_u32 s36, s12, s23
	s_addc_u32 s23, s13, s24
	s_mov_b32 s39, s31
	s_and_b32 s37, s23, 0xffff
	s_waitcnt_depctr 0xfff
	v_mul_f32_e32 v31, v31, v40
	v_mul_f32_e32 v27, v27, v40
	;; [unrolled: 1-line block ×5, first 2 shown]
	v_cvt_i32_f32_e32 v31, v31
	v_cvt_i32_f32_e32 v27, v27
	v_mul_f32_e32 v38, v38, v40
	v_mul_f32_e32 v26, v26, v40
	v_cvt_i32_f32_e32 v29, v29
	v_lshlrev_b16 v31, 8, v31
	v_and_b32_e32 v27, 0xff, v27
	v_cvt_i32_f32_e32 v28, v28
	v_cvt_i32_f32_e32 v26, v26
	;; [unrolled: 1-line block ×3, first 2 shown]
	v_mul_f32_e32 v39, v39, v40
	v_or_b32_e32 v27, v27, v31
	v_mul_f32_e32 v34, v34, v40
	v_dual_mul_f32 v32, v32, v40 :: v_dual_and_b32 v29, 0xff, v29
	v_lshlrev_b16 v28, 8, v28
	v_and_b32_e32 v26, 0xff, v26
	v_lshlrev_b16 v30, 8, v30
	v_mul_f32_e32 v25, v25, v40
	v_dual_mul_f32 v24, v24, v40 :: v_dual_and_b32 v27, 0xffff, v27
	v_cvt_i32_f32_e32 v34, v34
	v_mul_f32_e32 v35, v35, v40
	v_or_b32_e32 v26, v26, v28
	v_or_b32_e32 v28, v29, v30
	v_cvt_i32_f32_e32 v25, v25
	v_and_b32_e32 v30, 0xff, v34
	v_cvt_i32_f32_e32 v35, v35
	v_cvt_i32_f32_e32 v24, v24
	v_dual_mul_f32 v33, v33, v40 :: v_dual_lshlrev_b32 v26, 16, v26
	v_lshlrev_b16 v25, 8, v25
	s_delay_alu instid0(VALU_DEP_4) | instskip(NEXT) | instid1(VALU_DEP_4)
	v_lshlrev_b16 v29, 8, v35
	v_and_b32_e32 v24, 0xff, v24
	v_cvt_i32_f32_e32 v38, v38
	v_mul_f32_e32 v37, v37, v40
	v_cvt_i32_f32_e32 v39, v39
	v_cvt_i32_f32_e32 v32, v32
	v_or_b32_e32 v24, v24, v25
	v_or_b32_e32 v25, v30, v29
	v_mul_f32_e32 v36, v36, v40
	v_cvt_i32_f32_e32 v33, v33
	v_lshlrev_b16 v35, 8, v39
	v_and_b32_e32 v32, 0xff, v32
	v_and_b32_e32 v25, 0xffff, v25
	v_cvt_i32_f32_e32 v36, v36
	v_lshlrev_b16 v33, 8, v33
	v_and_b32_e32 v28, 0xffff, v28
	v_lshlrev_b32_e32 v24, 16, v24
	v_or_b32_e32 v27, v27, v26
	v_and_b32_e32 v34, 0xff, v36
	v_and_b32_e32 v36, 0xff, v38
	v_cvt_i32_f32_e32 v37, v37
	v_or_b32_e32 v26, v28, v24
	s_delay_alu instid0(VALU_DEP_3) | instskip(NEXT) | instid1(VALU_DEP_3)
	v_or_b32_e32 v30, v36, v35
	v_lshlrev_b16 v31, 8, v37
	s_delay_alu instid0(VALU_DEP_2) | instskip(NEXT) | instid1(VALU_DEP_2)
	v_and_b32_e32 v30, 0xffff, v30
	v_or_b32_e32 v29, v34, v31
	v_or_b32_e32 v31, v32, v33
	s_delay_alu instid0(VALU_DEP_2) | instskip(NEXT) | instid1(VALU_DEP_2)
	v_lshlrev_b32_e32 v29, 16, v29
	v_lshlrev_b32_e32 v31, 16, v31
	s_delay_alu instid0(VALU_DEP_2) | instskip(NEXT) | instid1(VALU_DEP_2)
	v_or_b32_e32 v25, v25, v29
	v_or_b32_e32 v24, v30, v31
	buffer_store_b128 v[24:27], v21, s[36:39], 0 offen
	;;#ASMSTART
	s_nop 0
	;;#ASMEND
	s_branch .LBB128_22
.LBB128_35:
	s_nop 0
	s_sendmsg sendmsg(MSG_DEALLOC_VGPRS)
	s_endpgm
	.section	.rodata,"a",@progbits
	.p2align	6, 0x0
	.amdhsa_kernel _ZN5aiter36smooth_per_token_scaled_quant_kernelIDF16_aLi512ELi16ELb0ELb1ELb1ELi1024EEEvPT0_PfPT_S3_PiS6_iiPKiiiiiiiii
		.amdhsa_group_segment_fixed_size 4160
		.amdhsa_private_segment_fixed_size 0
		.amdhsa_kernarg_size 96
		.amdhsa_user_sgpr_count 15
		.amdhsa_user_sgpr_dispatch_ptr 0
		.amdhsa_user_sgpr_queue_ptr 0
		.amdhsa_user_sgpr_kernarg_segment_ptr 1
		.amdhsa_user_sgpr_dispatch_id 0
		.amdhsa_user_sgpr_private_segment_size 0
		.amdhsa_wavefront_size32 1
		.amdhsa_uses_dynamic_stack 0
		.amdhsa_enable_private_segment 0
		.amdhsa_system_sgpr_workgroup_id_x 1
		.amdhsa_system_sgpr_workgroup_id_y 0
		.amdhsa_system_sgpr_workgroup_id_z 0
		.amdhsa_system_sgpr_workgroup_info 0
		.amdhsa_system_vgpr_workitem_id 0
		.amdhsa_next_free_vgpr 48
		.amdhsa_next_free_sgpr 43
		.amdhsa_reserve_vcc 1
		.amdhsa_float_round_mode_32 0
		.amdhsa_float_round_mode_16_64 0
		.amdhsa_float_denorm_mode_32 3
		.amdhsa_float_denorm_mode_16_64 3
		.amdhsa_dx10_clamp 1
		.amdhsa_ieee_mode 1
		.amdhsa_fp16_overflow 0
		.amdhsa_workgroup_processor_mode 1
		.amdhsa_memory_ordered 1
		.amdhsa_forward_progress 0
		.amdhsa_shared_vgpr_count 0
		.amdhsa_exception_fp_ieee_invalid_op 0
		.amdhsa_exception_fp_denorm_src 0
		.amdhsa_exception_fp_ieee_div_zero 0
		.amdhsa_exception_fp_ieee_overflow 0
		.amdhsa_exception_fp_ieee_underflow 0
		.amdhsa_exception_fp_ieee_inexact 0
		.amdhsa_exception_int_div_zero 0
	.end_amdhsa_kernel
	.section	.text._ZN5aiter36smooth_per_token_scaled_quant_kernelIDF16_aLi512ELi16ELb0ELb1ELb1ELi1024EEEvPT0_PfPT_S3_PiS6_iiPKiiiiiiiii,"axG",@progbits,_ZN5aiter36smooth_per_token_scaled_quant_kernelIDF16_aLi512ELi16ELb0ELb1ELb1ELi1024EEEvPT0_PfPT_S3_PiS6_iiPKiiiiiiiii,comdat
.Lfunc_end128:
	.size	_ZN5aiter36smooth_per_token_scaled_quant_kernelIDF16_aLi512ELi16ELb0ELb1ELb1ELi1024EEEvPT0_PfPT_S3_PiS6_iiPKiiiiiiiii, .Lfunc_end128-_ZN5aiter36smooth_per_token_scaled_quant_kernelIDF16_aLi512ELi16ELb0ELb1ELb1ELi1024EEEvPT0_PfPT_S3_PiS6_iiPKiiiiiiiii
                                        ; -- End function
	.section	.AMDGPU.csdata,"",@progbits
; Kernel info:
; codeLenInByte = 3524
; NumSgprs: 45
; NumVgprs: 48
; ScratchSize: 0
; MemoryBound: 0
; FloatMode: 240
; IeeeMode: 1
; LDSByteSize: 4160 bytes/workgroup (compile time only)
; SGPRBlocks: 5
; VGPRBlocks: 5
; NumSGPRsForWavesPerEU: 45
; NumVGPRsForWavesPerEU: 48
; Occupancy: 16
; WaveLimiterHint : 0
; COMPUTE_PGM_RSRC2:SCRATCH_EN: 0
; COMPUTE_PGM_RSRC2:USER_SGPR: 15
; COMPUTE_PGM_RSRC2:TRAP_HANDLER: 0
; COMPUTE_PGM_RSRC2:TGID_X_EN: 1
; COMPUTE_PGM_RSRC2:TGID_Y_EN: 0
; COMPUTE_PGM_RSRC2:TGID_Z_EN: 0
; COMPUTE_PGM_RSRC2:TIDIG_COMP_CNT: 0
	.section	.text._ZN5aiter36smooth_per_token_scaled_quant_kernelItaLi512ELi16ELb0ELb1ELb1ELi1024EEEvPT0_PfPT_S3_PiS6_iiPKiiiiiiiii,"axG",@progbits,_ZN5aiter36smooth_per_token_scaled_quant_kernelItaLi512ELi16ELb0ELb1ELb1ELi1024EEEvPT0_PfPT_S3_PiS6_iiPKiiiiiiiii,comdat
	.protected	_ZN5aiter36smooth_per_token_scaled_quant_kernelItaLi512ELi16ELb0ELb1ELb1ELi1024EEEvPT0_PfPT_S3_PiS6_iiPKiiiiiiiii ; -- Begin function _ZN5aiter36smooth_per_token_scaled_quant_kernelItaLi512ELi16ELb0ELb1ELb1ELi1024EEEvPT0_PfPT_S3_PiS6_iiPKiiiiiiiii
	.globl	_ZN5aiter36smooth_per_token_scaled_quant_kernelItaLi512ELi16ELb0ELb1ELb1ELi1024EEEvPT0_PfPT_S3_PiS6_iiPKiiiiiiiii
	.p2align	8
	.type	_ZN5aiter36smooth_per_token_scaled_quant_kernelItaLi512ELi16ELb0ELb1ELb1ELi1024EEEvPT0_PfPT_S3_PiS6_iiPKiiiiiiiii,@function
_ZN5aiter36smooth_per_token_scaled_quant_kernelItaLi512ELi16ELb0ELb1ELb1ELi1024EEEvPT0_PfPT_S3_PiS6_iiPKiiiiiiiii: ; @_ZN5aiter36smooth_per_token_scaled_quant_kernelItaLi512ELi16ELb0ELb1ELb1ELi1024EEEvPT0_PfPT_S3_PiS6_iiPKiiiiiiiii
; %bb.0:
	s_clause 0x2
	s_load_b64 s[2:3], s[0:1], 0x38
	s_load_b64 s[16:17], s[0:1], 0x28
	s_load_b256 s[4:11], s[0:1], 0x40
	s_waitcnt lgkmcnt(0)
	s_cmp_lg_u64 s[2:3], 0
	s_cbranch_scc0 .LBB129_11
; %bb.1:
	s_load_b32 s2, s[2:3], 0x0
	s_waitcnt lgkmcnt(0)
	s_mul_i32 s4, s2, s4
	s_cbranch_execnz .LBB129_3
.LBB129_2:
	s_mul_i32 s4, s6, s5
.LBB129_3:
	v_lshlrev_b32_e32 v1, 2, v0
	s_lshl_b32 s18, s11, 2
	s_and_b32 s17, s17, 0xffff
	s_mov_b32 s19, -1
	s_load_b64 s[2:3], s[0:1], 0x30
	s_clause 0x1
	buffer_load_b32 v2, v1, s[16:19], 0 offen
	buffer_load_b32 v3, v1, s[16:19], 0 offen offset:2048
	s_abs_i32 s13, s4
	s_waitcnt lgkmcnt(0)
	s_abs_i32 s5, s2
	s_delay_alu instid0(SALU_CYCLE_1) | instskip(SKIP_1) | instid1(VALU_DEP_1)
	v_cvt_f32_u32_e32 v4, s5
	s_sub_i32 s12, 0, s5
	v_rcp_iflag_f32_e32 v4, v4
	s_waitcnt_depctr 0xfff
	v_mul_f32_e32 v4, 0x4f7ffffe, v4
	s_delay_alu instid0(VALU_DEP_1) | instskip(NEXT) | instid1(VALU_DEP_1)
	v_cvt_u32_f32_e32 v4, v4
	v_readfirstlane_b32 s11, v4
	s_delay_alu instid0(VALU_DEP_1) | instskip(NEXT) | instid1(SALU_CYCLE_1)
	s_mul_i32 s12, s12, s11
	s_mul_hi_u32 s12, s11, s12
	s_delay_alu instid0(SALU_CYCLE_1) | instskip(SKIP_4) | instid1(SALU_CYCLE_1)
	s_add_i32 s11, s11, s12
	s_xor_b32 s12, s4, s2
	s_mul_hi_u32 s11, s13, s11
	s_ashr_i32 s12, s12, 31
	s_mul_i32 s14, s11, s5
	s_sub_i32 s13, s13, s14
	s_add_i32 s14, s11, 1
	s_sub_i32 s16, s13, s5
	s_cmp_ge_u32 s13, s5
	s_cselect_b32 s11, s14, s11
	s_cselect_b32 s13, s16, s13
	s_add_i32 s14, s11, 1
	s_cmp_ge_u32 s13, s5
	s_cselect_b32 s5, s14, s11
	s_delay_alu instid0(SALU_CYCLE_1) | instskip(NEXT) | instid1(SALU_CYCLE_1)
	s_xor_b32 s5, s5, s12
	s_sub_i32 s11, s5, s12
	s_delay_alu instid0(SALU_CYCLE_1) | instskip(NEXT) | instid1(SALU_CYCLE_1)
	s_mul_i32 s2, s11, s2
	s_sub_i32 s12, s4, s2
                                        ; implicit-def: $sgpr4
	s_delay_alu instid0(SALU_CYCLE_1)
	s_cmp_lt_u32 s15, s12
	s_cselect_b32 s2, -1, 0
	s_add_i32 s5, s11, 1
	s_cmp_ge_u32 s15, s12
	s_waitcnt vmcnt(0)
	ds_store_2addr_stride64_b32 v1, v2, v3 offset1:8
	s_cbranch_scc0 .LBB129_5
; %bb.4:
	s_sub_i32 s4, s15, s12
	s_mul_i32 s12, s12, s5
	s_mul_i32 s4, s4, s11
	s_mov_b32 s19, 0
	s_add_i32 s4, s4, s12
.LBB129_5:
	s_and_not1_b32 vcc_lo, exec_lo, s19
	s_cbranch_vccnz .LBB129_7
; %bb.6:
	s_mul_i32 s4, s5, s15
.LBB129_7:
	v_cndmask_b32_e64 v1, 0, 1, s2
	s_delay_alu instid0(VALU_DEP_1) | instskip(NEXT) | instid1(VALU_DEP_1)
	v_readfirstlane_b32 s2, v1
	s_add_i32 s11, s11, s2
	s_delay_alu instid0(SALU_CYCLE_1)
	s_cmp_lt_i32 s11, 1
	s_cbranch_scc1 .LBB129_35
; %bb.8:
	s_load_b64 s[12:13], s[0:1], 0x20
	s_ashr_i32 s5, s4, 31
	v_and_b32_e32 v1, 31, v0
	s_lshl_b64 s[14:15], s[4:5], 2
	s_mov_b32 s41, -1
	v_and_b32_e32 v4, 15, v0
	s_mov_b32 s23, s41
	v_cmp_eq_u32_e32 vcc_lo, 31, v1
	v_lshlrev_b32_e32 v16, 5, v0
	v_lshlrev_b32_e32 v17, 6, v0
	v_lshl_or_b32 v19, v4, 2, 0x1000
	v_lshlrev_b32_e32 v21, 4, v0
	s_mov_b32 s40, s3
	s_waitcnt lgkmcnt(0)
	s_add_u32 s20, s12, s14
	s_addc_u32 s2, s13, s15
	s_abs_i32 s33, s6
	s_lshl_b32 s22, s11, 2
	v_cvt_f32_u32_e32 v3, s33
	s_and_b32 s21, s2, 0xffff
	s_load_b256 s[12:19], s[0:1], 0x0
	s_movk_i32 s0, 0x7c
	s_add_i32 s1, s3, 15
	v_rcp_iflag_f32_e32 v3, v3
	v_lshlrev_b32_e32 v22, 2, v1
	v_lshrrev_b32_e32 v1, 3, v0
	s_ashr_i32 s2, s1, 31
	s_lshl_b32 s26, s3, 1
	s_lshr_b32 s2, s2, 28
	s_lshl_b32 s30, s3, 2
	v_and_or_b32 v18, v1, s0, 0x1000
	s_add_i32 s1, s1, s2
	v_cmp_eq_u32_e64 s0, 0, v0
	s_waitcnt_depctr 0xfff
	v_mul_f32_e32 v1, 0x4f7ffffe, v3
	buffer_load_b32 v2, v22, s[20:23], 0 offen
	s_waitcnt vmcnt(0) expcnt(0) lgkmcnt(0)
	s_barrier
	buffer_gl0_inv
	v_cvt_u32_f32_e32 v1, v1
	s_add_i32 s23, s3, 3
	s_ashr_i32 s1, s1, 4
	s_ashr_i32 s2, s23, 31
	v_cmp_gt_u32_e64 s1, s1, v0
	v_readfirstlane_b32 s35, v1
	s_lshr_b32 s2, s2, 30
	s_ashr_i32 s34, s6, 31
	s_add_i32 s23, s23, s2
	s_sub_i32 s2, 0, s33
	s_and_b32 s38, s23, -4
	s_mul_i32 s23, s2, s35
	s_delay_alu instid0(SALU_CYCLE_1) | instskip(NEXT) | instid1(SALU_CYCLE_1)
	s_mul_hi_u32 s23, s35, s23
	s_add_i32 s35, s35, s23
	v_lshlrev_b32_e32 v2, 2, v2
	ds_load_b32 v20, v2
	s_waitcnt lgkmcnt(0)
	v_readlane_b32 s2, v20, 0
	s_delay_alu instid0(VALU_DEP_1)
	s_cmp_lt_i32 s2, 0
	s_cbranch_scc1 .LBB129_12
; %bb.9:
	s_abs_i32 s23, s4
	s_xor_b32 s5, s5, s34
	s_mul_hi_u32 s24, s23, s35
	s_mov_b32 s31, -1
	s_mul_i32 s25, s24, s33
	s_delay_alu instid0(SALU_CYCLE_1)
	s_sub_i32 s23, s23, s25
	s_add_i32 s25, s24, 1
	s_sub_i32 s27, s23, s33
	s_cmp_ge_u32 s23, s33
	s_cselect_b32 s24, s25, s24
	s_cselect_b32 s23, s27, s23
	s_add_i32 s25, s24, 1
	s_cmp_ge_u32 s23, s33
	s_cselect_b32 s23, s25, s24
	s_delay_alu instid0(SALU_CYCLE_1) | instskip(NEXT) | instid1(SALU_CYCLE_1)
	s_xor_b32 s23, s23, s5
	s_sub_i32 s5, s23, s5
	s_delay_alu instid0(SALU_CYCLE_1) | instskip(SKIP_2) | instid1(SALU_CYCLE_1)
	s_mul_i32 s23, s5, s6
	s_mul_i32 s25, s5, s7
	s_sub_i32 s23, s4, s23
	s_mul_i32 s24, s23, s8
	s_delay_alu instid0(SALU_CYCLE_1) | instskip(NEXT) | instid1(SALU_CYCLE_1)
	s_add_i32 s41, s24, s25
	s_cmp_eq_u32 s41, -1
	s_cbranch_scc1 .LBB129_13
; %bb.10:
	s_mul_hi_i32 s25, s41, s40
	s_mul_i32 s24, s41, s40
	s_mov_b32 s27, s31
	s_lshl_b64 s[24:25], s[24:25], 1
	s_delay_alu instid0(SALU_CYCLE_1) | instskip(SKIP_1) | instid1(SALU_CYCLE_1)
	s_add_u32 s24, s16, s24
	s_addc_u32 s25, s17, s25
	s_and_b32 s25, s25, 0xffff
	s_clause 0x1
	buffer_load_b128 v[0:3], v16, s[24:27], 0 offen
	buffer_load_b128 v[4:7], v16, s[24:27], 16 offen
	s_waitcnt vmcnt(1)
	v_lshrrev_b32_e32 v8, 16, v0
	v_and_b32_e32 v0, 0xffff, v0
	v_lshrrev_b32_e32 v9, 16, v1
	v_and_b32_e32 v10, 0xffff, v1
	;; [unrolled: 2-line block ×4, first 2 shown]
	s_waitcnt vmcnt(0)
	v_lshrrev_b32_e32 v15, 16, v4
	v_and_b32_e32 v23, 0xffff, v4
	v_lshrrev_b32_e32 v24, 16, v5
	v_and_b32_e32 v25, 0xffff, v5
	;; [unrolled: 2-line block ×4, first 2 shown]
	v_cvt_f32_u32_e32 v1, v8
	v_cvt_f32_u32_e32 v0, v0
	;; [unrolled: 1-line block ×16, first 2 shown]
	s_branch .LBB129_14
.LBB129_11:
                                        ; implicit-def: $sgpr4
	s_branch .LBB129_2
.LBB129_12:
                                        ; implicit-def: $vgpr0_vgpr1_vgpr2_vgpr3_vgpr4_vgpr5_vgpr6_vgpr7_vgpr8_vgpr9_vgpr10_vgpr11_vgpr12_vgpr13_vgpr14_vgpr15
	s_cmp_eq_u32 s11, 1
	s_mov_b32 s5, 1
	s_cbranch_scc0 .LBB129_21
	s_branch .LBB129_35
.LBB129_13:
                                        ; implicit-def: $vgpr0_vgpr1_vgpr2_vgpr3_vgpr4_vgpr5_vgpr6_vgpr7_vgpr8_vgpr9_vgpr10_vgpr11_vgpr12_vgpr13_vgpr14_vgpr15
.LBB129_14:
	s_mul_i32 s24, s2, s3
	s_delay_alu instid0(SALU_CYCLE_1) | instskip(NEXT) | instid1(SALU_CYCLE_1)
	s_ashr_i32 s25, s24, 31
	s_lshl_b64 s[24:25], s[24:25], 2
	s_delay_alu instid0(SALU_CYCLE_1) | instskip(SKIP_1) | instid1(SALU_CYCLE_1)
	s_add_u32 s28, s18, s24
	s_addc_u32 s2, s19, s25
	s_and_b32 s29, s2, 0xffff
	s_clause 0x3
	buffer_load_b128 v[23:26], v17, s[28:31], 0 offen
	buffer_load_b128 v[27:30], v17, s[28:31], 16 offen
	;; [unrolled: 1-line block ×4, first 2 shown]
	s_waitcnt vmcnt(3)
	v_dual_mul_f32 v37, v0, v23 :: v_dual_mul_f32 v38, v1, v24
	v_dual_mul_f32 v31, v2, v25 :: v_dual_mul_f32 v32, v3, v26
	s_waitcnt vmcnt(2)
	v_dual_mul_f32 v33, v4, v27 :: v_dual_mul_f32 v34, v5, v28
	s_delay_alu instid0(VALU_DEP_3) | instskip(SKIP_3) | instid1(VALU_DEP_3)
	v_max3_f32 v23, |v37|, 0x2edbe6ff, |v38|
	v_dual_mul_f32 v35, v6, v29 :: v_dual_mul_f32 v36, v7, v30
	s_waitcnt vmcnt(1)
	v_dual_mul_f32 v28, v8, v39 :: v_dual_mul_f32 v29, v9, v40
	v_max3_f32 v23, v23, |v31|, |v32|
	s_waitcnt vmcnt(0)
	v_mul_f32_e32 v26, v12, v43
	v_dual_mul_f32 v30, v13, v44 :: v_dual_mul_f32 v27, v15, v46
	v_mul_f32_e32 v24, v11, v42
	v_max3_f32 v23, v23, |v33|, |v34|
	s_delay_alu instid0(VALU_DEP_1) | instskip(SKIP_1) | instid1(VALU_DEP_2)
	v_max3_f32 v25, v23, |v35|, |v36|
	v_mul_f32_e32 v23, v10, v41
	v_max3_f32 v25, v25, |v28|, |v29|
	s_delay_alu instid0(VALU_DEP_1) | instskip(SKIP_1) | instid1(VALU_DEP_2)
	v_max3_f32 v39, v25, |v23|, |v24|
	v_mul_f32_e32 v25, v14, v45
	v_max3_f32 v39, v39, |v26|, |v30|
	s_delay_alu instid0(VALU_DEP_1) | instskip(NEXT) | instid1(VALU_DEP_1)
	v_max3_f32 v39, v39, |v25|, |v27|
	v_mov_b32_dpp v40, v39 quad_perm:[1,0,3,2] row_mask:0xf bank_mask:0xf
	s_delay_alu instid0(VALU_DEP_1) | instskip(NEXT) | instid1(VALU_DEP_1)
	v_cmp_gt_f32_e64 s2, v39, v40
	v_cndmask_b32_e64 v39, v40, v39, s2
	s_delay_alu instid0(VALU_DEP_1) | instskip(NEXT) | instid1(VALU_DEP_1)
	v_mov_b32_dpp v40, v39 quad_perm:[2,3,0,1] row_mask:0xf bank_mask:0xf
	v_cmp_gt_f32_e64 s2, v39, v40
	s_delay_alu instid0(VALU_DEP_1) | instskip(NEXT) | instid1(VALU_DEP_1)
	v_cndmask_b32_e64 v39, v40, v39, s2
	v_mov_b32_dpp v40, v39 row_xmask:7 row_mask:0xf bank_mask:0xf
	s_delay_alu instid0(VALU_DEP_1) | instskip(NEXT) | instid1(VALU_DEP_1)
	v_cmp_gt_f32_e64 s2, v39, v40
	v_cndmask_b32_e64 v39, v40, v39, s2
	s_delay_alu instid0(VALU_DEP_1) | instskip(NEXT) | instid1(VALU_DEP_1)
	v_mov_b32_dpp v40, v39 row_xmask:15 row_mask:0xf bank_mask:0xf
	v_cmp_gt_f32_e64 s2, v39, v40
	s_and_saveexec_b32 s24, vcc_lo
	s_cbranch_execz .LBB129_16
; %bb.15:
	s_delay_alu instid0(VALU_DEP_1)
	v_cndmask_b32_e64 v39, v40, v39, s2
	s_mov_b32 s2, 0x76543210
	s_delay_alu instid0(VALU_DEP_1) | instid1(SALU_CYCLE_1)
	v_permlanex16_b32 v40, v39, s2, 0xfedcba98 op_sel:[1,1]
	s_delay_alu instid0(VALU_DEP_1) | instskip(NEXT) | instid1(VALU_DEP_1)
	v_cmp_gt_f32_e64 s2, v39, v40
	v_cndmask_b32_e64 v39, v40, v39, s2
	ds_store_b32 v18, v39
.LBB129_16:
	s_or_b32 exec_lo, exec_lo, s24
	s_waitcnt lgkmcnt(0)
	s_barrier
	buffer_gl0_inv
	ds_load_b32 v39, v19
	s_mul_i32 s5, s5, s9
	s_waitcnt lgkmcnt(0)
	v_mov_b32_dpp v40, v39 quad_perm:[1,0,3,2] row_mask:0xf bank_mask:0xf
	s_delay_alu instid0(VALU_DEP_1) | instskip(NEXT) | instid1(VALU_DEP_1)
	v_cmp_gt_f32_e64 s2, v39, v40
	v_cndmask_b32_e64 v39, v40, v39, s2
	s_delay_alu instid0(VALU_DEP_1) | instskip(NEXT) | instid1(VALU_DEP_1)
	v_mov_b32_dpp v40, v39 quad_perm:[2,3,0,1] row_mask:0xf bank_mask:0xf
	v_cmp_gt_f32_e64 s2, v39, v40
	s_delay_alu instid0(VALU_DEP_1) | instskip(NEXT) | instid1(VALU_DEP_1)
	v_cndmask_b32_e64 v39, v40, v39, s2
	v_mov_b32_dpp v40, v39 row_xmask:7 row_mask:0xf bank_mask:0xf
	s_delay_alu instid0(VALU_DEP_1) | instskip(NEXT) | instid1(VALU_DEP_1)
	v_cmp_gt_f32_e64 s2, v39, v40
	v_cndmask_b32_e64 v39, v40, v39, s2
	s_delay_alu instid0(VALU_DEP_1) | instskip(NEXT) | instid1(VALU_DEP_1)
	v_mov_b32_dpp v40, v39 row_xmask:15 row_mask:0xf bank_mask:0xf
	v_cmp_gt_f32_e64 s2, v39, v40
	s_delay_alu instid0(VALU_DEP_1) | instskip(SKIP_1) | instid1(SALU_CYCLE_1)
	v_cndmask_b32_e64 v39, v40, v39, s2
	s_mul_i32 s2, s23, s10
	s_add_i32 s24, s2, s5
	s_delay_alu instid0(VALU_DEP_1)
	v_mul_f32_e32 v39, 0x3c010204, v39
	s_and_saveexec_b32 s2, s0
	s_cbranch_execz .LBB129_18
; %bb.17:
	s_ashr_i32 s25, s24, 31
	v_mov_b32_e32 v40, 0
	s_lshl_b64 s[28:29], s[24:25], 2
	s_delay_alu instid0(SALU_CYCLE_1)
	s_add_u32 s28, s14, s28
	s_addc_u32 s29, s15, s29
	global_store_b32 v40, v39, s[28:29]
.LBB129_18:
	s_or_b32 exec_lo, exec_lo, s2
	s_and_saveexec_b32 s2, s1
	s_cbranch_execz .LBB129_20
; %bb.19:
	v_rcp_f32_e32 v39, v39
	s_mul_i32 s5, s24, s40
	s_mul_hi_i32 s23, s24, s40
	s_add_u32 s36, s12, s5
	s_addc_u32 s5, s13, s23
	s_mov_b32 s39, -1
	s_and_b32 s37, s5, 0xffff
	s_waitcnt_depctr 0xfff
	v_mul_f32_e32 v30, v30, v39
	v_mul_f32_e32 v26, v26, v39
	;; [unrolled: 1-line block ×5, first 2 shown]
	v_cvt_i32_f32_e32 v30, v30
	v_cvt_i32_f32_e32 v26, v26
	v_mul_f32_e32 v37, v37, v39
	v_mul_f32_e32 v25, v25, v39
	v_cvt_i32_f32_e32 v28, v28
	v_lshlrev_b16 v30, 8, v30
	v_and_b32_e32 v26, 0xff, v26
	v_cvt_i32_f32_e32 v27, v27
	v_cvt_i32_f32_e32 v25, v25
	;; [unrolled: 1-line block ×3, first 2 shown]
	v_mul_f32_e32 v38, v38, v39
	v_or_b32_e32 v26, v26, v30
	v_mul_f32_e32 v33, v33, v39
	v_dual_mul_f32 v31, v31, v39 :: v_dual_and_b32 v28, 0xff, v28
	v_lshlrev_b16 v27, 8, v27
	v_and_b32_e32 v25, 0xff, v25
	v_lshlrev_b16 v29, 8, v29
	v_mul_f32_e32 v24, v24, v39
	v_dual_mul_f32 v23, v23, v39 :: v_dual_and_b32 v26, 0xffff, v26
	v_cvt_i32_f32_e32 v33, v33
	v_mul_f32_e32 v34, v34, v39
	v_or_b32_e32 v25, v25, v27
	v_or_b32_e32 v27, v28, v29
	v_cvt_i32_f32_e32 v24, v24
	v_and_b32_e32 v29, 0xff, v33
	v_cvt_i32_f32_e32 v34, v34
	v_cvt_i32_f32_e32 v23, v23
	v_dual_mul_f32 v32, v32, v39 :: v_dual_lshlrev_b32 v25, 16, v25
	v_lshlrev_b16 v24, 8, v24
	s_delay_alu instid0(VALU_DEP_4) | instskip(NEXT) | instid1(VALU_DEP_4)
	v_lshlrev_b16 v28, 8, v34
	v_and_b32_e32 v23, 0xff, v23
	v_cvt_i32_f32_e32 v37, v37
	v_mul_f32_e32 v36, v36, v39
	v_cvt_i32_f32_e32 v38, v38
	v_cvt_i32_f32_e32 v31, v31
	v_or_b32_e32 v23, v23, v24
	v_or_b32_e32 v24, v29, v28
	v_mul_f32_e32 v35, v35, v39
	v_cvt_i32_f32_e32 v32, v32
	v_lshlrev_b16 v34, 8, v38
	v_and_b32_e32 v31, 0xff, v31
	v_and_b32_e32 v24, 0xffff, v24
	v_cvt_i32_f32_e32 v35, v35
	v_lshlrev_b16 v32, 8, v32
	v_and_b32_e32 v27, 0xffff, v27
	v_lshlrev_b32_e32 v23, 16, v23
	v_or_b32_e32 v26, v26, v25
	v_and_b32_e32 v33, 0xff, v35
	v_and_b32_e32 v35, 0xff, v37
	v_cvt_i32_f32_e32 v36, v36
	v_or_b32_e32 v25, v27, v23
	s_delay_alu instid0(VALU_DEP_3) | instskip(NEXT) | instid1(VALU_DEP_3)
	v_or_b32_e32 v29, v35, v34
	v_lshlrev_b16 v30, 8, v36
	s_delay_alu instid0(VALU_DEP_2) | instskip(NEXT) | instid1(VALU_DEP_2)
	v_and_b32_e32 v29, 0xffff, v29
	v_or_b32_e32 v28, v33, v30
	v_or_b32_e32 v30, v31, v32
	s_delay_alu instid0(VALU_DEP_2) | instskip(NEXT) | instid1(VALU_DEP_2)
	v_lshlrev_b32_e32 v28, 16, v28
	v_lshlrev_b32_e32 v30, 16, v30
	s_delay_alu instid0(VALU_DEP_2) | instskip(NEXT) | instid1(VALU_DEP_2)
	v_or_b32_e32 v24, v24, v28
	v_or_b32_e32 v23, v29, v30
	buffer_store_b128 v[23:26], v21, s[36:39], 0 offen
	;;#ASMSTART
	s_nop 0
	;;#ASMEND
.LBB129_20:
	s_or_b32 exec_lo, exec_lo, s2
	s_cmp_eq_u32 s11, 1
	s_mov_b32 s5, 1
	s_cbranch_scc1 .LBB129_35
.LBB129_21:
	v_dual_mov_b32 v23, 0 :: v_dual_add_nc_u32 v22, 4, v22
	s_mov_b32 s31, -1
	s_mov_b32 s42, 0x76543210
	s_branch .LBB129_24
.LBB129_22:                             ;   in Loop: Header=BB129_24 Depth=1
	s_or_b32 exec_lo, exec_lo, s2
.LBB129_23:                             ;   in Loop: Header=BB129_24 Depth=1
	v_add_nc_u32_e32 v22, 4, v22
	s_add_i32 s5, s5, 1
	s_delay_alu instid0(SALU_CYCLE_1)
	s_cmp_eq_u32 s11, s5
	s_cbranch_scc1 .LBB129_35
.LBB129_24:                             ; =>This Inner Loop Header: Depth=1
	s_and_b32 s2, s5, 31
	s_delay_alu instid0(SALU_CYCLE_1)
	s_cmp_lg_u32 s2, 0
	s_cbranch_scc1 .LBB129_26
; %bb.25:                               ;   in Loop: Header=BB129_24 Depth=1
	s_mov_b32 s23, s31
	buffer_load_b32 v20, v22, s[20:23], 0 offen
	s_waitcnt vmcnt(0) expcnt(0) lgkmcnt(55)
	v_lshlrev_b32_e32 v20, 2, v20
	ds_load_b32 v20, v20
.LBB129_26:                             ;   in Loop: Header=BB129_24 Depth=1
	s_waitcnt lgkmcnt(0)
	v_readlane_b32 s2, v20, s2
	s_delay_alu instid0(VALU_DEP_1)
	s_cmp_lt_i32 s2, 0
	s_cbranch_scc1 .LBB129_23
; %bb.27:                               ;   in Loop: Header=BB129_24 Depth=1
	s_add_i32 s24, s4, s5
	s_delay_alu instid0(SALU_CYCLE_1) | instskip(SKIP_4) | instid1(SALU_CYCLE_1)
	s_abs_i32 s23, s24
	s_ashr_i32 s27, s24, 31
	s_mul_hi_u32 s25, s23, s35
	s_xor_b32 s27, s27, s34
	s_mul_i32 s28, s25, s33
	s_sub_i32 s23, s23, s28
	s_add_i32 s28, s25, 1
	s_sub_i32 s29, s23, s33
	s_cmp_ge_u32 s23, s33
	s_cselect_b32 s25, s28, s25
	s_cselect_b32 s23, s29, s23
	s_add_i32 s28, s25, 1
	s_cmp_ge_u32 s23, s33
	s_cselect_b32 s23, s28, s25
	s_delay_alu instid0(SALU_CYCLE_1) | instskip(NEXT) | instid1(SALU_CYCLE_1)
	s_xor_b32 s23, s23, s27
	s_sub_i32 s23, s23, s27
	s_delay_alu instid0(SALU_CYCLE_1) | instskip(NEXT) | instid1(SALU_CYCLE_1)
	s_mul_i32 s25, s23, s6
	s_sub_i32 s36, s24, s25
	s_mul_i32 s24, s23, s7
	s_mul_i32 s28, s36, s8
	s_delay_alu instid0(SALU_CYCLE_1) | instskip(NEXT) | instid1(SALU_CYCLE_1)
	s_add_i32 s28, s28, s24
	s_cmp_eq_u32 s28, s41
	s_cbranch_scc1 .LBB129_29
; %bb.28:                               ;   in Loop: Header=BB129_24 Depth=1
	s_mul_hi_i32 s25, s28, s40
	s_mul_i32 s24, s28, s40
	s_mov_b32 s27, s31
	s_lshl_b64 s[24:25], s[24:25], 1
	s_mov_b32 s41, s28
	s_add_u32 s24, s16, s24
	s_addc_u32 s25, s17, s25
	s_delay_alu instid0(SALU_CYCLE_1)
	s_and_b32 s25, s25, 0xffff
	s_clause 0x1
	buffer_load_b128 v[0:3], v16, s[24:27], 0 offen
	buffer_load_b128 v[4:7], v16, s[24:27], 16 offen
	s_waitcnt vmcnt(1)
	v_lshrrev_b32_e32 v8, 16, v0
	v_and_b32_e32 v0, 0xffff, v0
	v_lshrrev_b32_e32 v9, 16, v1
	v_and_b32_e32 v10, 0xffff, v1
	v_lshrrev_b32_e32 v11, 16, v2
	v_and_b32_e32 v12, 0xffff, v2
	v_lshrrev_b32_e32 v13, 16, v3
	v_and_b32_e32 v14, 0xffff, v3
	s_waitcnt vmcnt(0)
	v_lshrrev_b32_e32 v15, 16, v4
	v_and_b32_e32 v24, 0xffff, v4
	v_lshrrev_b32_e32 v25, 16, v5
	v_and_b32_e32 v26, 0xffff, v5
	;; [unrolled: 2-line block ×4, first 2 shown]
	v_cvt_f32_u32_e32 v1, v8
	v_cvt_f32_u32_e32 v0, v0
	v_cvt_f32_u32_e32 v3, v9
	v_cvt_f32_u32_e32 v2, v10
	v_cvt_f32_u32_e32 v5, v11
	v_cvt_f32_u32_e32 v4, v12
	v_cvt_f32_u32_e32 v7, v13
	v_cvt_f32_u32_e32 v6, v14
	v_cvt_f32_u32_e32 v9, v15
	v_cvt_f32_u32_e32 v8, v24
	v_cvt_f32_u32_e32 v11, v25
	v_cvt_f32_u32_e32 v10, v26
	v_cvt_f32_u32_e32 v13, v27
	v_cvt_f32_u32_e32 v12, v28
	v_cvt_f32_u32_e32 v15, v29
	v_cvt_f32_u32_e32 v14, v30
.LBB129_29:                             ;   in Loop: Header=BB129_24 Depth=1
	s_mul_i32 s24, s2, s3
	s_delay_alu instid0(SALU_CYCLE_1) | instskip(NEXT) | instid1(SALU_CYCLE_1)
	s_ashr_i32 s25, s24, 31
	s_lshl_b64 s[24:25], s[24:25], 2
	s_delay_alu instid0(SALU_CYCLE_1) | instskip(SKIP_1) | instid1(SALU_CYCLE_1)
	s_add_u32 s28, s18, s24
	s_addc_u32 s2, s19, s25
	s_and_b32 s29, s2, 0xffff
	s_clause 0x3
	buffer_load_b128 v[24:27], v17, s[28:31], 0 offen
	buffer_load_b128 v[28:31], v17, s[28:31], 16 offen
	;; [unrolled: 1-line block ×4, first 2 shown]
	s_waitcnt vmcnt(3)
	v_dual_mul_f32 v38, v0, v24 :: v_dual_mul_f32 v39, v1, v25
	v_dual_mul_f32 v32, v2, v26 :: v_dual_mul_f32 v33, v3, v27
	s_waitcnt vmcnt(2)
	v_dual_mul_f32 v34, v4, v28 :: v_dual_mul_f32 v35, v5, v29
	s_delay_alu instid0(VALU_DEP_3) | instskip(SKIP_3) | instid1(VALU_DEP_3)
	v_max3_f32 v24, |v38|, 0x2edbe6ff, |v39|
	v_dual_mul_f32 v36, v6, v30 :: v_dual_mul_f32 v37, v7, v31
	s_waitcnt vmcnt(1)
	v_dual_mul_f32 v29, v8, v40 :: v_dual_mul_f32 v30, v9, v41
	v_max3_f32 v24, v24, |v32|, |v33|
	s_waitcnt vmcnt(0)
	v_mul_f32_e32 v27, v12, v44
	v_dual_mul_f32 v31, v13, v45 :: v_dual_mul_f32 v28, v15, v47
	v_mul_f32_e32 v25, v11, v43
	v_max3_f32 v24, v24, |v34|, |v35|
	s_delay_alu instid0(VALU_DEP_1) | instskip(SKIP_1) | instid1(VALU_DEP_2)
	v_max3_f32 v26, v24, |v36|, |v37|
	v_mul_f32_e32 v24, v10, v42
	v_max3_f32 v26, v26, |v29|, |v30|
	s_delay_alu instid0(VALU_DEP_1) | instskip(SKIP_1) | instid1(VALU_DEP_2)
	v_max3_f32 v40, v26, |v24|, |v25|
	v_mul_f32_e32 v26, v14, v46
	v_max3_f32 v40, v40, |v27|, |v31|
	s_delay_alu instid0(VALU_DEP_1) | instskip(NEXT) | instid1(VALU_DEP_1)
	v_max3_f32 v40, v40, |v26|, |v28|
	v_mov_b32_dpp v41, v40 quad_perm:[1,0,3,2] row_mask:0xf bank_mask:0xf
	s_delay_alu instid0(VALU_DEP_1) | instskip(NEXT) | instid1(VALU_DEP_1)
	v_cmp_gt_f32_e64 s2, v40, v41
	v_cndmask_b32_e64 v40, v41, v40, s2
	s_delay_alu instid0(VALU_DEP_1) | instskip(NEXT) | instid1(VALU_DEP_1)
	v_mov_b32_dpp v41, v40 quad_perm:[2,3,0,1] row_mask:0xf bank_mask:0xf
	v_cmp_gt_f32_e64 s2, v40, v41
	s_delay_alu instid0(VALU_DEP_1) | instskip(NEXT) | instid1(VALU_DEP_1)
	v_cndmask_b32_e64 v40, v41, v40, s2
	v_mov_b32_dpp v41, v40 row_xmask:7 row_mask:0xf bank_mask:0xf
	s_delay_alu instid0(VALU_DEP_1) | instskip(NEXT) | instid1(VALU_DEP_1)
	v_cmp_gt_f32_e64 s2, v40, v41
	v_cndmask_b32_e64 v40, v41, v40, s2
	s_delay_alu instid0(VALU_DEP_1) | instskip(NEXT) | instid1(VALU_DEP_1)
	v_mov_b32_dpp v41, v40 row_xmask:15 row_mask:0xf bank_mask:0xf
	v_cmp_gt_f32_e64 s2, v40, v41
	s_and_saveexec_b32 s24, vcc_lo
	s_cbranch_execz .LBB129_31
; %bb.30:                               ;   in Loop: Header=BB129_24 Depth=1
	s_delay_alu instid0(VALU_DEP_1) | instskip(NEXT) | instid1(VALU_DEP_1)
	v_cndmask_b32_e64 v40, v41, v40, s2
	v_permlanex16_b32 v41, v40, s42, 0xfedcba98 op_sel:[1,1]
	s_delay_alu instid0(VALU_DEP_1) | instskip(NEXT) | instid1(VALU_DEP_1)
	v_cmp_gt_f32_e64 s2, v40, v41
	v_cndmask_b32_e64 v40, v41, v40, s2
	ds_store_b32 v18, v40
.LBB129_31:                             ;   in Loop: Header=BB129_24 Depth=1
	s_or_b32 exec_lo, exec_lo, s24
	s_waitcnt lgkmcnt(0)
	s_waitcnt_vscnt null, 0x0
	s_barrier
	buffer_gl0_inv
	ds_load_b32 v40, v19
	s_mul_i32 s23, s23, s9
	s_waitcnt lgkmcnt(0)
	v_mov_b32_dpp v41, v40 quad_perm:[1,0,3,2] row_mask:0xf bank_mask:0xf
	s_delay_alu instid0(VALU_DEP_1) | instskip(NEXT) | instid1(VALU_DEP_1)
	v_cmp_gt_f32_e64 s2, v40, v41
	v_cndmask_b32_e64 v40, v41, v40, s2
	s_delay_alu instid0(VALU_DEP_1) | instskip(NEXT) | instid1(VALU_DEP_1)
	v_mov_b32_dpp v41, v40 quad_perm:[2,3,0,1] row_mask:0xf bank_mask:0xf
	v_cmp_gt_f32_e64 s2, v40, v41
	s_delay_alu instid0(VALU_DEP_1) | instskip(NEXT) | instid1(VALU_DEP_1)
	v_cndmask_b32_e64 v40, v41, v40, s2
	v_mov_b32_dpp v41, v40 row_xmask:7 row_mask:0xf bank_mask:0xf
	s_delay_alu instid0(VALU_DEP_1) | instskip(NEXT) | instid1(VALU_DEP_1)
	v_cmp_gt_f32_e64 s2, v40, v41
	v_cndmask_b32_e64 v40, v41, v40, s2
	s_delay_alu instid0(VALU_DEP_1) | instskip(NEXT) | instid1(VALU_DEP_1)
	v_mov_b32_dpp v41, v40 row_xmask:15 row_mask:0xf bank_mask:0xf
	v_cmp_gt_f32_e64 s2, v40, v41
	s_delay_alu instid0(VALU_DEP_1) | instskip(SKIP_1) | instid1(SALU_CYCLE_1)
	v_cndmask_b32_e64 v40, v41, v40, s2
	s_mul_i32 s2, s36, s10
	s_add_i32 s24, s2, s23
	s_delay_alu instid0(VALU_DEP_1)
	v_mul_f32_e32 v40, 0x3c010204, v40
	s_and_saveexec_b32 s2, s0
	s_cbranch_execz .LBB129_33
; %bb.32:                               ;   in Loop: Header=BB129_24 Depth=1
	s_ashr_i32 s25, s24, 31
	s_delay_alu instid0(SALU_CYCLE_1) | instskip(NEXT) | instid1(SALU_CYCLE_1)
	s_lshl_b64 s[28:29], s[24:25], 2
	s_add_u32 s28, s14, s28
	s_addc_u32 s29, s15, s29
	global_store_b32 v23, v40, s[28:29]
.LBB129_33:                             ;   in Loop: Header=BB129_24 Depth=1
	s_or_b32 exec_lo, exec_lo, s2
	s_and_saveexec_b32 s2, s1
	s_cbranch_execz .LBB129_22
; %bb.34:                               ;   in Loop: Header=BB129_24 Depth=1
	v_rcp_f32_e32 v40, v40
	s_mul_i32 s23, s24, s40
	s_mul_hi_i32 s24, s24, s40
	s_add_u32 s36, s12, s23
	s_addc_u32 s23, s13, s24
	s_mov_b32 s39, s31
	s_and_b32 s37, s23, 0xffff
	s_waitcnt_depctr 0xfff
	v_mul_f32_e32 v31, v31, v40
	v_mul_f32_e32 v27, v27, v40
	;; [unrolled: 1-line block ×5, first 2 shown]
	v_cvt_i32_f32_e32 v31, v31
	v_cvt_i32_f32_e32 v27, v27
	v_mul_f32_e32 v38, v38, v40
	v_mul_f32_e32 v26, v26, v40
	v_cvt_i32_f32_e32 v29, v29
	v_lshlrev_b16 v31, 8, v31
	v_and_b32_e32 v27, 0xff, v27
	v_cvt_i32_f32_e32 v28, v28
	v_cvt_i32_f32_e32 v26, v26
	;; [unrolled: 1-line block ×3, first 2 shown]
	v_mul_f32_e32 v39, v39, v40
	v_or_b32_e32 v27, v27, v31
	v_mul_f32_e32 v34, v34, v40
	v_dual_mul_f32 v32, v32, v40 :: v_dual_and_b32 v29, 0xff, v29
	v_lshlrev_b16 v28, 8, v28
	v_and_b32_e32 v26, 0xff, v26
	v_lshlrev_b16 v30, 8, v30
	v_mul_f32_e32 v25, v25, v40
	v_dual_mul_f32 v24, v24, v40 :: v_dual_and_b32 v27, 0xffff, v27
	v_cvt_i32_f32_e32 v34, v34
	v_mul_f32_e32 v35, v35, v40
	v_or_b32_e32 v26, v26, v28
	v_or_b32_e32 v28, v29, v30
	v_cvt_i32_f32_e32 v25, v25
	v_and_b32_e32 v30, 0xff, v34
	v_cvt_i32_f32_e32 v35, v35
	v_cvt_i32_f32_e32 v24, v24
	v_dual_mul_f32 v33, v33, v40 :: v_dual_lshlrev_b32 v26, 16, v26
	v_lshlrev_b16 v25, 8, v25
	s_delay_alu instid0(VALU_DEP_4) | instskip(NEXT) | instid1(VALU_DEP_4)
	v_lshlrev_b16 v29, 8, v35
	v_and_b32_e32 v24, 0xff, v24
	v_cvt_i32_f32_e32 v38, v38
	v_mul_f32_e32 v37, v37, v40
	v_cvt_i32_f32_e32 v39, v39
	v_cvt_i32_f32_e32 v32, v32
	v_or_b32_e32 v24, v24, v25
	v_or_b32_e32 v25, v30, v29
	v_mul_f32_e32 v36, v36, v40
	v_cvt_i32_f32_e32 v33, v33
	v_lshlrev_b16 v35, 8, v39
	v_and_b32_e32 v32, 0xff, v32
	v_and_b32_e32 v25, 0xffff, v25
	v_cvt_i32_f32_e32 v36, v36
	v_lshlrev_b16 v33, 8, v33
	v_and_b32_e32 v28, 0xffff, v28
	v_lshlrev_b32_e32 v24, 16, v24
	v_or_b32_e32 v27, v27, v26
	v_and_b32_e32 v34, 0xff, v36
	v_and_b32_e32 v36, 0xff, v38
	v_cvt_i32_f32_e32 v37, v37
	v_or_b32_e32 v26, v28, v24
	s_delay_alu instid0(VALU_DEP_3) | instskip(NEXT) | instid1(VALU_DEP_3)
	v_or_b32_e32 v30, v36, v35
	v_lshlrev_b16 v31, 8, v37
	s_delay_alu instid0(VALU_DEP_2) | instskip(NEXT) | instid1(VALU_DEP_2)
	v_and_b32_e32 v30, 0xffff, v30
	v_or_b32_e32 v29, v34, v31
	v_or_b32_e32 v31, v32, v33
	s_delay_alu instid0(VALU_DEP_2) | instskip(NEXT) | instid1(VALU_DEP_2)
	v_lshlrev_b32_e32 v29, 16, v29
	v_lshlrev_b32_e32 v31, 16, v31
	s_delay_alu instid0(VALU_DEP_2) | instskip(NEXT) | instid1(VALU_DEP_2)
	v_or_b32_e32 v25, v25, v29
	v_or_b32_e32 v24, v30, v31
	buffer_store_b128 v[24:27], v21, s[36:39], 0 offen
	;;#ASMSTART
	s_nop 0
	;;#ASMEND
	s_branch .LBB129_22
.LBB129_35:
	s_nop 0
	s_sendmsg sendmsg(MSG_DEALLOC_VGPRS)
	s_endpgm
	.section	.rodata,"a",@progbits
	.p2align	6, 0x0
	.amdhsa_kernel _ZN5aiter36smooth_per_token_scaled_quant_kernelItaLi512ELi16ELb0ELb1ELb1ELi1024EEEvPT0_PfPT_S3_PiS6_iiPKiiiiiiiii
		.amdhsa_group_segment_fixed_size 4160
		.amdhsa_private_segment_fixed_size 0
		.amdhsa_kernarg_size 96
		.amdhsa_user_sgpr_count 15
		.amdhsa_user_sgpr_dispatch_ptr 0
		.amdhsa_user_sgpr_queue_ptr 0
		.amdhsa_user_sgpr_kernarg_segment_ptr 1
		.amdhsa_user_sgpr_dispatch_id 0
		.amdhsa_user_sgpr_private_segment_size 0
		.amdhsa_wavefront_size32 1
		.amdhsa_uses_dynamic_stack 0
		.amdhsa_enable_private_segment 0
		.amdhsa_system_sgpr_workgroup_id_x 1
		.amdhsa_system_sgpr_workgroup_id_y 0
		.amdhsa_system_sgpr_workgroup_id_z 0
		.amdhsa_system_sgpr_workgroup_info 0
		.amdhsa_system_vgpr_workitem_id 0
		.amdhsa_next_free_vgpr 48
		.amdhsa_next_free_sgpr 43
		.amdhsa_reserve_vcc 1
		.amdhsa_float_round_mode_32 0
		.amdhsa_float_round_mode_16_64 0
		.amdhsa_float_denorm_mode_32 3
		.amdhsa_float_denorm_mode_16_64 3
		.amdhsa_dx10_clamp 1
		.amdhsa_ieee_mode 1
		.amdhsa_fp16_overflow 0
		.amdhsa_workgroup_processor_mode 1
		.amdhsa_memory_ordered 1
		.amdhsa_forward_progress 0
		.amdhsa_shared_vgpr_count 0
		.amdhsa_exception_fp_ieee_invalid_op 0
		.amdhsa_exception_fp_denorm_src 0
		.amdhsa_exception_fp_ieee_div_zero 0
		.amdhsa_exception_fp_ieee_overflow 0
		.amdhsa_exception_fp_ieee_underflow 0
		.amdhsa_exception_fp_ieee_inexact 0
		.amdhsa_exception_int_div_zero 0
	.end_amdhsa_kernel
	.section	.text._ZN5aiter36smooth_per_token_scaled_quant_kernelItaLi512ELi16ELb0ELb1ELb1ELi1024EEEvPT0_PfPT_S3_PiS6_iiPKiiiiiiiii,"axG",@progbits,_ZN5aiter36smooth_per_token_scaled_quant_kernelItaLi512ELi16ELb0ELb1ELb1ELi1024EEEvPT0_PfPT_S3_PiS6_iiPKiiiiiiiii,comdat
.Lfunc_end129:
	.size	_ZN5aiter36smooth_per_token_scaled_quant_kernelItaLi512ELi16ELb0ELb1ELb1ELi1024EEEvPT0_PfPT_S3_PiS6_iiPKiiiiiiiii, .Lfunc_end129-_ZN5aiter36smooth_per_token_scaled_quant_kernelItaLi512ELi16ELb0ELb1ELb1ELi1024EEEvPT0_PfPT_S3_PiS6_iiPKiiiiiiiii
                                        ; -- End function
	.section	.AMDGPU.csdata,"",@progbits
; Kernel info:
; codeLenInByte = 3652
; NumSgprs: 45
; NumVgprs: 48
; ScratchSize: 0
; MemoryBound: 0
; FloatMode: 240
; IeeeMode: 1
; LDSByteSize: 4160 bytes/workgroup (compile time only)
; SGPRBlocks: 5
; VGPRBlocks: 5
; NumSGPRsForWavesPerEU: 45
; NumVGPRsForWavesPerEU: 48
; Occupancy: 16
; WaveLimiterHint : 0
; COMPUTE_PGM_RSRC2:SCRATCH_EN: 0
; COMPUTE_PGM_RSRC2:USER_SGPR: 15
; COMPUTE_PGM_RSRC2:TRAP_HANDLER: 0
; COMPUTE_PGM_RSRC2:TGID_X_EN: 1
; COMPUTE_PGM_RSRC2:TGID_Y_EN: 0
; COMPUTE_PGM_RSRC2:TGID_Z_EN: 0
; COMPUTE_PGM_RSRC2:TIDIG_COMP_CNT: 0
	.section	.text._ZN5aiter36smooth_per_token_scaled_quant_kernelIDF16_aLi512ELi16ELb0ELb1ELb0ELi1024EEEvPT0_PfPT_S3_PiS6_iiPKiiiiiiiii,"axG",@progbits,_ZN5aiter36smooth_per_token_scaled_quant_kernelIDF16_aLi512ELi16ELb0ELb1ELb0ELi1024EEEvPT0_PfPT_S3_PiS6_iiPKiiiiiiiii,comdat
	.protected	_ZN5aiter36smooth_per_token_scaled_quant_kernelIDF16_aLi512ELi16ELb0ELb1ELb0ELi1024EEEvPT0_PfPT_S3_PiS6_iiPKiiiiiiiii ; -- Begin function _ZN5aiter36smooth_per_token_scaled_quant_kernelIDF16_aLi512ELi16ELb0ELb1ELb0ELi1024EEEvPT0_PfPT_S3_PiS6_iiPKiiiiiiiii
	.globl	_ZN5aiter36smooth_per_token_scaled_quant_kernelIDF16_aLi512ELi16ELb0ELb1ELb0ELi1024EEEvPT0_PfPT_S3_PiS6_iiPKiiiiiiiii
	.p2align	8
	.type	_ZN5aiter36smooth_per_token_scaled_quant_kernelIDF16_aLi512ELi16ELb0ELb1ELb0ELi1024EEEvPT0_PfPT_S3_PiS6_iiPKiiiiiiiii,@function
_ZN5aiter36smooth_per_token_scaled_quant_kernelIDF16_aLi512ELi16ELb0ELb1ELb0ELi1024EEEvPT0_PfPT_S3_PiS6_iiPKiiiiiiiii: ; @_ZN5aiter36smooth_per_token_scaled_quant_kernelIDF16_aLi512ELi16ELb0ELb1ELb0ELi1024EEEvPT0_PfPT_S3_PiS6_iiPKiiiiiiiii
; %bb.0:
	s_clause 0x1
	s_load_b64 s[2:3], s[0:1], 0x38
	s_load_b256 s[4:11], s[0:1], 0x40
	s_waitcnt lgkmcnt(0)
	s_cmp_lg_u64 s[2:3], 0
	s_cbranch_scc0 .LBB130_11
; %bb.1:
	s_load_b32 s2, s[2:3], 0x0
	s_waitcnt lgkmcnt(0)
	s_mul_i32 s4, s2, s4
	s_cbranch_execnz .LBB130_3
.LBB130_2:
	s_mul_i32 s4, s6, s5
.LBB130_3:
	s_load_b64 s[2:3], s[0:1], 0x30
	s_abs_i32 s13, s4
	s_waitcnt lgkmcnt(0)
	s_abs_i32 s5, s2
	s_delay_alu instid0(SALU_CYCLE_1) | instskip(SKIP_1) | instid1(VALU_DEP_1)
	v_cvt_f32_u32_e32 v1, s5
	s_sub_i32 s12, 0, s5
	v_rcp_iflag_f32_e32 v1, v1
	s_waitcnt_depctr 0xfff
	v_mul_f32_e32 v1, 0x4f7ffffe, v1
	s_delay_alu instid0(VALU_DEP_1) | instskip(NEXT) | instid1(VALU_DEP_1)
	v_cvt_u32_f32_e32 v1, v1
	v_readfirstlane_b32 s11, v1
	s_delay_alu instid0(VALU_DEP_1) | instskip(NEXT) | instid1(SALU_CYCLE_1)
	s_mul_i32 s12, s12, s11
	s_mul_hi_u32 s12, s11, s12
	s_delay_alu instid0(SALU_CYCLE_1) | instskip(SKIP_4) | instid1(SALU_CYCLE_1)
	s_add_i32 s11, s11, s12
	s_xor_b32 s12, s4, s2
	s_mul_hi_u32 s11, s13, s11
	s_ashr_i32 s12, s12, 31
	s_mul_i32 s14, s11, s5
	s_sub_i32 s13, s13, s14
	s_add_i32 s14, s11, 1
	s_sub_i32 s16, s13, s5
	s_cmp_ge_u32 s13, s5
	s_cselect_b32 s11, s14, s11
	s_cselect_b32 s13, s16, s13
	s_add_i32 s14, s11, 1
	s_cmp_ge_u32 s13, s5
	s_cselect_b32 s5, s14, s11
	s_delay_alu instid0(SALU_CYCLE_1) | instskip(NEXT) | instid1(SALU_CYCLE_1)
	s_xor_b32 s5, s5, s12
	s_sub_i32 s11, s5, s12
	s_mov_b32 s12, 0
	s_mul_i32 s2, s11, s2
	s_delay_alu instid0(SALU_CYCLE_1) | instskip(NEXT) | instid1(SALU_CYCLE_1)
	s_sub_i32 s4, s4, s2
	s_cmp_lt_u32 s15, s4
	s_cselect_b32 s2, -1, 0
	s_add_i32 s5, s11, 1
	s_cmp_ge_u32 s15, s4
	s_cbranch_scc0 .LBB130_5
; %bb.4:
	s_sub_i32 s13, s15, s4
	s_mul_i32 s4, s4, s5
	s_mul_i32 s13, s13, s11
	s_delay_alu instid0(SALU_CYCLE_1)
	s_add_i32 s4, s13, s4
	s_and_not1_b32 vcc_lo, exec_lo, s12
	s_cbranch_vccz .LBB130_6
	s_branch .LBB130_7
.LBB130_5:
                                        ; implicit-def: $sgpr4
.LBB130_6:
	s_mul_i32 s4, s5, s15
.LBB130_7:
	v_cndmask_b32_e64 v1, 0, 1, s2
	s_delay_alu instid0(VALU_DEP_1) | instskip(NEXT) | instid1(VALU_DEP_1)
	v_readfirstlane_b32 s2, v1
	s_add_i32 s11, s11, s2
	s_delay_alu instid0(SALU_CYCLE_1)
	s_cmp_lt_i32 s11, 1
	s_cbranch_scc1 .LBB130_35
; %bb.8:
	s_load_b64 s[12:13], s[0:1], 0x20
	s_ashr_i32 s5, s4, 31
	v_and_b32_e32 v1, 31, v0
	s_lshl_b64 s[14:15], s[4:5], 2
	s_mov_b32 s41, -1
	v_lshrrev_b32_e32 v3, 3, v0
	s_mov_b32 s23, s41
	v_cmp_eq_u32_e32 vcc_lo, 31, v1
	v_and_b32_e32 v4, 15, v0
	v_lshlrev_b32_e32 v17, 5, v0
	v_lshlrev_b32_e32 v18, 6, v0
	v_and_b32_e32 v19, 0x7c, v3
	v_lshlrev_b32_e32 v21, 4, v0
	v_lshlrev_b32_e32 v20, 2, v4
	s_mov_b32 s34, s3
	s_waitcnt lgkmcnt(0)
	s_add_u32 s20, s12, s14
	s_addc_u32 s2, s13, s15
	s_abs_i32 s33, s6
	s_lshl_b32 s22, s11, 2
	v_cvt_f32_u32_e32 v2, s33
	s_and_b32 s21, s2, 0xffff
	s_load_b256 s[12:19], s[0:1], 0x0
	s_add_i32 s1, s3, 15
	v_cmp_eq_u32_e64 s0, 0, v0
	v_rcp_iflag_f32_e32 v2, v2
	v_lshlrev_b32_e32 v22, 2, v1
	s_ashr_i32 s2, s1, 31
	s_lshl_b32 s26, s3, 1
	s_lshr_b32 s2, s2, 28
	s_lshl_b32 s30, s3, 2
	s_add_i32 s1, s1, s2
	s_ashr_i32 s35, s6, 31
	s_ashr_i32 s1, s1, 4
	s_waitcnt_depctr 0xfff
	v_mul_f32_e32 v1, 0x4f7ffffe, v2
	buffer_load_b32 v16, v22, s[20:23], 0 offen
	s_add_i32 s23, s3, 3
	v_cmp_gt_u32_e64 s1, s1, v0
	s_ashr_i32 s2, s23, 31
	v_cvt_u32_f32_e32 v1, v1
	s_lshr_b32 s2, s2, 30
	s_waitcnt vmcnt(3) expcnt(0) lgkmcnt(55)
	s_add_i32 s23, s23, s2
	s_sub_i32 s2, 0, s33
	v_readfirstlane_b32 s40, v1
	s_and_b32 s38, s23, -4
	s_waitcnt vmcnt(0) lgkmcnt(0)
	s_barrier
	buffer_gl0_inv
	s_mul_i32 s23, s2, s40
	s_delay_alu instid0(SALU_CYCLE_1) | instskip(NEXT) | instid1(SALU_CYCLE_1)
	s_mul_hi_u32 s23, s40, s23
	s_add_i32 s40, s40, s23
	v_readlane_b32 s2, v16, 0
	s_delay_alu instid0(VALU_DEP_1)
	s_cmp_lt_i32 s2, 0
	s_cbranch_scc1 .LBB130_12
; %bb.9:
	s_abs_i32 s23, s4
	s_xor_b32 s5, s5, s35
	s_mul_hi_u32 s24, s23, s40
	s_mov_b32 s31, -1
	s_mul_i32 s25, s24, s33
	s_delay_alu instid0(SALU_CYCLE_1)
	s_sub_i32 s23, s23, s25
	s_add_i32 s25, s24, 1
	s_sub_i32 s27, s23, s33
	s_cmp_ge_u32 s23, s33
	s_cselect_b32 s24, s25, s24
	s_cselect_b32 s23, s27, s23
	s_add_i32 s25, s24, 1
	s_cmp_ge_u32 s23, s33
	s_cselect_b32 s23, s25, s24
	s_delay_alu instid0(SALU_CYCLE_1) | instskip(NEXT) | instid1(SALU_CYCLE_1)
	s_xor_b32 s23, s23, s5
	s_sub_i32 s5, s23, s5
	s_delay_alu instid0(SALU_CYCLE_1) | instskip(SKIP_2) | instid1(SALU_CYCLE_1)
	s_mul_i32 s23, s5, s6
	s_mul_i32 s25, s5, s7
	s_sub_i32 s23, s4, s23
	s_mul_i32 s24, s23, s8
	s_delay_alu instid0(SALU_CYCLE_1) | instskip(NEXT) | instid1(SALU_CYCLE_1)
	s_add_i32 s41, s24, s25
	s_cmp_eq_u32 s41, -1
	s_cbranch_scc1 .LBB130_13
; %bb.10:
	s_mul_hi_i32 s25, s41, s34
	s_mul_i32 s24, s41, s34
	s_mov_b32 s27, s31
	s_lshl_b64 s[24:25], s[24:25], 1
	s_delay_alu instid0(SALU_CYCLE_1) | instskip(SKIP_1) | instid1(SALU_CYCLE_1)
	s_add_u32 s24, s16, s24
	s_addc_u32 s25, s17, s25
	s_and_b32 s25, s25, 0xffff
	s_clause 0x1
	buffer_load_b128 v[4:7], v17, s[24:27], 0 offen
	buffer_load_b128 v[12:15], v17, s[24:27], 16 offen
	s_waitcnt vmcnt(1)
	v_cvt_f32_f16_e32 v0, v4
	v_lshrrev_b32_e32 v1, 16, v4
	v_cvt_f32_f16_e32 v2, v5
	v_lshrrev_b32_e32 v3, 16, v5
	;; [unrolled: 2-line block ×4, first 2 shown]
	s_waitcnt vmcnt(0)
	v_cvt_f32_f16_e32 v8, v12
	v_lshrrev_b32_e32 v9, 16, v12
	v_cvt_f32_f16_e32 v10, v13
	v_lshrrev_b32_e32 v11, 16, v13
	;; [unrolled: 2-line block ×4, first 2 shown]
	v_cvt_f32_f16_e32 v1, v1
	v_cvt_f32_f16_e32 v3, v3
	;; [unrolled: 1-line block ×8, first 2 shown]
	s_branch .LBB130_14
.LBB130_11:
                                        ; implicit-def: $sgpr4
	s_branch .LBB130_2
.LBB130_12:
                                        ; implicit-def: $vgpr0_vgpr1_vgpr2_vgpr3_vgpr4_vgpr5_vgpr6_vgpr7_vgpr8_vgpr9_vgpr10_vgpr11_vgpr12_vgpr13_vgpr14_vgpr15
	s_cmp_eq_u32 s11, 1
	s_mov_b32 s5, 1
	s_cbranch_scc0 .LBB130_21
	s_branch .LBB130_35
.LBB130_13:
                                        ; implicit-def: $vgpr0_vgpr1_vgpr2_vgpr3_vgpr4_vgpr5_vgpr6_vgpr7_vgpr8_vgpr9_vgpr10_vgpr11_vgpr12_vgpr13_vgpr14_vgpr15
.LBB130_14:
	s_mul_i32 s24, s2, s3
	s_delay_alu instid0(SALU_CYCLE_1) | instskip(NEXT) | instid1(SALU_CYCLE_1)
	s_ashr_i32 s25, s24, 31
	s_lshl_b64 s[24:25], s[24:25], 2
	s_delay_alu instid0(SALU_CYCLE_1) | instskip(SKIP_1) | instid1(SALU_CYCLE_1)
	s_add_u32 s28, s18, s24
	s_addc_u32 s2, s19, s25
	s_and_b32 s29, s2, 0xffff
	s_clause 0x3
	buffer_load_b128 v[23:26], v18, s[28:31], 0 offen
	buffer_load_b128 v[27:30], v18, s[28:31], 16 offen
	;; [unrolled: 1-line block ×4, first 2 shown]
	s_waitcnt vmcnt(3)
	v_dual_mul_f32 v37, v0, v23 :: v_dual_mul_f32 v38, v1, v24
	v_dual_mul_f32 v31, v2, v25 :: v_dual_mul_f32 v32, v3, v26
	s_waitcnt vmcnt(2)
	v_dual_mul_f32 v33, v4, v27 :: v_dual_mul_f32 v34, v5, v28
	s_delay_alu instid0(VALU_DEP_3) | instskip(SKIP_3) | instid1(VALU_DEP_3)
	v_max3_f32 v23, |v37|, 0x2edbe6ff, |v38|
	v_dual_mul_f32 v35, v6, v29 :: v_dual_mul_f32 v36, v7, v30
	s_waitcnt vmcnt(1)
	v_dual_mul_f32 v28, v8, v39 :: v_dual_mul_f32 v29, v9, v40
	v_max3_f32 v23, v23, |v31|, |v32|
	s_waitcnt vmcnt(0)
	v_mul_f32_e32 v26, v12, v43
	v_dual_mul_f32 v30, v13, v44 :: v_dual_mul_f32 v27, v15, v46
	v_mul_f32_e32 v24, v11, v42
	v_max3_f32 v23, v23, |v33|, |v34|
	s_delay_alu instid0(VALU_DEP_1) | instskip(SKIP_1) | instid1(VALU_DEP_2)
	v_max3_f32 v25, v23, |v35|, |v36|
	v_mul_f32_e32 v23, v10, v41
	v_max3_f32 v25, v25, |v28|, |v29|
	s_delay_alu instid0(VALU_DEP_1) | instskip(SKIP_1) | instid1(VALU_DEP_2)
	v_max3_f32 v39, v25, |v23|, |v24|
	v_mul_f32_e32 v25, v14, v45
	v_max3_f32 v39, v39, |v26|, |v30|
	s_delay_alu instid0(VALU_DEP_1) | instskip(NEXT) | instid1(VALU_DEP_1)
	v_max3_f32 v39, v39, |v25|, |v27|
	v_mov_b32_dpp v40, v39 quad_perm:[1,0,3,2] row_mask:0xf bank_mask:0xf
	s_delay_alu instid0(VALU_DEP_1) | instskip(NEXT) | instid1(VALU_DEP_1)
	v_cmp_gt_f32_e64 s2, v39, v40
	v_cndmask_b32_e64 v39, v40, v39, s2
	s_delay_alu instid0(VALU_DEP_1) | instskip(NEXT) | instid1(VALU_DEP_1)
	v_mov_b32_dpp v40, v39 quad_perm:[2,3,0,1] row_mask:0xf bank_mask:0xf
	v_cmp_gt_f32_e64 s2, v39, v40
	s_delay_alu instid0(VALU_DEP_1) | instskip(NEXT) | instid1(VALU_DEP_1)
	v_cndmask_b32_e64 v39, v40, v39, s2
	v_mov_b32_dpp v40, v39 row_xmask:7 row_mask:0xf bank_mask:0xf
	s_delay_alu instid0(VALU_DEP_1) | instskip(NEXT) | instid1(VALU_DEP_1)
	v_cmp_gt_f32_e64 s2, v39, v40
	v_cndmask_b32_e64 v39, v40, v39, s2
	s_delay_alu instid0(VALU_DEP_1) | instskip(NEXT) | instid1(VALU_DEP_1)
	v_mov_b32_dpp v40, v39 row_xmask:15 row_mask:0xf bank_mask:0xf
	v_cmp_gt_f32_e64 s2, v39, v40
	s_and_saveexec_b32 s24, vcc_lo
	s_cbranch_execz .LBB130_16
; %bb.15:
	s_delay_alu instid0(VALU_DEP_1)
	v_cndmask_b32_e64 v39, v40, v39, s2
	s_mov_b32 s2, 0x76543210
	s_delay_alu instid0(VALU_DEP_1) | instid1(SALU_CYCLE_1)
	v_permlanex16_b32 v40, v39, s2, 0xfedcba98 op_sel:[1,1]
	s_delay_alu instid0(VALU_DEP_1) | instskip(NEXT) | instid1(VALU_DEP_1)
	v_cmp_gt_f32_e64 s2, v39, v40
	v_cndmask_b32_e64 v39, v40, v39, s2
	ds_store_b32 v19, v39
.LBB130_16:
	s_or_b32 exec_lo, exec_lo, s24
	s_waitcnt lgkmcnt(0)
	s_barrier
	buffer_gl0_inv
	ds_load_b32 v39, v20
	s_mul_i32 s5, s5, s9
	s_waitcnt lgkmcnt(0)
	v_mov_b32_dpp v40, v39 quad_perm:[1,0,3,2] row_mask:0xf bank_mask:0xf
	s_delay_alu instid0(VALU_DEP_1) | instskip(NEXT) | instid1(VALU_DEP_1)
	v_cmp_gt_f32_e64 s2, v39, v40
	v_cndmask_b32_e64 v39, v40, v39, s2
	s_delay_alu instid0(VALU_DEP_1) | instskip(NEXT) | instid1(VALU_DEP_1)
	v_mov_b32_dpp v40, v39 quad_perm:[2,3,0,1] row_mask:0xf bank_mask:0xf
	v_cmp_gt_f32_e64 s2, v39, v40
	s_delay_alu instid0(VALU_DEP_1) | instskip(NEXT) | instid1(VALU_DEP_1)
	v_cndmask_b32_e64 v39, v40, v39, s2
	v_mov_b32_dpp v40, v39 row_xmask:7 row_mask:0xf bank_mask:0xf
	s_delay_alu instid0(VALU_DEP_1) | instskip(NEXT) | instid1(VALU_DEP_1)
	v_cmp_gt_f32_e64 s2, v39, v40
	v_cndmask_b32_e64 v39, v40, v39, s2
	s_delay_alu instid0(VALU_DEP_1) | instskip(NEXT) | instid1(VALU_DEP_1)
	v_mov_b32_dpp v40, v39 row_xmask:15 row_mask:0xf bank_mask:0xf
	v_cmp_gt_f32_e64 s2, v39, v40
	s_delay_alu instid0(VALU_DEP_1) | instskip(SKIP_1) | instid1(SALU_CYCLE_1)
	v_cndmask_b32_e64 v39, v40, v39, s2
	s_mul_i32 s2, s23, s10
	s_add_i32 s24, s2, s5
	s_delay_alu instid0(VALU_DEP_1)
	v_mul_f32_e32 v39, 0x3c010204, v39
	s_and_saveexec_b32 s2, s0
	s_cbranch_execz .LBB130_18
; %bb.17:
	s_ashr_i32 s25, s24, 31
	v_mov_b32_e32 v40, 0
	s_lshl_b64 s[28:29], s[24:25], 2
	s_delay_alu instid0(SALU_CYCLE_1)
	s_add_u32 s28, s14, s28
	s_addc_u32 s29, s15, s29
	global_store_b32 v40, v39, s[28:29]
.LBB130_18:
	s_or_b32 exec_lo, exec_lo, s2
	s_and_saveexec_b32 s2, s1
	s_cbranch_execz .LBB130_20
; %bb.19:
	v_rcp_f32_e32 v39, v39
	s_mul_i32 s5, s24, s34
	s_mul_hi_i32 s23, s24, s34
	s_add_u32 s36, s12, s5
	s_addc_u32 s5, s13, s23
	s_mov_b32 s39, -1
	s_and_b32 s37, s5, 0xffff
	s_waitcnt_depctr 0xfff
	v_mul_f32_e32 v30, v30, v39
	v_mul_f32_e32 v26, v26, v39
	;; [unrolled: 1-line block ×5, first 2 shown]
	v_cvt_i32_f32_e32 v30, v30
	v_cvt_i32_f32_e32 v26, v26
	v_mul_f32_e32 v37, v37, v39
	v_mul_f32_e32 v25, v25, v39
	v_cvt_i32_f32_e32 v28, v28
	v_lshlrev_b16 v30, 8, v30
	v_and_b32_e32 v26, 0xff, v26
	v_cvt_i32_f32_e32 v27, v27
	v_cvt_i32_f32_e32 v25, v25
	;; [unrolled: 1-line block ×3, first 2 shown]
	v_mul_f32_e32 v38, v38, v39
	v_or_b32_e32 v26, v26, v30
	v_mul_f32_e32 v33, v33, v39
	v_dual_mul_f32 v31, v31, v39 :: v_dual_and_b32 v28, 0xff, v28
	v_lshlrev_b16 v27, 8, v27
	v_and_b32_e32 v25, 0xff, v25
	v_lshlrev_b16 v29, 8, v29
	v_mul_f32_e32 v24, v24, v39
	v_dual_mul_f32 v23, v23, v39 :: v_dual_and_b32 v26, 0xffff, v26
	v_cvt_i32_f32_e32 v33, v33
	v_mul_f32_e32 v34, v34, v39
	v_or_b32_e32 v25, v25, v27
	v_or_b32_e32 v27, v28, v29
	v_cvt_i32_f32_e32 v24, v24
	v_and_b32_e32 v29, 0xff, v33
	v_cvt_i32_f32_e32 v34, v34
	v_cvt_i32_f32_e32 v23, v23
	v_dual_mul_f32 v32, v32, v39 :: v_dual_lshlrev_b32 v25, 16, v25
	v_lshlrev_b16 v24, 8, v24
	s_delay_alu instid0(VALU_DEP_4) | instskip(NEXT) | instid1(VALU_DEP_4)
	v_lshlrev_b16 v28, 8, v34
	v_and_b32_e32 v23, 0xff, v23
	v_cvt_i32_f32_e32 v37, v37
	v_mul_f32_e32 v36, v36, v39
	v_cvt_i32_f32_e32 v38, v38
	v_cvt_i32_f32_e32 v31, v31
	v_or_b32_e32 v23, v23, v24
	v_or_b32_e32 v24, v29, v28
	v_mul_f32_e32 v35, v35, v39
	v_cvt_i32_f32_e32 v32, v32
	v_lshlrev_b16 v34, 8, v38
	v_and_b32_e32 v31, 0xff, v31
	v_and_b32_e32 v24, 0xffff, v24
	v_cvt_i32_f32_e32 v35, v35
	v_lshlrev_b16 v32, 8, v32
	v_and_b32_e32 v27, 0xffff, v27
	v_lshlrev_b32_e32 v23, 16, v23
	v_or_b32_e32 v26, v26, v25
	v_and_b32_e32 v33, 0xff, v35
	v_and_b32_e32 v35, 0xff, v37
	v_cvt_i32_f32_e32 v36, v36
	v_or_b32_e32 v25, v27, v23
	s_delay_alu instid0(VALU_DEP_3) | instskip(NEXT) | instid1(VALU_DEP_3)
	v_or_b32_e32 v29, v35, v34
	v_lshlrev_b16 v30, 8, v36
	s_delay_alu instid0(VALU_DEP_2) | instskip(NEXT) | instid1(VALU_DEP_2)
	v_and_b32_e32 v29, 0xffff, v29
	v_or_b32_e32 v28, v33, v30
	v_or_b32_e32 v30, v31, v32
	s_delay_alu instid0(VALU_DEP_2) | instskip(NEXT) | instid1(VALU_DEP_2)
	v_lshlrev_b32_e32 v28, 16, v28
	v_lshlrev_b32_e32 v30, 16, v30
	s_delay_alu instid0(VALU_DEP_2) | instskip(NEXT) | instid1(VALU_DEP_2)
	v_or_b32_e32 v24, v24, v28
	v_or_b32_e32 v23, v29, v30
	buffer_store_b128 v[23:26], v21, s[36:39], 0 offen
	;;#ASMSTART
	s_nop 0
	;;#ASMEND
.LBB130_20:
	s_or_b32 exec_lo, exec_lo, s2
	s_cmp_eq_u32 s11, 1
	s_mov_b32 s5, 1
	s_cbranch_scc1 .LBB130_35
.LBB130_21:
	v_dual_mov_b32 v23, 0 :: v_dual_add_nc_u32 v22, 4, v22
	s_mov_b32 s31, -1
	s_mov_b32 s42, 0x76543210
	s_branch .LBB130_24
.LBB130_22:                             ;   in Loop: Header=BB130_24 Depth=1
	s_or_b32 exec_lo, exec_lo, s2
.LBB130_23:                             ;   in Loop: Header=BB130_24 Depth=1
	v_add_nc_u32_e32 v22, 4, v22
	s_add_i32 s5, s5, 1
	s_delay_alu instid0(SALU_CYCLE_1)
	s_cmp_eq_u32 s11, s5
	s_cbranch_scc1 .LBB130_35
.LBB130_24:                             ; =>This Inner Loop Header: Depth=1
	s_and_b32 s2, s5, 31
	s_delay_alu instid0(SALU_CYCLE_1)
	s_cmp_lg_u32 s2, 0
	s_cbranch_scc1 .LBB130_26
; %bb.25:                               ;   in Loop: Header=BB130_24 Depth=1
	s_mov_b32 s23, s31
	buffer_load_b32 v16, v22, s[20:23], 0 offen
	s_waitcnt vmcnt(3) expcnt(0) lgkmcnt(55)
.LBB130_26:                             ;   in Loop: Header=BB130_24 Depth=1
	s_waitcnt vmcnt(0)
	v_readlane_b32 s2, v16, s2
	s_delay_alu instid0(VALU_DEP_1)
	s_cmp_lt_i32 s2, 0
	s_cbranch_scc1 .LBB130_23
; %bb.27:                               ;   in Loop: Header=BB130_24 Depth=1
	s_add_i32 s24, s4, s5
	s_delay_alu instid0(SALU_CYCLE_1) | instskip(SKIP_4) | instid1(SALU_CYCLE_1)
	s_abs_i32 s23, s24
	s_ashr_i32 s27, s24, 31
	s_mul_hi_u32 s25, s23, s40
	s_xor_b32 s27, s27, s35
	s_mul_i32 s28, s25, s33
	s_sub_i32 s23, s23, s28
	s_add_i32 s28, s25, 1
	s_sub_i32 s29, s23, s33
	s_cmp_ge_u32 s23, s33
	s_cselect_b32 s25, s28, s25
	s_cselect_b32 s23, s29, s23
	s_add_i32 s28, s25, 1
	s_cmp_ge_u32 s23, s33
	s_cselect_b32 s23, s28, s25
	s_delay_alu instid0(SALU_CYCLE_1) | instskip(NEXT) | instid1(SALU_CYCLE_1)
	s_xor_b32 s23, s23, s27
	s_sub_i32 s23, s23, s27
	s_delay_alu instid0(SALU_CYCLE_1) | instskip(NEXT) | instid1(SALU_CYCLE_1)
	s_mul_i32 s25, s23, s6
	s_sub_i32 s36, s24, s25
	s_mul_i32 s24, s23, s7
	s_mul_i32 s28, s36, s8
	s_delay_alu instid0(SALU_CYCLE_1) | instskip(NEXT) | instid1(SALU_CYCLE_1)
	s_add_i32 s28, s28, s24
	s_cmp_eq_u32 s28, s41
	s_cbranch_scc1 .LBB130_29
; %bb.28:                               ;   in Loop: Header=BB130_24 Depth=1
	s_mul_hi_i32 s25, s28, s34
	s_mul_i32 s24, s28, s34
	s_mov_b32 s27, s31
	s_lshl_b64 s[24:25], s[24:25], 1
	s_mov_b32 s41, s28
	s_add_u32 s24, s16, s24
	s_addc_u32 s25, s17, s25
	s_delay_alu instid0(SALU_CYCLE_1)
	s_and_b32 s25, s25, 0xffff
	s_clause 0x1
	buffer_load_b128 v[4:7], v17, s[24:27], 0 offen
	buffer_load_b128 v[12:15], v17, s[24:27], 16 offen
	s_waitcnt vmcnt(1)
	v_cvt_f32_f16_e32 v0, v4
	v_lshrrev_b32_e32 v1, 16, v4
	v_cvt_f32_f16_e32 v2, v5
	v_lshrrev_b32_e32 v3, 16, v5
	;; [unrolled: 2-line block ×4, first 2 shown]
	s_waitcnt vmcnt(0)
	v_cvt_f32_f16_e32 v8, v12
	v_lshrrev_b32_e32 v9, 16, v12
	v_cvt_f32_f16_e32 v10, v13
	v_lshrrev_b32_e32 v11, 16, v13
	;; [unrolled: 2-line block ×4, first 2 shown]
	v_cvt_f32_f16_e32 v1, v1
	v_cvt_f32_f16_e32 v3, v3
	;; [unrolled: 1-line block ×8, first 2 shown]
.LBB130_29:                             ;   in Loop: Header=BB130_24 Depth=1
	s_mul_i32 s24, s2, s3
	s_delay_alu instid0(SALU_CYCLE_1) | instskip(NEXT) | instid1(SALU_CYCLE_1)
	s_ashr_i32 s25, s24, 31
	s_lshl_b64 s[24:25], s[24:25], 2
	s_delay_alu instid0(SALU_CYCLE_1) | instskip(SKIP_1) | instid1(SALU_CYCLE_1)
	s_add_u32 s28, s18, s24
	s_addc_u32 s2, s19, s25
	s_and_b32 s29, s2, 0xffff
	s_clause 0x3
	buffer_load_b128 v[24:27], v18, s[28:31], 0 offen
	buffer_load_b128 v[28:31], v18, s[28:31], 16 offen
	;; [unrolled: 1-line block ×4, first 2 shown]
	s_waitcnt vmcnt(3)
	v_dual_mul_f32 v38, v0, v24 :: v_dual_mul_f32 v39, v1, v25
	v_dual_mul_f32 v32, v2, v26 :: v_dual_mul_f32 v33, v3, v27
	s_waitcnt vmcnt(2)
	v_dual_mul_f32 v34, v4, v28 :: v_dual_mul_f32 v35, v5, v29
	s_delay_alu instid0(VALU_DEP_3) | instskip(SKIP_3) | instid1(VALU_DEP_3)
	v_max3_f32 v24, |v38|, 0x2edbe6ff, |v39|
	v_dual_mul_f32 v36, v6, v30 :: v_dual_mul_f32 v37, v7, v31
	s_waitcnt vmcnt(1)
	v_dual_mul_f32 v29, v8, v40 :: v_dual_mul_f32 v30, v9, v41
	v_max3_f32 v24, v24, |v32|, |v33|
	s_waitcnt vmcnt(0)
	v_mul_f32_e32 v27, v12, v44
	v_dual_mul_f32 v31, v13, v45 :: v_dual_mul_f32 v28, v15, v47
	v_mul_f32_e32 v25, v11, v43
	v_max3_f32 v24, v24, |v34|, |v35|
	s_delay_alu instid0(VALU_DEP_1) | instskip(SKIP_1) | instid1(VALU_DEP_2)
	v_max3_f32 v26, v24, |v36|, |v37|
	v_mul_f32_e32 v24, v10, v42
	v_max3_f32 v26, v26, |v29|, |v30|
	s_delay_alu instid0(VALU_DEP_1) | instskip(SKIP_1) | instid1(VALU_DEP_2)
	v_max3_f32 v40, v26, |v24|, |v25|
	v_mul_f32_e32 v26, v14, v46
	v_max3_f32 v40, v40, |v27|, |v31|
	s_delay_alu instid0(VALU_DEP_1) | instskip(NEXT) | instid1(VALU_DEP_1)
	v_max3_f32 v40, v40, |v26|, |v28|
	v_mov_b32_dpp v41, v40 quad_perm:[1,0,3,2] row_mask:0xf bank_mask:0xf
	s_delay_alu instid0(VALU_DEP_1) | instskip(NEXT) | instid1(VALU_DEP_1)
	v_cmp_gt_f32_e64 s2, v40, v41
	v_cndmask_b32_e64 v40, v41, v40, s2
	s_delay_alu instid0(VALU_DEP_1) | instskip(NEXT) | instid1(VALU_DEP_1)
	v_mov_b32_dpp v41, v40 quad_perm:[2,3,0,1] row_mask:0xf bank_mask:0xf
	v_cmp_gt_f32_e64 s2, v40, v41
	s_delay_alu instid0(VALU_DEP_1) | instskip(NEXT) | instid1(VALU_DEP_1)
	v_cndmask_b32_e64 v40, v41, v40, s2
	v_mov_b32_dpp v41, v40 row_xmask:7 row_mask:0xf bank_mask:0xf
	s_delay_alu instid0(VALU_DEP_1) | instskip(NEXT) | instid1(VALU_DEP_1)
	v_cmp_gt_f32_e64 s2, v40, v41
	v_cndmask_b32_e64 v40, v41, v40, s2
	s_delay_alu instid0(VALU_DEP_1) | instskip(NEXT) | instid1(VALU_DEP_1)
	v_mov_b32_dpp v41, v40 row_xmask:15 row_mask:0xf bank_mask:0xf
	v_cmp_gt_f32_e64 s2, v40, v41
	s_and_saveexec_b32 s24, vcc_lo
	s_cbranch_execz .LBB130_31
; %bb.30:                               ;   in Loop: Header=BB130_24 Depth=1
	s_delay_alu instid0(VALU_DEP_1) | instskip(NEXT) | instid1(VALU_DEP_1)
	v_cndmask_b32_e64 v40, v41, v40, s2
	v_permlanex16_b32 v41, v40, s42, 0xfedcba98 op_sel:[1,1]
	s_delay_alu instid0(VALU_DEP_1) | instskip(NEXT) | instid1(VALU_DEP_1)
	v_cmp_gt_f32_e64 s2, v40, v41
	v_cndmask_b32_e64 v40, v41, v40, s2
	ds_store_b32 v19, v40
.LBB130_31:                             ;   in Loop: Header=BB130_24 Depth=1
	s_or_b32 exec_lo, exec_lo, s24
	s_waitcnt lgkmcnt(0)
	s_waitcnt_vscnt null, 0x0
	s_barrier
	buffer_gl0_inv
	ds_load_b32 v40, v20
	s_mul_i32 s23, s23, s9
	s_waitcnt lgkmcnt(0)
	v_mov_b32_dpp v41, v40 quad_perm:[1,0,3,2] row_mask:0xf bank_mask:0xf
	s_delay_alu instid0(VALU_DEP_1) | instskip(NEXT) | instid1(VALU_DEP_1)
	v_cmp_gt_f32_e64 s2, v40, v41
	v_cndmask_b32_e64 v40, v41, v40, s2
	s_delay_alu instid0(VALU_DEP_1) | instskip(NEXT) | instid1(VALU_DEP_1)
	v_mov_b32_dpp v41, v40 quad_perm:[2,3,0,1] row_mask:0xf bank_mask:0xf
	v_cmp_gt_f32_e64 s2, v40, v41
	s_delay_alu instid0(VALU_DEP_1) | instskip(NEXT) | instid1(VALU_DEP_1)
	v_cndmask_b32_e64 v40, v41, v40, s2
	v_mov_b32_dpp v41, v40 row_xmask:7 row_mask:0xf bank_mask:0xf
	s_delay_alu instid0(VALU_DEP_1) | instskip(NEXT) | instid1(VALU_DEP_1)
	v_cmp_gt_f32_e64 s2, v40, v41
	v_cndmask_b32_e64 v40, v41, v40, s2
	s_delay_alu instid0(VALU_DEP_1) | instskip(NEXT) | instid1(VALU_DEP_1)
	v_mov_b32_dpp v41, v40 row_xmask:15 row_mask:0xf bank_mask:0xf
	v_cmp_gt_f32_e64 s2, v40, v41
	s_delay_alu instid0(VALU_DEP_1) | instskip(SKIP_1) | instid1(SALU_CYCLE_1)
	v_cndmask_b32_e64 v40, v41, v40, s2
	s_mul_i32 s2, s36, s10
	s_add_i32 s24, s2, s23
	s_delay_alu instid0(VALU_DEP_1)
	v_mul_f32_e32 v40, 0x3c010204, v40
	s_and_saveexec_b32 s2, s0
	s_cbranch_execz .LBB130_33
; %bb.32:                               ;   in Loop: Header=BB130_24 Depth=1
	s_ashr_i32 s25, s24, 31
	s_delay_alu instid0(SALU_CYCLE_1) | instskip(NEXT) | instid1(SALU_CYCLE_1)
	s_lshl_b64 s[28:29], s[24:25], 2
	s_add_u32 s28, s14, s28
	s_addc_u32 s29, s15, s29
	global_store_b32 v23, v40, s[28:29]
.LBB130_33:                             ;   in Loop: Header=BB130_24 Depth=1
	s_or_b32 exec_lo, exec_lo, s2
	s_and_saveexec_b32 s2, s1
	s_cbranch_execz .LBB130_22
; %bb.34:                               ;   in Loop: Header=BB130_24 Depth=1
	v_rcp_f32_e32 v40, v40
	s_mul_i32 s23, s24, s34
	s_mul_hi_i32 s24, s24, s34
	s_add_u32 s36, s12, s23
	s_addc_u32 s23, s13, s24
	s_mov_b32 s39, s31
	s_and_b32 s37, s23, 0xffff
	s_waitcnt_depctr 0xfff
	v_mul_f32_e32 v31, v31, v40
	v_mul_f32_e32 v27, v27, v40
	;; [unrolled: 1-line block ×5, first 2 shown]
	v_cvt_i32_f32_e32 v31, v31
	v_cvt_i32_f32_e32 v27, v27
	v_mul_f32_e32 v38, v38, v40
	v_mul_f32_e32 v26, v26, v40
	v_cvt_i32_f32_e32 v29, v29
	v_lshlrev_b16 v31, 8, v31
	v_and_b32_e32 v27, 0xff, v27
	v_cvt_i32_f32_e32 v28, v28
	v_cvt_i32_f32_e32 v26, v26
	;; [unrolled: 1-line block ×3, first 2 shown]
	v_mul_f32_e32 v39, v39, v40
	v_or_b32_e32 v27, v27, v31
	v_mul_f32_e32 v34, v34, v40
	v_dual_mul_f32 v32, v32, v40 :: v_dual_and_b32 v29, 0xff, v29
	v_lshlrev_b16 v28, 8, v28
	v_and_b32_e32 v26, 0xff, v26
	v_lshlrev_b16 v30, 8, v30
	v_mul_f32_e32 v25, v25, v40
	v_dual_mul_f32 v24, v24, v40 :: v_dual_and_b32 v27, 0xffff, v27
	v_cvt_i32_f32_e32 v34, v34
	v_mul_f32_e32 v35, v35, v40
	v_or_b32_e32 v26, v26, v28
	v_or_b32_e32 v28, v29, v30
	v_cvt_i32_f32_e32 v25, v25
	v_and_b32_e32 v30, 0xff, v34
	v_cvt_i32_f32_e32 v35, v35
	v_cvt_i32_f32_e32 v24, v24
	v_dual_mul_f32 v33, v33, v40 :: v_dual_lshlrev_b32 v26, 16, v26
	v_lshlrev_b16 v25, 8, v25
	s_delay_alu instid0(VALU_DEP_4) | instskip(NEXT) | instid1(VALU_DEP_4)
	v_lshlrev_b16 v29, 8, v35
	v_and_b32_e32 v24, 0xff, v24
	v_cvt_i32_f32_e32 v38, v38
	v_mul_f32_e32 v37, v37, v40
	v_cvt_i32_f32_e32 v39, v39
	v_cvt_i32_f32_e32 v32, v32
	v_or_b32_e32 v24, v24, v25
	v_or_b32_e32 v25, v30, v29
	v_mul_f32_e32 v36, v36, v40
	v_cvt_i32_f32_e32 v33, v33
	v_lshlrev_b16 v35, 8, v39
	v_and_b32_e32 v32, 0xff, v32
	v_and_b32_e32 v25, 0xffff, v25
	v_cvt_i32_f32_e32 v36, v36
	v_lshlrev_b16 v33, 8, v33
	v_and_b32_e32 v28, 0xffff, v28
	v_lshlrev_b32_e32 v24, 16, v24
	v_or_b32_e32 v27, v27, v26
	v_and_b32_e32 v34, 0xff, v36
	v_and_b32_e32 v36, 0xff, v38
	v_cvt_i32_f32_e32 v37, v37
	v_or_b32_e32 v26, v28, v24
	s_delay_alu instid0(VALU_DEP_3) | instskip(NEXT) | instid1(VALU_DEP_3)
	v_or_b32_e32 v30, v36, v35
	v_lshlrev_b16 v31, 8, v37
	s_delay_alu instid0(VALU_DEP_2) | instskip(NEXT) | instid1(VALU_DEP_2)
	v_and_b32_e32 v30, 0xffff, v30
	v_or_b32_e32 v29, v34, v31
	v_or_b32_e32 v31, v32, v33
	s_delay_alu instid0(VALU_DEP_2) | instskip(NEXT) | instid1(VALU_DEP_2)
	v_lshlrev_b32_e32 v29, 16, v29
	v_lshlrev_b32_e32 v31, 16, v31
	s_delay_alu instid0(VALU_DEP_2) | instskip(NEXT) | instid1(VALU_DEP_2)
	v_or_b32_e32 v25, v25, v29
	v_or_b32_e32 v24, v30, v31
	buffer_store_b128 v[24:27], v21, s[36:39], 0 offen
	;;#ASMSTART
	s_nop 0
	;;#ASMEND
	s_branch .LBB130_22
.LBB130_35:
	s_nop 0
	s_sendmsg sendmsg(MSG_DEALLOC_VGPRS)
	s_endpgm
	.section	.rodata,"a",@progbits
	.p2align	6, 0x0
	.amdhsa_kernel _ZN5aiter36smooth_per_token_scaled_quant_kernelIDF16_aLi512ELi16ELb0ELb1ELb0ELi1024EEEvPT0_PfPT_S3_PiS6_iiPKiiiiiiiii
		.amdhsa_group_segment_fixed_size 64
		.amdhsa_private_segment_fixed_size 0
		.amdhsa_kernarg_size 96
		.amdhsa_user_sgpr_count 15
		.amdhsa_user_sgpr_dispatch_ptr 0
		.amdhsa_user_sgpr_queue_ptr 0
		.amdhsa_user_sgpr_kernarg_segment_ptr 1
		.amdhsa_user_sgpr_dispatch_id 0
		.amdhsa_user_sgpr_private_segment_size 0
		.amdhsa_wavefront_size32 1
		.amdhsa_uses_dynamic_stack 0
		.amdhsa_enable_private_segment 0
		.amdhsa_system_sgpr_workgroup_id_x 1
		.amdhsa_system_sgpr_workgroup_id_y 0
		.amdhsa_system_sgpr_workgroup_id_z 0
		.amdhsa_system_sgpr_workgroup_info 0
		.amdhsa_system_vgpr_workitem_id 0
		.amdhsa_next_free_vgpr 48
		.amdhsa_next_free_sgpr 43
		.amdhsa_reserve_vcc 1
		.amdhsa_float_round_mode_32 0
		.amdhsa_float_round_mode_16_64 0
		.amdhsa_float_denorm_mode_32 3
		.amdhsa_float_denorm_mode_16_64 3
		.amdhsa_dx10_clamp 1
		.amdhsa_ieee_mode 1
		.amdhsa_fp16_overflow 0
		.amdhsa_workgroup_processor_mode 1
		.amdhsa_memory_ordered 1
		.amdhsa_forward_progress 0
		.amdhsa_shared_vgpr_count 0
		.amdhsa_exception_fp_ieee_invalid_op 0
		.amdhsa_exception_fp_denorm_src 0
		.amdhsa_exception_fp_ieee_div_zero 0
		.amdhsa_exception_fp_ieee_overflow 0
		.amdhsa_exception_fp_ieee_underflow 0
		.amdhsa_exception_fp_ieee_inexact 0
		.amdhsa_exception_int_div_zero 0
	.end_amdhsa_kernel
	.section	.text._ZN5aiter36smooth_per_token_scaled_quant_kernelIDF16_aLi512ELi16ELb0ELb1ELb0ELi1024EEEvPT0_PfPT_S3_PiS6_iiPKiiiiiiiii,"axG",@progbits,_ZN5aiter36smooth_per_token_scaled_quant_kernelIDF16_aLi512ELi16ELb0ELb1ELb0ELi1024EEEvPT0_PfPT_S3_PiS6_iiPKiiiiiiiii,comdat
.Lfunc_end130:
	.size	_ZN5aiter36smooth_per_token_scaled_quant_kernelIDF16_aLi512ELi16ELb0ELb1ELb0ELi1024EEEvPT0_PfPT_S3_PiS6_iiPKiiiiiiiii, .Lfunc_end130-_ZN5aiter36smooth_per_token_scaled_quant_kernelIDF16_aLi512ELi16ELb0ELb1ELb0ELi1024EEEvPT0_PfPT_S3_PiS6_iiPKiiiiiiiii
                                        ; -- End function
	.section	.AMDGPU.csdata,"",@progbits
; Kernel info:
; codeLenInByte = 3428
; NumSgprs: 45
; NumVgprs: 48
; ScratchSize: 0
; MemoryBound: 0
; FloatMode: 240
; IeeeMode: 1
; LDSByteSize: 64 bytes/workgroup (compile time only)
; SGPRBlocks: 5
; VGPRBlocks: 5
; NumSGPRsForWavesPerEU: 45
; NumVGPRsForWavesPerEU: 48
; Occupancy: 16
; WaveLimiterHint : 0
; COMPUTE_PGM_RSRC2:SCRATCH_EN: 0
; COMPUTE_PGM_RSRC2:USER_SGPR: 15
; COMPUTE_PGM_RSRC2:TRAP_HANDLER: 0
; COMPUTE_PGM_RSRC2:TGID_X_EN: 1
; COMPUTE_PGM_RSRC2:TGID_Y_EN: 0
; COMPUTE_PGM_RSRC2:TGID_Z_EN: 0
; COMPUTE_PGM_RSRC2:TIDIG_COMP_CNT: 0
	.section	.text._ZN5aiter36smooth_per_token_scaled_quant_kernelItaLi512ELi16ELb0ELb1ELb0ELi1024EEEvPT0_PfPT_S3_PiS6_iiPKiiiiiiiii,"axG",@progbits,_ZN5aiter36smooth_per_token_scaled_quant_kernelItaLi512ELi16ELb0ELb1ELb0ELi1024EEEvPT0_PfPT_S3_PiS6_iiPKiiiiiiiii,comdat
	.protected	_ZN5aiter36smooth_per_token_scaled_quant_kernelItaLi512ELi16ELb0ELb1ELb0ELi1024EEEvPT0_PfPT_S3_PiS6_iiPKiiiiiiiii ; -- Begin function _ZN5aiter36smooth_per_token_scaled_quant_kernelItaLi512ELi16ELb0ELb1ELb0ELi1024EEEvPT0_PfPT_S3_PiS6_iiPKiiiiiiiii
	.globl	_ZN5aiter36smooth_per_token_scaled_quant_kernelItaLi512ELi16ELb0ELb1ELb0ELi1024EEEvPT0_PfPT_S3_PiS6_iiPKiiiiiiiii
	.p2align	8
	.type	_ZN5aiter36smooth_per_token_scaled_quant_kernelItaLi512ELi16ELb0ELb1ELb0ELi1024EEEvPT0_PfPT_S3_PiS6_iiPKiiiiiiiii,@function
_ZN5aiter36smooth_per_token_scaled_quant_kernelItaLi512ELi16ELb0ELb1ELb0ELi1024EEEvPT0_PfPT_S3_PiS6_iiPKiiiiiiiii: ; @_ZN5aiter36smooth_per_token_scaled_quant_kernelItaLi512ELi16ELb0ELb1ELb0ELi1024EEEvPT0_PfPT_S3_PiS6_iiPKiiiiiiiii
; %bb.0:
	s_clause 0x1
	s_load_b64 s[2:3], s[0:1], 0x38
	s_load_b256 s[4:11], s[0:1], 0x40
	s_waitcnt lgkmcnt(0)
	s_cmp_lg_u64 s[2:3], 0
	s_cbranch_scc0 .LBB131_11
; %bb.1:
	s_load_b32 s2, s[2:3], 0x0
	s_waitcnt lgkmcnt(0)
	s_mul_i32 s4, s2, s4
	s_cbranch_execnz .LBB131_3
.LBB131_2:
	s_mul_i32 s4, s6, s5
.LBB131_3:
	s_load_b64 s[2:3], s[0:1], 0x30
	s_abs_i32 s13, s4
	s_waitcnt lgkmcnt(0)
	s_abs_i32 s5, s2
	s_delay_alu instid0(SALU_CYCLE_1) | instskip(SKIP_1) | instid1(VALU_DEP_1)
	v_cvt_f32_u32_e32 v1, s5
	s_sub_i32 s12, 0, s5
	v_rcp_iflag_f32_e32 v1, v1
	s_waitcnt_depctr 0xfff
	v_mul_f32_e32 v1, 0x4f7ffffe, v1
	s_delay_alu instid0(VALU_DEP_1) | instskip(NEXT) | instid1(VALU_DEP_1)
	v_cvt_u32_f32_e32 v1, v1
	v_readfirstlane_b32 s11, v1
	s_delay_alu instid0(VALU_DEP_1) | instskip(NEXT) | instid1(SALU_CYCLE_1)
	s_mul_i32 s12, s12, s11
	s_mul_hi_u32 s12, s11, s12
	s_delay_alu instid0(SALU_CYCLE_1) | instskip(SKIP_4) | instid1(SALU_CYCLE_1)
	s_add_i32 s11, s11, s12
	s_xor_b32 s12, s4, s2
	s_mul_hi_u32 s11, s13, s11
	s_ashr_i32 s12, s12, 31
	s_mul_i32 s14, s11, s5
	s_sub_i32 s13, s13, s14
	s_add_i32 s14, s11, 1
	s_sub_i32 s16, s13, s5
	s_cmp_ge_u32 s13, s5
	s_cselect_b32 s11, s14, s11
	s_cselect_b32 s13, s16, s13
	s_add_i32 s14, s11, 1
	s_cmp_ge_u32 s13, s5
	s_cselect_b32 s5, s14, s11
	s_delay_alu instid0(SALU_CYCLE_1) | instskip(NEXT) | instid1(SALU_CYCLE_1)
	s_xor_b32 s5, s5, s12
	s_sub_i32 s11, s5, s12
	s_mov_b32 s12, 0
	s_mul_i32 s2, s11, s2
	s_delay_alu instid0(SALU_CYCLE_1) | instskip(NEXT) | instid1(SALU_CYCLE_1)
	s_sub_i32 s4, s4, s2
	s_cmp_lt_u32 s15, s4
	s_cselect_b32 s2, -1, 0
	s_add_i32 s5, s11, 1
	s_cmp_ge_u32 s15, s4
	s_cbranch_scc0 .LBB131_5
; %bb.4:
	s_sub_i32 s13, s15, s4
	s_mul_i32 s4, s4, s5
	s_mul_i32 s13, s13, s11
	s_delay_alu instid0(SALU_CYCLE_1)
	s_add_i32 s4, s13, s4
	s_and_not1_b32 vcc_lo, exec_lo, s12
	s_cbranch_vccz .LBB131_6
	s_branch .LBB131_7
.LBB131_5:
                                        ; implicit-def: $sgpr4
.LBB131_6:
	s_mul_i32 s4, s5, s15
.LBB131_7:
	v_cndmask_b32_e64 v1, 0, 1, s2
	s_delay_alu instid0(VALU_DEP_1) | instskip(NEXT) | instid1(VALU_DEP_1)
	v_readfirstlane_b32 s2, v1
	s_add_i32 s11, s11, s2
	s_delay_alu instid0(SALU_CYCLE_1)
	s_cmp_lt_i32 s11, 1
	s_cbranch_scc1 .LBB131_35
; %bb.8:
	s_load_b64 s[12:13], s[0:1], 0x20
	s_ashr_i32 s5, s4, 31
	v_and_b32_e32 v1, 31, v0
	s_lshl_b64 s[14:15], s[4:5], 2
	s_mov_b32 s41, -1
	v_lshrrev_b32_e32 v3, 3, v0
	s_mov_b32 s23, s41
	v_cmp_eq_u32_e32 vcc_lo, 31, v1
	v_and_b32_e32 v4, 15, v0
	v_lshlrev_b32_e32 v17, 5, v0
	v_lshlrev_b32_e32 v18, 6, v0
	v_and_b32_e32 v19, 0x7c, v3
	v_lshlrev_b32_e32 v21, 4, v0
	v_lshlrev_b32_e32 v20, 2, v4
	s_mov_b32 s34, s3
	s_waitcnt lgkmcnt(0)
	s_add_u32 s20, s12, s14
	s_addc_u32 s2, s13, s15
	s_abs_i32 s33, s6
	s_lshl_b32 s22, s11, 2
	v_cvt_f32_u32_e32 v2, s33
	s_and_b32 s21, s2, 0xffff
	s_load_b256 s[12:19], s[0:1], 0x0
	s_add_i32 s1, s3, 15
	v_cmp_eq_u32_e64 s0, 0, v0
	v_rcp_iflag_f32_e32 v2, v2
	v_lshlrev_b32_e32 v22, 2, v1
	s_ashr_i32 s2, s1, 31
	s_lshl_b32 s26, s3, 1
	s_lshr_b32 s2, s2, 28
	s_lshl_b32 s30, s3, 2
	s_add_i32 s1, s1, s2
	s_ashr_i32 s35, s6, 31
	s_ashr_i32 s1, s1, 4
	s_waitcnt_depctr 0xfff
	v_mul_f32_e32 v1, 0x4f7ffffe, v2
	buffer_load_b32 v16, v22, s[20:23], 0 offen
	s_add_i32 s23, s3, 3
	v_cmp_gt_u32_e64 s1, s1, v0
	s_ashr_i32 s2, s23, 31
	v_cvt_u32_f32_e32 v1, v1
	s_lshr_b32 s2, s2, 30
	s_waitcnt vmcnt(3) expcnt(0) lgkmcnt(55)
	s_add_i32 s23, s23, s2
	s_sub_i32 s2, 0, s33
	v_readfirstlane_b32 s40, v1
	s_and_b32 s38, s23, -4
	s_waitcnt vmcnt(0) lgkmcnt(0)
	s_barrier
	buffer_gl0_inv
	s_mul_i32 s23, s2, s40
	s_delay_alu instid0(SALU_CYCLE_1) | instskip(NEXT) | instid1(SALU_CYCLE_1)
	s_mul_hi_u32 s23, s40, s23
	s_add_i32 s40, s40, s23
	v_readlane_b32 s2, v16, 0
	s_delay_alu instid0(VALU_DEP_1)
	s_cmp_lt_i32 s2, 0
	s_cbranch_scc1 .LBB131_12
; %bb.9:
	s_abs_i32 s23, s4
	s_xor_b32 s5, s5, s35
	s_mul_hi_u32 s24, s23, s40
	s_mov_b32 s31, -1
	s_mul_i32 s25, s24, s33
	s_delay_alu instid0(SALU_CYCLE_1)
	s_sub_i32 s23, s23, s25
	s_add_i32 s25, s24, 1
	s_sub_i32 s27, s23, s33
	s_cmp_ge_u32 s23, s33
	s_cselect_b32 s24, s25, s24
	s_cselect_b32 s23, s27, s23
	s_add_i32 s25, s24, 1
	s_cmp_ge_u32 s23, s33
	s_cselect_b32 s23, s25, s24
	s_delay_alu instid0(SALU_CYCLE_1) | instskip(NEXT) | instid1(SALU_CYCLE_1)
	s_xor_b32 s23, s23, s5
	s_sub_i32 s5, s23, s5
	s_delay_alu instid0(SALU_CYCLE_1) | instskip(SKIP_2) | instid1(SALU_CYCLE_1)
	s_mul_i32 s23, s5, s6
	s_mul_i32 s25, s5, s7
	s_sub_i32 s23, s4, s23
	s_mul_i32 s24, s23, s8
	s_delay_alu instid0(SALU_CYCLE_1) | instskip(NEXT) | instid1(SALU_CYCLE_1)
	s_add_i32 s41, s24, s25
	s_cmp_eq_u32 s41, -1
	s_cbranch_scc1 .LBB131_13
; %bb.10:
	s_mul_hi_i32 s25, s41, s34
	s_mul_i32 s24, s41, s34
	s_mov_b32 s27, s31
	s_lshl_b64 s[24:25], s[24:25], 1
	s_delay_alu instid0(SALU_CYCLE_1) | instskip(SKIP_1) | instid1(SALU_CYCLE_1)
	s_add_u32 s24, s16, s24
	s_addc_u32 s25, s17, s25
	s_and_b32 s25, s25, 0xffff
	s_clause 0x1
	buffer_load_b128 v[0:3], v17, s[24:27], 0 offen
	buffer_load_b128 v[4:7], v17, s[24:27], 16 offen
	s_waitcnt vmcnt(1)
	v_lshrrev_b32_e32 v8, 16, v0
	v_and_b32_e32 v0, 0xffff, v0
	v_lshrrev_b32_e32 v9, 16, v1
	v_and_b32_e32 v10, 0xffff, v1
	;; [unrolled: 2-line block ×4, first 2 shown]
	s_waitcnt vmcnt(0)
	v_lshrrev_b32_e32 v15, 16, v4
	v_and_b32_e32 v23, 0xffff, v4
	v_lshrrev_b32_e32 v24, 16, v5
	v_and_b32_e32 v25, 0xffff, v5
	;; [unrolled: 2-line block ×4, first 2 shown]
	v_cvt_f32_u32_e32 v1, v8
	v_cvt_f32_u32_e32 v0, v0
	;; [unrolled: 1-line block ×16, first 2 shown]
	s_branch .LBB131_14
.LBB131_11:
                                        ; implicit-def: $sgpr4
	s_branch .LBB131_2
.LBB131_12:
                                        ; implicit-def: $vgpr0_vgpr1_vgpr2_vgpr3_vgpr4_vgpr5_vgpr6_vgpr7_vgpr8_vgpr9_vgpr10_vgpr11_vgpr12_vgpr13_vgpr14_vgpr15
	s_cmp_eq_u32 s11, 1
	s_mov_b32 s5, 1
	s_cbranch_scc0 .LBB131_21
	s_branch .LBB131_35
.LBB131_13:
                                        ; implicit-def: $vgpr0_vgpr1_vgpr2_vgpr3_vgpr4_vgpr5_vgpr6_vgpr7_vgpr8_vgpr9_vgpr10_vgpr11_vgpr12_vgpr13_vgpr14_vgpr15
.LBB131_14:
	s_mul_i32 s24, s2, s3
	s_delay_alu instid0(SALU_CYCLE_1) | instskip(NEXT) | instid1(SALU_CYCLE_1)
	s_ashr_i32 s25, s24, 31
	s_lshl_b64 s[24:25], s[24:25], 2
	s_delay_alu instid0(SALU_CYCLE_1) | instskip(SKIP_1) | instid1(SALU_CYCLE_1)
	s_add_u32 s28, s18, s24
	s_addc_u32 s2, s19, s25
	s_and_b32 s29, s2, 0xffff
	s_clause 0x3
	buffer_load_b128 v[23:26], v18, s[28:31], 0 offen
	buffer_load_b128 v[27:30], v18, s[28:31], 16 offen
	;; [unrolled: 1-line block ×4, first 2 shown]
	s_waitcnt vmcnt(3)
	v_dual_mul_f32 v37, v0, v23 :: v_dual_mul_f32 v38, v1, v24
	v_dual_mul_f32 v31, v2, v25 :: v_dual_mul_f32 v32, v3, v26
	s_waitcnt vmcnt(2)
	v_dual_mul_f32 v33, v4, v27 :: v_dual_mul_f32 v34, v5, v28
	s_delay_alu instid0(VALU_DEP_3) | instskip(SKIP_3) | instid1(VALU_DEP_3)
	v_max3_f32 v23, |v37|, 0x2edbe6ff, |v38|
	v_dual_mul_f32 v35, v6, v29 :: v_dual_mul_f32 v36, v7, v30
	s_waitcnt vmcnt(1)
	v_dual_mul_f32 v28, v8, v39 :: v_dual_mul_f32 v29, v9, v40
	v_max3_f32 v23, v23, |v31|, |v32|
	s_waitcnt vmcnt(0)
	v_mul_f32_e32 v26, v12, v43
	v_dual_mul_f32 v30, v13, v44 :: v_dual_mul_f32 v27, v15, v46
	v_mul_f32_e32 v24, v11, v42
	v_max3_f32 v23, v23, |v33|, |v34|
	s_delay_alu instid0(VALU_DEP_1) | instskip(SKIP_1) | instid1(VALU_DEP_2)
	v_max3_f32 v25, v23, |v35|, |v36|
	v_mul_f32_e32 v23, v10, v41
	v_max3_f32 v25, v25, |v28|, |v29|
	s_delay_alu instid0(VALU_DEP_1) | instskip(SKIP_1) | instid1(VALU_DEP_2)
	v_max3_f32 v39, v25, |v23|, |v24|
	v_mul_f32_e32 v25, v14, v45
	v_max3_f32 v39, v39, |v26|, |v30|
	s_delay_alu instid0(VALU_DEP_1) | instskip(NEXT) | instid1(VALU_DEP_1)
	v_max3_f32 v39, v39, |v25|, |v27|
	v_mov_b32_dpp v40, v39 quad_perm:[1,0,3,2] row_mask:0xf bank_mask:0xf
	s_delay_alu instid0(VALU_DEP_1) | instskip(NEXT) | instid1(VALU_DEP_1)
	v_cmp_gt_f32_e64 s2, v39, v40
	v_cndmask_b32_e64 v39, v40, v39, s2
	s_delay_alu instid0(VALU_DEP_1) | instskip(NEXT) | instid1(VALU_DEP_1)
	v_mov_b32_dpp v40, v39 quad_perm:[2,3,0,1] row_mask:0xf bank_mask:0xf
	v_cmp_gt_f32_e64 s2, v39, v40
	s_delay_alu instid0(VALU_DEP_1) | instskip(NEXT) | instid1(VALU_DEP_1)
	v_cndmask_b32_e64 v39, v40, v39, s2
	v_mov_b32_dpp v40, v39 row_xmask:7 row_mask:0xf bank_mask:0xf
	s_delay_alu instid0(VALU_DEP_1) | instskip(NEXT) | instid1(VALU_DEP_1)
	v_cmp_gt_f32_e64 s2, v39, v40
	v_cndmask_b32_e64 v39, v40, v39, s2
	s_delay_alu instid0(VALU_DEP_1) | instskip(NEXT) | instid1(VALU_DEP_1)
	v_mov_b32_dpp v40, v39 row_xmask:15 row_mask:0xf bank_mask:0xf
	v_cmp_gt_f32_e64 s2, v39, v40
	s_and_saveexec_b32 s24, vcc_lo
	s_cbranch_execz .LBB131_16
; %bb.15:
	s_delay_alu instid0(VALU_DEP_1)
	v_cndmask_b32_e64 v39, v40, v39, s2
	s_mov_b32 s2, 0x76543210
	s_delay_alu instid0(VALU_DEP_1) | instid1(SALU_CYCLE_1)
	v_permlanex16_b32 v40, v39, s2, 0xfedcba98 op_sel:[1,1]
	s_delay_alu instid0(VALU_DEP_1) | instskip(NEXT) | instid1(VALU_DEP_1)
	v_cmp_gt_f32_e64 s2, v39, v40
	v_cndmask_b32_e64 v39, v40, v39, s2
	ds_store_b32 v19, v39
.LBB131_16:
	s_or_b32 exec_lo, exec_lo, s24
	s_waitcnt lgkmcnt(0)
	s_barrier
	buffer_gl0_inv
	ds_load_b32 v39, v20
	s_mul_i32 s5, s5, s9
	s_waitcnt lgkmcnt(0)
	v_mov_b32_dpp v40, v39 quad_perm:[1,0,3,2] row_mask:0xf bank_mask:0xf
	s_delay_alu instid0(VALU_DEP_1) | instskip(NEXT) | instid1(VALU_DEP_1)
	v_cmp_gt_f32_e64 s2, v39, v40
	v_cndmask_b32_e64 v39, v40, v39, s2
	s_delay_alu instid0(VALU_DEP_1) | instskip(NEXT) | instid1(VALU_DEP_1)
	v_mov_b32_dpp v40, v39 quad_perm:[2,3,0,1] row_mask:0xf bank_mask:0xf
	v_cmp_gt_f32_e64 s2, v39, v40
	s_delay_alu instid0(VALU_DEP_1) | instskip(NEXT) | instid1(VALU_DEP_1)
	v_cndmask_b32_e64 v39, v40, v39, s2
	v_mov_b32_dpp v40, v39 row_xmask:7 row_mask:0xf bank_mask:0xf
	s_delay_alu instid0(VALU_DEP_1) | instskip(NEXT) | instid1(VALU_DEP_1)
	v_cmp_gt_f32_e64 s2, v39, v40
	v_cndmask_b32_e64 v39, v40, v39, s2
	s_delay_alu instid0(VALU_DEP_1) | instskip(NEXT) | instid1(VALU_DEP_1)
	v_mov_b32_dpp v40, v39 row_xmask:15 row_mask:0xf bank_mask:0xf
	v_cmp_gt_f32_e64 s2, v39, v40
	s_delay_alu instid0(VALU_DEP_1) | instskip(SKIP_1) | instid1(SALU_CYCLE_1)
	v_cndmask_b32_e64 v39, v40, v39, s2
	s_mul_i32 s2, s23, s10
	s_add_i32 s24, s2, s5
	s_delay_alu instid0(VALU_DEP_1)
	v_mul_f32_e32 v39, 0x3c010204, v39
	s_and_saveexec_b32 s2, s0
	s_cbranch_execz .LBB131_18
; %bb.17:
	s_ashr_i32 s25, s24, 31
	v_mov_b32_e32 v40, 0
	s_lshl_b64 s[28:29], s[24:25], 2
	s_delay_alu instid0(SALU_CYCLE_1)
	s_add_u32 s28, s14, s28
	s_addc_u32 s29, s15, s29
	global_store_b32 v40, v39, s[28:29]
.LBB131_18:
	s_or_b32 exec_lo, exec_lo, s2
	s_and_saveexec_b32 s2, s1
	s_cbranch_execz .LBB131_20
; %bb.19:
	v_rcp_f32_e32 v39, v39
	s_mul_i32 s5, s24, s34
	s_mul_hi_i32 s23, s24, s34
	s_add_u32 s36, s12, s5
	s_addc_u32 s5, s13, s23
	s_mov_b32 s39, -1
	s_and_b32 s37, s5, 0xffff
	s_waitcnt_depctr 0xfff
	v_mul_f32_e32 v30, v30, v39
	v_mul_f32_e32 v26, v26, v39
	;; [unrolled: 1-line block ×5, first 2 shown]
	v_cvt_i32_f32_e32 v30, v30
	v_cvt_i32_f32_e32 v26, v26
	v_mul_f32_e32 v37, v37, v39
	v_mul_f32_e32 v25, v25, v39
	v_cvt_i32_f32_e32 v28, v28
	v_lshlrev_b16 v30, 8, v30
	v_and_b32_e32 v26, 0xff, v26
	v_cvt_i32_f32_e32 v27, v27
	v_cvt_i32_f32_e32 v25, v25
	;; [unrolled: 1-line block ×3, first 2 shown]
	v_mul_f32_e32 v38, v38, v39
	v_or_b32_e32 v26, v26, v30
	v_mul_f32_e32 v33, v33, v39
	v_dual_mul_f32 v31, v31, v39 :: v_dual_and_b32 v28, 0xff, v28
	v_lshlrev_b16 v27, 8, v27
	v_and_b32_e32 v25, 0xff, v25
	v_lshlrev_b16 v29, 8, v29
	v_mul_f32_e32 v24, v24, v39
	v_dual_mul_f32 v23, v23, v39 :: v_dual_and_b32 v26, 0xffff, v26
	v_cvt_i32_f32_e32 v33, v33
	v_mul_f32_e32 v34, v34, v39
	v_or_b32_e32 v25, v25, v27
	v_or_b32_e32 v27, v28, v29
	v_cvt_i32_f32_e32 v24, v24
	v_and_b32_e32 v29, 0xff, v33
	v_cvt_i32_f32_e32 v34, v34
	v_cvt_i32_f32_e32 v23, v23
	v_dual_mul_f32 v32, v32, v39 :: v_dual_lshlrev_b32 v25, 16, v25
	v_lshlrev_b16 v24, 8, v24
	s_delay_alu instid0(VALU_DEP_4) | instskip(NEXT) | instid1(VALU_DEP_4)
	v_lshlrev_b16 v28, 8, v34
	v_and_b32_e32 v23, 0xff, v23
	v_cvt_i32_f32_e32 v37, v37
	v_mul_f32_e32 v36, v36, v39
	v_cvt_i32_f32_e32 v38, v38
	v_cvt_i32_f32_e32 v31, v31
	v_or_b32_e32 v23, v23, v24
	v_or_b32_e32 v24, v29, v28
	v_mul_f32_e32 v35, v35, v39
	v_cvt_i32_f32_e32 v32, v32
	v_lshlrev_b16 v34, 8, v38
	v_and_b32_e32 v31, 0xff, v31
	v_and_b32_e32 v24, 0xffff, v24
	v_cvt_i32_f32_e32 v35, v35
	v_lshlrev_b16 v32, 8, v32
	v_and_b32_e32 v27, 0xffff, v27
	v_lshlrev_b32_e32 v23, 16, v23
	v_or_b32_e32 v26, v26, v25
	v_and_b32_e32 v33, 0xff, v35
	v_and_b32_e32 v35, 0xff, v37
	v_cvt_i32_f32_e32 v36, v36
	v_or_b32_e32 v25, v27, v23
	s_delay_alu instid0(VALU_DEP_3) | instskip(NEXT) | instid1(VALU_DEP_3)
	v_or_b32_e32 v29, v35, v34
	v_lshlrev_b16 v30, 8, v36
	s_delay_alu instid0(VALU_DEP_2) | instskip(NEXT) | instid1(VALU_DEP_2)
	v_and_b32_e32 v29, 0xffff, v29
	v_or_b32_e32 v28, v33, v30
	v_or_b32_e32 v30, v31, v32
	s_delay_alu instid0(VALU_DEP_2) | instskip(NEXT) | instid1(VALU_DEP_2)
	v_lshlrev_b32_e32 v28, 16, v28
	v_lshlrev_b32_e32 v30, 16, v30
	s_delay_alu instid0(VALU_DEP_2) | instskip(NEXT) | instid1(VALU_DEP_2)
	v_or_b32_e32 v24, v24, v28
	v_or_b32_e32 v23, v29, v30
	buffer_store_b128 v[23:26], v21, s[36:39], 0 offen
	;;#ASMSTART
	s_nop 0
	;;#ASMEND
.LBB131_20:
	s_or_b32 exec_lo, exec_lo, s2
	s_cmp_eq_u32 s11, 1
	s_mov_b32 s5, 1
	s_cbranch_scc1 .LBB131_35
.LBB131_21:
	v_dual_mov_b32 v23, 0 :: v_dual_add_nc_u32 v22, 4, v22
	s_mov_b32 s31, -1
	s_mov_b32 s42, 0x76543210
	s_branch .LBB131_24
.LBB131_22:                             ;   in Loop: Header=BB131_24 Depth=1
	s_or_b32 exec_lo, exec_lo, s2
.LBB131_23:                             ;   in Loop: Header=BB131_24 Depth=1
	v_add_nc_u32_e32 v22, 4, v22
	s_add_i32 s5, s5, 1
	s_delay_alu instid0(SALU_CYCLE_1)
	s_cmp_eq_u32 s11, s5
	s_cbranch_scc1 .LBB131_35
.LBB131_24:                             ; =>This Inner Loop Header: Depth=1
	s_and_b32 s2, s5, 31
	s_delay_alu instid0(SALU_CYCLE_1)
	s_cmp_lg_u32 s2, 0
	s_cbranch_scc1 .LBB131_26
; %bb.25:                               ;   in Loop: Header=BB131_24 Depth=1
	s_mov_b32 s23, s31
	buffer_load_b32 v16, v22, s[20:23], 0 offen
	s_waitcnt vmcnt(3) expcnt(0) lgkmcnt(55)
.LBB131_26:                             ;   in Loop: Header=BB131_24 Depth=1
	s_waitcnt vmcnt(0)
	v_readlane_b32 s2, v16, s2
	s_delay_alu instid0(VALU_DEP_1)
	s_cmp_lt_i32 s2, 0
	s_cbranch_scc1 .LBB131_23
; %bb.27:                               ;   in Loop: Header=BB131_24 Depth=1
	s_add_i32 s24, s4, s5
	s_delay_alu instid0(SALU_CYCLE_1) | instskip(SKIP_4) | instid1(SALU_CYCLE_1)
	s_abs_i32 s23, s24
	s_ashr_i32 s27, s24, 31
	s_mul_hi_u32 s25, s23, s40
	s_xor_b32 s27, s27, s35
	s_mul_i32 s28, s25, s33
	s_sub_i32 s23, s23, s28
	s_add_i32 s28, s25, 1
	s_sub_i32 s29, s23, s33
	s_cmp_ge_u32 s23, s33
	s_cselect_b32 s25, s28, s25
	s_cselect_b32 s23, s29, s23
	s_add_i32 s28, s25, 1
	s_cmp_ge_u32 s23, s33
	s_cselect_b32 s23, s28, s25
	s_delay_alu instid0(SALU_CYCLE_1) | instskip(NEXT) | instid1(SALU_CYCLE_1)
	s_xor_b32 s23, s23, s27
	s_sub_i32 s23, s23, s27
	s_delay_alu instid0(SALU_CYCLE_1) | instskip(NEXT) | instid1(SALU_CYCLE_1)
	s_mul_i32 s25, s23, s6
	s_sub_i32 s36, s24, s25
	s_mul_i32 s24, s23, s7
	s_mul_i32 s28, s36, s8
	s_delay_alu instid0(SALU_CYCLE_1) | instskip(NEXT) | instid1(SALU_CYCLE_1)
	s_add_i32 s28, s28, s24
	s_cmp_eq_u32 s28, s41
	s_cbranch_scc1 .LBB131_29
; %bb.28:                               ;   in Loop: Header=BB131_24 Depth=1
	s_mul_hi_i32 s25, s28, s34
	s_mul_i32 s24, s28, s34
	s_mov_b32 s27, s31
	s_lshl_b64 s[24:25], s[24:25], 1
	s_mov_b32 s41, s28
	s_add_u32 s24, s16, s24
	s_addc_u32 s25, s17, s25
	s_delay_alu instid0(SALU_CYCLE_1)
	s_and_b32 s25, s25, 0xffff
	s_clause 0x1
	buffer_load_b128 v[0:3], v17, s[24:27], 0 offen
	buffer_load_b128 v[4:7], v17, s[24:27], 16 offen
	s_waitcnt vmcnt(1)
	v_lshrrev_b32_e32 v8, 16, v0
	v_and_b32_e32 v0, 0xffff, v0
	v_lshrrev_b32_e32 v9, 16, v1
	v_and_b32_e32 v10, 0xffff, v1
	;; [unrolled: 2-line block ×4, first 2 shown]
	s_waitcnt vmcnt(0)
	v_lshrrev_b32_e32 v15, 16, v4
	v_and_b32_e32 v24, 0xffff, v4
	v_lshrrev_b32_e32 v25, 16, v5
	v_and_b32_e32 v26, 0xffff, v5
	;; [unrolled: 2-line block ×4, first 2 shown]
	v_cvt_f32_u32_e32 v1, v8
	v_cvt_f32_u32_e32 v0, v0
	;; [unrolled: 1-line block ×16, first 2 shown]
.LBB131_29:                             ;   in Loop: Header=BB131_24 Depth=1
	s_mul_i32 s24, s2, s3
	s_delay_alu instid0(SALU_CYCLE_1) | instskip(NEXT) | instid1(SALU_CYCLE_1)
	s_ashr_i32 s25, s24, 31
	s_lshl_b64 s[24:25], s[24:25], 2
	s_delay_alu instid0(SALU_CYCLE_1) | instskip(SKIP_1) | instid1(SALU_CYCLE_1)
	s_add_u32 s28, s18, s24
	s_addc_u32 s2, s19, s25
	s_and_b32 s29, s2, 0xffff
	s_clause 0x3
	buffer_load_b128 v[24:27], v18, s[28:31], 0 offen
	buffer_load_b128 v[28:31], v18, s[28:31], 16 offen
	;; [unrolled: 1-line block ×4, first 2 shown]
	s_waitcnt vmcnt(3)
	v_dual_mul_f32 v38, v0, v24 :: v_dual_mul_f32 v39, v1, v25
	v_dual_mul_f32 v32, v2, v26 :: v_dual_mul_f32 v33, v3, v27
	s_waitcnt vmcnt(2)
	v_dual_mul_f32 v34, v4, v28 :: v_dual_mul_f32 v35, v5, v29
	s_delay_alu instid0(VALU_DEP_3) | instskip(SKIP_3) | instid1(VALU_DEP_3)
	v_max3_f32 v24, |v38|, 0x2edbe6ff, |v39|
	v_dual_mul_f32 v36, v6, v30 :: v_dual_mul_f32 v37, v7, v31
	s_waitcnt vmcnt(1)
	v_dual_mul_f32 v29, v8, v40 :: v_dual_mul_f32 v30, v9, v41
	v_max3_f32 v24, v24, |v32|, |v33|
	s_waitcnt vmcnt(0)
	v_mul_f32_e32 v27, v12, v44
	v_dual_mul_f32 v31, v13, v45 :: v_dual_mul_f32 v28, v15, v47
	v_mul_f32_e32 v25, v11, v43
	v_max3_f32 v24, v24, |v34|, |v35|
	s_delay_alu instid0(VALU_DEP_1) | instskip(SKIP_1) | instid1(VALU_DEP_2)
	v_max3_f32 v26, v24, |v36|, |v37|
	v_mul_f32_e32 v24, v10, v42
	v_max3_f32 v26, v26, |v29|, |v30|
	s_delay_alu instid0(VALU_DEP_1) | instskip(SKIP_1) | instid1(VALU_DEP_2)
	v_max3_f32 v40, v26, |v24|, |v25|
	v_mul_f32_e32 v26, v14, v46
	v_max3_f32 v40, v40, |v27|, |v31|
	s_delay_alu instid0(VALU_DEP_1) | instskip(NEXT) | instid1(VALU_DEP_1)
	v_max3_f32 v40, v40, |v26|, |v28|
	v_mov_b32_dpp v41, v40 quad_perm:[1,0,3,2] row_mask:0xf bank_mask:0xf
	s_delay_alu instid0(VALU_DEP_1) | instskip(NEXT) | instid1(VALU_DEP_1)
	v_cmp_gt_f32_e64 s2, v40, v41
	v_cndmask_b32_e64 v40, v41, v40, s2
	s_delay_alu instid0(VALU_DEP_1) | instskip(NEXT) | instid1(VALU_DEP_1)
	v_mov_b32_dpp v41, v40 quad_perm:[2,3,0,1] row_mask:0xf bank_mask:0xf
	v_cmp_gt_f32_e64 s2, v40, v41
	s_delay_alu instid0(VALU_DEP_1) | instskip(NEXT) | instid1(VALU_DEP_1)
	v_cndmask_b32_e64 v40, v41, v40, s2
	v_mov_b32_dpp v41, v40 row_xmask:7 row_mask:0xf bank_mask:0xf
	s_delay_alu instid0(VALU_DEP_1) | instskip(NEXT) | instid1(VALU_DEP_1)
	v_cmp_gt_f32_e64 s2, v40, v41
	v_cndmask_b32_e64 v40, v41, v40, s2
	s_delay_alu instid0(VALU_DEP_1) | instskip(NEXT) | instid1(VALU_DEP_1)
	v_mov_b32_dpp v41, v40 row_xmask:15 row_mask:0xf bank_mask:0xf
	v_cmp_gt_f32_e64 s2, v40, v41
	s_and_saveexec_b32 s24, vcc_lo
	s_cbranch_execz .LBB131_31
; %bb.30:                               ;   in Loop: Header=BB131_24 Depth=1
	s_delay_alu instid0(VALU_DEP_1) | instskip(NEXT) | instid1(VALU_DEP_1)
	v_cndmask_b32_e64 v40, v41, v40, s2
	v_permlanex16_b32 v41, v40, s42, 0xfedcba98 op_sel:[1,1]
	s_delay_alu instid0(VALU_DEP_1) | instskip(NEXT) | instid1(VALU_DEP_1)
	v_cmp_gt_f32_e64 s2, v40, v41
	v_cndmask_b32_e64 v40, v41, v40, s2
	ds_store_b32 v19, v40
.LBB131_31:                             ;   in Loop: Header=BB131_24 Depth=1
	s_or_b32 exec_lo, exec_lo, s24
	s_waitcnt lgkmcnt(0)
	s_waitcnt_vscnt null, 0x0
	s_barrier
	buffer_gl0_inv
	ds_load_b32 v40, v20
	s_mul_i32 s23, s23, s9
	s_waitcnt lgkmcnt(0)
	v_mov_b32_dpp v41, v40 quad_perm:[1,0,3,2] row_mask:0xf bank_mask:0xf
	s_delay_alu instid0(VALU_DEP_1) | instskip(NEXT) | instid1(VALU_DEP_1)
	v_cmp_gt_f32_e64 s2, v40, v41
	v_cndmask_b32_e64 v40, v41, v40, s2
	s_delay_alu instid0(VALU_DEP_1) | instskip(NEXT) | instid1(VALU_DEP_1)
	v_mov_b32_dpp v41, v40 quad_perm:[2,3,0,1] row_mask:0xf bank_mask:0xf
	v_cmp_gt_f32_e64 s2, v40, v41
	s_delay_alu instid0(VALU_DEP_1) | instskip(NEXT) | instid1(VALU_DEP_1)
	v_cndmask_b32_e64 v40, v41, v40, s2
	v_mov_b32_dpp v41, v40 row_xmask:7 row_mask:0xf bank_mask:0xf
	s_delay_alu instid0(VALU_DEP_1) | instskip(NEXT) | instid1(VALU_DEP_1)
	v_cmp_gt_f32_e64 s2, v40, v41
	v_cndmask_b32_e64 v40, v41, v40, s2
	s_delay_alu instid0(VALU_DEP_1) | instskip(NEXT) | instid1(VALU_DEP_1)
	v_mov_b32_dpp v41, v40 row_xmask:15 row_mask:0xf bank_mask:0xf
	v_cmp_gt_f32_e64 s2, v40, v41
	s_delay_alu instid0(VALU_DEP_1) | instskip(SKIP_1) | instid1(SALU_CYCLE_1)
	v_cndmask_b32_e64 v40, v41, v40, s2
	s_mul_i32 s2, s36, s10
	s_add_i32 s24, s2, s23
	s_delay_alu instid0(VALU_DEP_1)
	v_mul_f32_e32 v40, 0x3c010204, v40
	s_and_saveexec_b32 s2, s0
	s_cbranch_execz .LBB131_33
; %bb.32:                               ;   in Loop: Header=BB131_24 Depth=1
	s_ashr_i32 s25, s24, 31
	s_delay_alu instid0(SALU_CYCLE_1) | instskip(NEXT) | instid1(SALU_CYCLE_1)
	s_lshl_b64 s[28:29], s[24:25], 2
	s_add_u32 s28, s14, s28
	s_addc_u32 s29, s15, s29
	global_store_b32 v23, v40, s[28:29]
.LBB131_33:                             ;   in Loop: Header=BB131_24 Depth=1
	s_or_b32 exec_lo, exec_lo, s2
	s_and_saveexec_b32 s2, s1
	s_cbranch_execz .LBB131_22
; %bb.34:                               ;   in Loop: Header=BB131_24 Depth=1
	v_rcp_f32_e32 v40, v40
	s_mul_i32 s23, s24, s34
	s_mul_hi_i32 s24, s24, s34
	s_add_u32 s36, s12, s23
	s_addc_u32 s23, s13, s24
	s_mov_b32 s39, s31
	s_and_b32 s37, s23, 0xffff
	s_waitcnt_depctr 0xfff
	v_mul_f32_e32 v31, v31, v40
	v_mul_f32_e32 v27, v27, v40
	;; [unrolled: 1-line block ×5, first 2 shown]
	v_cvt_i32_f32_e32 v31, v31
	v_cvt_i32_f32_e32 v27, v27
	v_mul_f32_e32 v38, v38, v40
	v_mul_f32_e32 v26, v26, v40
	v_cvt_i32_f32_e32 v29, v29
	v_lshlrev_b16 v31, 8, v31
	v_and_b32_e32 v27, 0xff, v27
	v_cvt_i32_f32_e32 v28, v28
	v_cvt_i32_f32_e32 v26, v26
	;; [unrolled: 1-line block ×3, first 2 shown]
	v_mul_f32_e32 v39, v39, v40
	v_or_b32_e32 v27, v27, v31
	v_mul_f32_e32 v34, v34, v40
	v_dual_mul_f32 v32, v32, v40 :: v_dual_and_b32 v29, 0xff, v29
	v_lshlrev_b16 v28, 8, v28
	v_and_b32_e32 v26, 0xff, v26
	v_lshlrev_b16 v30, 8, v30
	v_mul_f32_e32 v25, v25, v40
	v_dual_mul_f32 v24, v24, v40 :: v_dual_and_b32 v27, 0xffff, v27
	v_cvt_i32_f32_e32 v34, v34
	v_mul_f32_e32 v35, v35, v40
	v_or_b32_e32 v26, v26, v28
	v_or_b32_e32 v28, v29, v30
	v_cvt_i32_f32_e32 v25, v25
	v_and_b32_e32 v30, 0xff, v34
	v_cvt_i32_f32_e32 v35, v35
	v_cvt_i32_f32_e32 v24, v24
	v_dual_mul_f32 v33, v33, v40 :: v_dual_lshlrev_b32 v26, 16, v26
	v_lshlrev_b16 v25, 8, v25
	s_delay_alu instid0(VALU_DEP_4) | instskip(NEXT) | instid1(VALU_DEP_4)
	v_lshlrev_b16 v29, 8, v35
	v_and_b32_e32 v24, 0xff, v24
	v_cvt_i32_f32_e32 v38, v38
	v_mul_f32_e32 v37, v37, v40
	v_cvt_i32_f32_e32 v39, v39
	v_cvt_i32_f32_e32 v32, v32
	v_or_b32_e32 v24, v24, v25
	v_or_b32_e32 v25, v30, v29
	v_mul_f32_e32 v36, v36, v40
	v_cvt_i32_f32_e32 v33, v33
	v_lshlrev_b16 v35, 8, v39
	v_and_b32_e32 v32, 0xff, v32
	v_and_b32_e32 v25, 0xffff, v25
	v_cvt_i32_f32_e32 v36, v36
	v_lshlrev_b16 v33, 8, v33
	v_and_b32_e32 v28, 0xffff, v28
	v_lshlrev_b32_e32 v24, 16, v24
	v_or_b32_e32 v27, v27, v26
	v_and_b32_e32 v34, 0xff, v36
	v_and_b32_e32 v36, 0xff, v38
	v_cvt_i32_f32_e32 v37, v37
	v_or_b32_e32 v26, v28, v24
	s_delay_alu instid0(VALU_DEP_3) | instskip(NEXT) | instid1(VALU_DEP_3)
	v_or_b32_e32 v30, v36, v35
	v_lshlrev_b16 v31, 8, v37
	s_delay_alu instid0(VALU_DEP_2) | instskip(NEXT) | instid1(VALU_DEP_2)
	v_and_b32_e32 v30, 0xffff, v30
	v_or_b32_e32 v29, v34, v31
	v_or_b32_e32 v31, v32, v33
	s_delay_alu instid0(VALU_DEP_2) | instskip(NEXT) | instid1(VALU_DEP_2)
	v_lshlrev_b32_e32 v29, 16, v29
	v_lshlrev_b32_e32 v31, 16, v31
	s_delay_alu instid0(VALU_DEP_2) | instskip(NEXT) | instid1(VALU_DEP_2)
	v_or_b32_e32 v25, v25, v29
	v_or_b32_e32 v24, v30, v31
	buffer_store_b128 v[24:27], v21, s[36:39], 0 offen
	;;#ASMSTART
	s_nop 0
	;;#ASMEND
	s_branch .LBB131_22
.LBB131_35:
	s_nop 0
	s_sendmsg sendmsg(MSG_DEALLOC_VGPRS)
	s_endpgm
	.section	.rodata,"a",@progbits
	.p2align	6, 0x0
	.amdhsa_kernel _ZN5aiter36smooth_per_token_scaled_quant_kernelItaLi512ELi16ELb0ELb1ELb0ELi1024EEEvPT0_PfPT_S3_PiS6_iiPKiiiiiiiii
		.amdhsa_group_segment_fixed_size 64
		.amdhsa_private_segment_fixed_size 0
		.amdhsa_kernarg_size 96
		.amdhsa_user_sgpr_count 15
		.amdhsa_user_sgpr_dispatch_ptr 0
		.amdhsa_user_sgpr_queue_ptr 0
		.amdhsa_user_sgpr_kernarg_segment_ptr 1
		.amdhsa_user_sgpr_dispatch_id 0
		.amdhsa_user_sgpr_private_segment_size 0
		.amdhsa_wavefront_size32 1
		.amdhsa_uses_dynamic_stack 0
		.amdhsa_enable_private_segment 0
		.amdhsa_system_sgpr_workgroup_id_x 1
		.amdhsa_system_sgpr_workgroup_id_y 0
		.amdhsa_system_sgpr_workgroup_id_z 0
		.amdhsa_system_sgpr_workgroup_info 0
		.amdhsa_system_vgpr_workitem_id 0
		.amdhsa_next_free_vgpr 48
		.amdhsa_next_free_sgpr 43
		.amdhsa_reserve_vcc 1
		.amdhsa_float_round_mode_32 0
		.amdhsa_float_round_mode_16_64 0
		.amdhsa_float_denorm_mode_32 3
		.amdhsa_float_denorm_mode_16_64 3
		.amdhsa_dx10_clamp 1
		.amdhsa_ieee_mode 1
		.amdhsa_fp16_overflow 0
		.amdhsa_workgroup_processor_mode 1
		.amdhsa_memory_ordered 1
		.amdhsa_forward_progress 0
		.amdhsa_shared_vgpr_count 0
		.amdhsa_exception_fp_ieee_invalid_op 0
		.amdhsa_exception_fp_denorm_src 0
		.amdhsa_exception_fp_ieee_div_zero 0
		.amdhsa_exception_fp_ieee_overflow 0
		.amdhsa_exception_fp_ieee_underflow 0
		.amdhsa_exception_fp_ieee_inexact 0
		.amdhsa_exception_int_div_zero 0
	.end_amdhsa_kernel
	.section	.text._ZN5aiter36smooth_per_token_scaled_quant_kernelItaLi512ELi16ELb0ELb1ELb0ELi1024EEEvPT0_PfPT_S3_PiS6_iiPKiiiiiiiii,"axG",@progbits,_ZN5aiter36smooth_per_token_scaled_quant_kernelItaLi512ELi16ELb0ELb1ELb0ELi1024EEEvPT0_PfPT_S3_PiS6_iiPKiiiiiiiii,comdat
.Lfunc_end131:
	.size	_ZN5aiter36smooth_per_token_scaled_quant_kernelItaLi512ELi16ELb0ELb1ELb0ELi1024EEEvPT0_PfPT_S3_PiS6_iiPKiiiiiiiii, .Lfunc_end131-_ZN5aiter36smooth_per_token_scaled_quant_kernelItaLi512ELi16ELb0ELb1ELb0ELi1024EEEvPT0_PfPT_S3_PiS6_iiPKiiiiiiiii
                                        ; -- End function
	.section	.AMDGPU.csdata,"",@progbits
; Kernel info:
; codeLenInByte = 3556
; NumSgprs: 45
; NumVgprs: 48
; ScratchSize: 0
; MemoryBound: 0
; FloatMode: 240
; IeeeMode: 1
; LDSByteSize: 64 bytes/workgroup (compile time only)
; SGPRBlocks: 5
; VGPRBlocks: 5
; NumSGPRsForWavesPerEU: 45
; NumVGPRsForWavesPerEU: 48
; Occupancy: 16
; WaveLimiterHint : 0
; COMPUTE_PGM_RSRC2:SCRATCH_EN: 0
; COMPUTE_PGM_RSRC2:USER_SGPR: 15
; COMPUTE_PGM_RSRC2:TRAP_HANDLER: 0
; COMPUTE_PGM_RSRC2:TGID_X_EN: 1
; COMPUTE_PGM_RSRC2:TGID_Y_EN: 0
; COMPUTE_PGM_RSRC2:TGID_Z_EN: 0
; COMPUTE_PGM_RSRC2:TIDIG_COMP_CNT: 0
	.section	.text._ZN5aiter36smooth_per_token_scaled_quant_kernelIDF16_aLi512ELi16ELb0ELb0ELb0ELi1024EEEvPT0_PfPT_S3_PiS6_iiPKiiiiiiiii,"axG",@progbits,_ZN5aiter36smooth_per_token_scaled_quant_kernelIDF16_aLi512ELi16ELb0ELb0ELb0ELi1024EEEvPT0_PfPT_S3_PiS6_iiPKiiiiiiiii,comdat
	.protected	_ZN5aiter36smooth_per_token_scaled_quant_kernelIDF16_aLi512ELi16ELb0ELb0ELb0ELi1024EEEvPT0_PfPT_S3_PiS6_iiPKiiiiiiiii ; -- Begin function _ZN5aiter36smooth_per_token_scaled_quant_kernelIDF16_aLi512ELi16ELb0ELb0ELb0ELi1024EEEvPT0_PfPT_S3_PiS6_iiPKiiiiiiiii
	.globl	_ZN5aiter36smooth_per_token_scaled_quant_kernelIDF16_aLi512ELi16ELb0ELb0ELb0ELi1024EEEvPT0_PfPT_S3_PiS6_iiPKiiiiiiiii
	.p2align	8
	.type	_ZN5aiter36smooth_per_token_scaled_quant_kernelIDF16_aLi512ELi16ELb0ELb0ELb0ELi1024EEEvPT0_PfPT_S3_PiS6_iiPKiiiiiiiii,@function
_ZN5aiter36smooth_per_token_scaled_quant_kernelIDF16_aLi512ELi16ELb0ELb0ELb0ELi1024EEEvPT0_PfPT_S3_PiS6_iiPKiiiiiiiii: ; @_ZN5aiter36smooth_per_token_scaled_quant_kernelIDF16_aLi512ELi16ELb0ELb0ELb0ELi1024EEEvPT0_PfPT_S3_PiS6_iiPKiiiiiiiii
; %bb.0:
	s_clause 0x1
	s_load_b64 s[2:3], s[0:1], 0x38
	s_load_b256 s[4:11], s[0:1], 0x40
	s_waitcnt lgkmcnt(0)
	s_cmp_lg_u64 s[2:3], 0
	s_cbranch_scc0 .LBB132_19
; %bb.1:
	s_load_b32 s2, s[2:3], 0x0
	s_waitcnt lgkmcnt(0)
	s_mul_i32 s4, s2, s4
	s_cbranch_execnz .LBB132_3
.LBB132_2:
	s_mul_i32 s4, s6, s5
.LBB132_3:
	s_load_b64 s[2:3], s[0:1], 0x30
	s_abs_i32 s13, s4
	s_waitcnt lgkmcnt(0)
	s_abs_i32 s5, s2
	s_delay_alu instid0(SALU_CYCLE_1) | instskip(SKIP_1) | instid1(VALU_DEP_1)
	v_cvt_f32_u32_e32 v1, s5
	s_sub_i32 s12, 0, s5
	v_rcp_iflag_f32_e32 v1, v1
	s_waitcnt_depctr 0xfff
	v_mul_f32_e32 v1, 0x4f7ffffe, v1
	s_delay_alu instid0(VALU_DEP_1) | instskip(NEXT) | instid1(VALU_DEP_1)
	v_cvt_u32_f32_e32 v1, v1
	v_readfirstlane_b32 s11, v1
	s_delay_alu instid0(VALU_DEP_1) | instskip(NEXT) | instid1(SALU_CYCLE_1)
	s_mul_i32 s12, s12, s11
	s_mul_hi_u32 s12, s11, s12
	s_delay_alu instid0(SALU_CYCLE_1) | instskip(SKIP_4) | instid1(SALU_CYCLE_1)
	s_add_i32 s11, s11, s12
	s_xor_b32 s12, s4, s2
	s_mul_hi_u32 s11, s13, s11
	s_ashr_i32 s12, s12, 31
	s_mul_i32 s14, s11, s5
	s_sub_i32 s13, s13, s14
	s_add_i32 s14, s11, 1
	s_sub_i32 s16, s13, s5
	s_cmp_ge_u32 s13, s5
	s_cselect_b32 s11, s14, s11
	s_cselect_b32 s13, s16, s13
	s_add_i32 s14, s11, 1
	s_cmp_ge_u32 s13, s5
	s_cselect_b32 s5, s14, s11
	s_delay_alu instid0(SALU_CYCLE_1) | instskip(NEXT) | instid1(SALU_CYCLE_1)
	s_xor_b32 s5, s5, s12
	s_sub_i32 s5, s5, s12
	s_mov_b32 s12, 0
	s_mul_i32 s2, s5, s2
	s_delay_alu instid0(SALU_CYCLE_1) | instskip(NEXT) | instid1(SALU_CYCLE_1)
	s_sub_i32 s4, s4, s2
	s_cmp_lt_u32 s15, s4
	s_cselect_b32 s2, -1, 0
	s_add_i32 s11, s5, 1
	s_cmp_ge_u32 s15, s4
	s_cbranch_scc0 .LBB132_5
; %bb.4:
	s_sub_i32 s13, s15, s4
	s_mul_i32 s4, s4, s11
	s_mul_i32 s13, s13, s5
	s_delay_alu instid0(SALU_CYCLE_1)
	s_add_i32 s4, s13, s4
	s_and_not1_b32 vcc_lo, exec_lo, s12
	s_cbranch_vccz .LBB132_6
	s_branch .LBB132_7
.LBB132_5:
                                        ; implicit-def: $sgpr4
.LBB132_6:
	s_mul_i32 s4, s11, s15
.LBB132_7:
	v_cndmask_b32_e64 v1, 0, 1, s2
	s_delay_alu instid0(VALU_DEP_1) | instskip(NEXT) | instid1(VALU_DEP_1)
	v_readfirstlane_b32 s2, v1
	s_add_i32 s5, s5, s2
	s_delay_alu instid0(SALU_CYCLE_1)
	s_cmp_lt_i32 s5, 1
	s_cbranch_scc1 .LBB132_18
; %bb.8:
	s_abs_i32 s33, s6
	s_load_b256 s[12:19], s[0:1], 0x0
	v_cvt_f32_u32_e32 v3, s33
	s_add_i32 s1, s3, 15
	s_mov_b32 s11, s3
	s_ashr_i32 s2, s1, 31
	s_lshl_b32 s22, s3, 1
	v_rcp_iflag_f32_e32 v5, v3
	v_lshlrev_b32_e32 v2, 6, v0
	s_lshl_b32 s26, s3, 2
	s_lshr_b32 s2, s2, 28
	s_add_i32 s3, s3, 3
	s_add_i32 s1, s1, s2
	s_ashr_i32 s2, s3, 31
	v_and_b32_e32 v3, 31, v0
	v_lshrrev_b32_e32 v4, 3, v0
	s_waitcnt_depctr 0xfff
	v_dual_mul_f32 v5, 0x4f7ffffe, v5 :: v_dual_and_b32 v6, 15, v0
	s_lshr_b32 s2, s2, 30
	s_ashr_i32 s1, s1, 4
	s_add_i32 s3, s3, s2
	s_sub_i32 s2, 0, s33
	v_cvt_u32_f32_e32 v5, v5
	v_lshlrev_b32_e32 v1, 5, v0
	v_cmp_eq_u32_e32 vcc_lo, 31, v3
	v_and_b32_e32 v3, 0x7c, v4
	v_cmp_eq_u32_e64 s0, 0, v0
	v_readfirstlane_b32 s20, v5
	v_dual_mov_b32 v5, 0 :: v_dual_lshlrev_b32 v4, 2, v6
	v_cmp_gt_u32_e64 s1, s1, v0
	v_lshlrev_b32_e32 v0, 4, v0
	s_delay_alu instid0(VALU_DEP_4)
	s_mul_i32 s2, s2, s20
	s_mov_b32 s23, -1
	s_waitcnt lgkmcnt(0)
	s_and_b32 s19, s19, 0xffff
	s_mul_hi_u32 s2, s20, s2
	s_mov_b32 s27, s23
	s_and_b32 s30, s3, -4
	s_ashr_i32 s34, s6, 31
	s_add_i32 s35, s20, s2
	s_mov_b32 s24, s18
	s_mov_b32 s25, s19
	;; [unrolled: 1-line block ×4, first 2 shown]
                                        ; implicit-def: $vgpr6
                                        ; implicit-def: $vgpr11
                                        ; implicit-def: $vgpr7
                                        ; implicit-def: $vgpr13
                                        ; implicit-def: $vgpr8
                                        ; implicit-def: $vgpr14
                                        ; implicit-def: $vgpr9
                                        ; implicit-def: $vgpr16
                                        ; implicit-def: $vgpr10
                                        ; implicit-def: $vgpr18
                                        ; implicit-def: $vgpr12
                                        ; implicit-def: $vgpr19
                                        ; implicit-def: $vgpr15
                                        ; implicit-def: $vgpr20
                                        ; implicit-def: $vgpr17
                                        ; implicit-def: $vgpr21
	s_branch .LBB132_10
.LBB132_9:                              ;   in Loop: Header=BB132_10 Depth=1
	s_or_b32 exec_lo, exec_lo, s3
	s_add_i32 s5, s5, -1
	s_add_i32 s4, s4, 1
	s_cmp_eq_u32 s5, 0
	s_cbranch_scc1 .LBB132_18
.LBB132_10:                             ; =>This Inner Loop Header: Depth=1
	s_abs_i32 s2, s4
	s_ashr_i32 s20, s4, 31
	s_mul_hi_u32 s3, s2, s35
	s_xor_b32 s20, s20, s34
	s_mul_i32 s21, s3, s33
	s_delay_alu instid0(SALU_CYCLE_1)
	s_sub_i32 s2, s2, s21
	s_add_i32 s21, s3, 1
	s_sub_i32 s28, s2, s33
	s_cmp_ge_u32 s2, s33
	s_cselect_b32 s3, s21, s3
	s_cselect_b32 s2, s28, s2
	s_add_i32 s21, s3, 1
	s_cmp_ge_u32 s2, s33
	s_cselect_b32 s2, s21, s3
	s_delay_alu instid0(SALU_CYCLE_1) | instskip(NEXT) | instid1(SALU_CYCLE_1)
	s_xor_b32 s2, s2, s20
	s_sub_i32 s3, s2, s20
	s_delay_alu instid0(SALU_CYCLE_1) | instskip(SKIP_2) | instid1(SALU_CYCLE_1)
	s_mul_i32 s2, s3, s6
	s_mul_i32 s20, s3, s7
	s_sub_i32 s28, s4, s2
	s_mul_i32 s2, s28, s8
	s_delay_alu instid0(SALU_CYCLE_1) | instskip(NEXT) | instid1(SALU_CYCLE_1)
	s_add_i32 s2, s2, s20
	s_cmp_eq_u32 s2, s19
	s_cbranch_scc1 .LBB132_12
; %bb.11:                               ;   in Loop: Header=BB132_10 Depth=1
	s_mul_hi_i32 s21, s2, s11
	s_mul_i32 s20, s2, s11
	s_delay_alu instid0(SALU_CYCLE_1) | instskip(NEXT) | instid1(SALU_CYCLE_1)
	s_lshl_b64 s[20:21], s[20:21], 1
	s_add_u32 s20, s16, s20
	s_addc_u32 s19, s17, s21
	s_delay_alu instid0(SALU_CYCLE_1)
	s_and_b32 s21, s19, 0xffff
	s_clause 0x1
	buffer_load_b128 v[7:10], v1, s[20:23], 0 offen
	buffer_load_b128 v[15:18], v1, s[20:23], 16 offen
	s_mov_b32 s19, s2
	s_waitcnt vmcnt(1)
	v_lshrrev_b32_e32 v11, 16, v7
	v_lshrrev_b32_e32 v13, 16, v8
	;; [unrolled: 1-line block ×4, first 2 shown]
	s_waitcnt vmcnt(0)
	v_lshrrev_b32_e32 v20, 16, v15
	v_lshrrev_b32_e32 v21, 16, v16
	;; [unrolled: 1-line block ×4, first 2 shown]
	v_cvt_f32_f16_e32 v6, v7
	v_cvt_f32_f16_e32 v7, v8
	;; [unrolled: 1-line block ×16, first 2 shown]
.LBB132_12:                             ;   in Loop: Header=BB132_10 Depth=1
	s_clause 0x3
	buffer_load_b128 v[22:25], v2, s[24:27], 0 offen
	buffer_load_b128 v[26:29], v2, s[24:27], 16 offen
	;; [unrolled: 1-line block ×4, first 2 shown]
	s_waitcnt vmcnt(3)
	v_dual_mul_f32 v36, v6, v22 :: v_dual_mul_f32 v37, v11, v23
	v_dual_mul_f32 v30, v7, v24 :: v_dual_mul_f32 v31, v13, v25
	s_waitcnt vmcnt(2)
	v_dual_mul_f32 v32, v8, v26 :: v_dual_mul_f32 v33, v14, v27
	s_delay_alu instid0(VALU_DEP_3) | instskip(SKIP_3) | instid1(VALU_DEP_3)
	v_max3_f32 v22, |v36|, 0x2edbe6ff, |v37|
	v_dual_mul_f32 v34, v9, v28 :: v_dual_mul_f32 v35, v16, v29
	s_waitcnt vmcnt(1)
	v_dual_mul_f32 v26, v10, v38 :: v_dual_mul_f32 v23, v19, v41
	v_max3_f32 v22, v22, |v30|, |v31|
	v_mul_f32_e32 v27, v18, v39
	s_waitcnt vmcnt(0)
	v_dual_mul_f32 v25, v15, v42 :: v_dual_mul_f32 v28, v20, v43
	v_mul_f32_e32 v29, v21, v45
	v_max3_f32 v22, v22, |v32|, |v33|
	s_delay_alu instid0(VALU_DEP_1) | instskip(SKIP_1) | instid1(VALU_DEP_2)
	v_max3_f32 v24, v22, |v34|, |v35|
	v_mul_f32_e32 v22, v12, v40
	v_max3_f32 v24, v24, |v26|, |v27|
	s_delay_alu instid0(VALU_DEP_1) | instskip(SKIP_1) | instid1(VALU_DEP_2)
	v_max3_f32 v38, v24, |v22|, |v23|
	v_mul_f32_e32 v24, v17, v44
	v_max3_f32 v38, v38, |v25|, |v28|
	s_delay_alu instid0(VALU_DEP_1) | instskip(NEXT) | instid1(VALU_DEP_1)
	v_max3_f32 v38, v38, |v24|, |v29|
	v_mov_b32_dpp v39, v38 quad_perm:[1,0,3,2] row_mask:0xf bank_mask:0xf
	s_delay_alu instid0(VALU_DEP_1) | instskip(NEXT) | instid1(VALU_DEP_1)
	v_cmp_gt_f32_e64 s2, v38, v39
	v_cndmask_b32_e64 v38, v39, v38, s2
	s_delay_alu instid0(VALU_DEP_1) | instskip(NEXT) | instid1(VALU_DEP_1)
	v_mov_b32_dpp v39, v38 quad_perm:[2,3,0,1] row_mask:0xf bank_mask:0xf
	v_cmp_gt_f32_e64 s2, v38, v39
	s_delay_alu instid0(VALU_DEP_1) | instskip(NEXT) | instid1(VALU_DEP_1)
	v_cndmask_b32_e64 v38, v39, v38, s2
	v_mov_b32_dpp v39, v38 row_xmask:7 row_mask:0xf bank_mask:0xf
	s_delay_alu instid0(VALU_DEP_1) | instskip(NEXT) | instid1(VALU_DEP_1)
	v_cmp_gt_f32_e64 s2, v38, v39
	v_cndmask_b32_e64 v38, v39, v38, s2
	s_delay_alu instid0(VALU_DEP_1) | instskip(NEXT) | instid1(VALU_DEP_1)
	v_mov_b32_dpp v39, v38 row_xmask:15 row_mask:0xf bank_mask:0xf
	v_cmp_gt_f32_e64 s2, v38, v39
	s_and_saveexec_b32 s20, vcc_lo
	s_cbranch_execz .LBB132_14
; %bb.13:                               ;   in Loop: Header=BB132_10 Depth=1
	s_delay_alu instid0(VALU_DEP_1) | instskip(NEXT) | instid1(VALU_DEP_1)
	v_cndmask_b32_e64 v38, v39, v38, s2
	v_permlanex16_b32 v39, v38, s18, 0xfedcba98 op_sel:[1,1]
	s_delay_alu instid0(VALU_DEP_1) | instskip(NEXT) | instid1(VALU_DEP_1)
	v_cmp_gt_f32_e64 s2, v38, v39
	v_cndmask_b32_e64 v38, v39, v38, s2
	ds_store_b32 v3, v38
.LBB132_14:                             ;   in Loop: Header=BB132_10 Depth=1
	s_or_b32 exec_lo, exec_lo, s20
	s_waitcnt lgkmcnt(0)
	s_waitcnt_vscnt null, 0x0
	s_barrier
	buffer_gl0_inv
	ds_load_b32 v38, v4
	s_mul_i32 s3, s3, s9
	s_waitcnt lgkmcnt(0)
	v_mov_b32_dpp v39, v38 quad_perm:[1,0,3,2] row_mask:0xf bank_mask:0xf
	s_delay_alu instid0(VALU_DEP_1) | instskip(NEXT) | instid1(VALU_DEP_1)
	v_cmp_gt_f32_e64 s2, v38, v39
	v_cndmask_b32_e64 v38, v39, v38, s2
	s_delay_alu instid0(VALU_DEP_1) | instskip(NEXT) | instid1(VALU_DEP_1)
	v_mov_b32_dpp v39, v38 quad_perm:[2,3,0,1] row_mask:0xf bank_mask:0xf
	v_cmp_gt_f32_e64 s2, v38, v39
	s_delay_alu instid0(VALU_DEP_1) | instskip(NEXT) | instid1(VALU_DEP_1)
	v_cndmask_b32_e64 v38, v39, v38, s2
	v_mov_b32_dpp v39, v38 row_xmask:7 row_mask:0xf bank_mask:0xf
	s_delay_alu instid0(VALU_DEP_1) | instskip(NEXT) | instid1(VALU_DEP_1)
	v_cmp_gt_f32_e64 s2, v38, v39
	v_cndmask_b32_e64 v38, v39, v38, s2
	s_delay_alu instid0(VALU_DEP_1) | instskip(NEXT) | instid1(VALU_DEP_1)
	v_mov_b32_dpp v39, v38 row_xmask:15 row_mask:0xf bank_mask:0xf
	v_cmp_gt_f32_e64 s2, v38, v39
	s_delay_alu instid0(VALU_DEP_1) | instskip(SKIP_1) | instid1(SALU_CYCLE_1)
	v_cndmask_b32_e64 v38, v39, v38, s2
	s_mul_i32 s2, s28, s10
	s_add_i32 s2, s2, s3
	s_delay_alu instid0(VALU_DEP_1)
	v_mul_f32_e32 v38, 0x3c010204, v38
	s_and_saveexec_b32 s20, s0
	s_cbranch_execz .LBB132_16
; %bb.15:                               ;   in Loop: Header=BB132_10 Depth=1
	s_ashr_i32 s3, s2, 31
	s_delay_alu instid0(SALU_CYCLE_1) | instskip(NEXT) | instid1(SALU_CYCLE_1)
	s_lshl_b64 s[28:29], s[2:3], 2
	s_add_u32 s28, s14, s28
	s_addc_u32 s29, s15, s29
	global_store_b32 v5, v38, s[28:29]
.LBB132_16:                             ;   in Loop: Header=BB132_10 Depth=1
	s_or_b32 exec_lo, exec_lo, s20
	s_and_saveexec_b32 s3, s1
	s_cbranch_execz .LBB132_9
; %bb.17:                               ;   in Loop: Header=BB132_10 Depth=1
	v_rcp_f32_e32 v38, v38
	s_mul_i32 s20, s2, s11
	s_mul_hi_i32 s2, s2, s11
	s_add_u32 s28, s12, s20
	s_addc_u32 s2, s13, s2
	s_mov_b32 s31, s23
	s_and_b32 s29, s2, 0xffff
	s_waitcnt_depctr 0xfff
	v_mul_f32_e32 v28, v28, v38
	v_mul_f32_e32 v25, v25, v38
	;; [unrolled: 1-line block ×5, first 2 shown]
	v_cvt_i32_f32_e32 v28, v28
	v_cvt_i32_f32_e32 v25, v25
	;; [unrolled: 1-line block ×4, first 2 shown]
	v_mul_f32_e32 v36, v36, v38
	v_mul_f32_e32 v37, v37, v38
	;; [unrolled: 1-line block ×5, first 2 shown]
	v_lshlrev_b16 v28, 8, v28
	v_and_b32_e32 v25, 0xff, v25
	v_lshlrev_b16 v29, 8, v29
	v_and_b32_e32 v24, 0xff, v24
	v_cvt_i32_f32_e32 v36, v36
	v_mul_f32_e32 v35, v35, v38
	v_cvt_i32_f32_e32 v32, v32
	v_mul_f32_e32 v33, v33, v38
	v_cvt_i32_f32_e32 v34, v34
	v_cvt_i32_f32_e32 v26, v26
	v_cvt_i32_f32_e32 v27, v27
	v_mul_f32_e32 v23, v23, v38
	v_mul_f32_e32 v22, v22, v38
	v_or_b32_e32 v25, v25, v28
	v_and_b32_e32 v28, 0xff, v32
	v_mul_f32_e32 v30, v30, v38
	v_or_b32_e32 v24, v24, v29
	v_mul_f32_e32 v31, v31, v38
	v_cvt_i32_f32_e32 v37, v37
	v_cvt_i32_f32_e32 v33, v33
	v_lshlrev_b16 v27, 8, v27
	v_lshlrev_b32_e32 v24, 16, v24
	v_cvt_i32_f32_e32 v31, v31
	v_and_b32_e32 v26, 0xff, v26
	v_cvt_i32_f32_e32 v23, v23
	v_cvt_i32_f32_e32 v22, v22
	v_and_b32_e32 v25, 0xffff, v25
	v_cvt_i32_f32_e32 v30, v30
	v_and_b32_e32 v32, 0xff, v34
	v_and_b32_e32 v34, 0xff, v36
	v_cvt_i32_f32_e32 v35, v35
	v_or_b32_e32 v26, v26, v27
	v_lshlrev_b16 v23, 8, v23
	v_and_b32_e32 v22, 0xff, v22
	v_lshlrev_b16 v27, 8, v33
	v_lshlrev_b16 v29, 8, v35
	;; [unrolled: 1-line block ×4, first 2 shown]
	v_and_b32_e32 v30, 0xff, v30
	v_or_b32_e32 v22, v22, v23
	v_or_b32_e32 v23, v28, v27
	;; [unrolled: 1-line block ×5, first 2 shown]
	v_and_b32_e32 v26, 0xffff, v26
	v_lshlrev_b32_e32 v22, 16, v22
	v_and_b32_e32 v23, 0xffff, v23
	v_lshlrev_b32_e32 v27, 16, v27
	v_and_b32_e32 v28, 0xffff, v28
	v_lshlrev_b32_e32 v29, 16, v29
	v_or_b32_e32 v25, v25, v24
	v_or_b32_e32 v24, v26, v22
	;; [unrolled: 1-line block ×3, first 2 shown]
	s_delay_alu instid0(VALU_DEP_4)
	v_or_b32_e32 v22, v28, v29
	buffer_store_b128 v[22:25], v0, s[28:31], 0 offen
	;;#ASMSTART
	s_nop 0
	;;#ASMEND
	s_branch .LBB132_9
.LBB132_18:
	s_nop 0
	s_sendmsg sendmsg(MSG_DEALLOC_VGPRS)
	s_endpgm
.LBB132_19:
                                        ; implicit-def: $sgpr4
	s_branch .LBB132_2
	.section	.rodata,"a",@progbits
	.p2align	6, 0x0
	.amdhsa_kernel _ZN5aiter36smooth_per_token_scaled_quant_kernelIDF16_aLi512ELi16ELb0ELb0ELb0ELi1024EEEvPT0_PfPT_S3_PiS6_iiPKiiiiiiiii
		.amdhsa_group_segment_fixed_size 64
		.amdhsa_private_segment_fixed_size 0
		.amdhsa_kernarg_size 96
		.amdhsa_user_sgpr_count 15
		.amdhsa_user_sgpr_dispatch_ptr 0
		.amdhsa_user_sgpr_queue_ptr 0
		.amdhsa_user_sgpr_kernarg_segment_ptr 1
		.amdhsa_user_sgpr_dispatch_id 0
		.amdhsa_user_sgpr_private_segment_size 0
		.amdhsa_wavefront_size32 1
		.amdhsa_uses_dynamic_stack 0
		.amdhsa_enable_private_segment 0
		.amdhsa_system_sgpr_workgroup_id_x 1
		.amdhsa_system_sgpr_workgroup_id_y 0
		.amdhsa_system_sgpr_workgroup_id_z 0
		.amdhsa_system_sgpr_workgroup_info 0
		.amdhsa_system_vgpr_workitem_id 0
		.amdhsa_next_free_vgpr 46
		.amdhsa_next_free_sgpr 36
		.amdhsa_reserve_vcc 1
		.amdhsa_float_round_mode_32 0
		.amdhsa_float_round_mode_16_64 0
		.amdhsa_float_denorm_mode_32 3
		.amdhsa_float_denorm_mode_16_64 3
		.amdhsa_dx10_clamp 1
		.amdhsa_ieee_mode 1
		.amdhsa_fp16_overflow 0
		.amdhsa_workgroup_processor_mode 1
		.amdhsa_memory_ordered 1
		.amdhsa_forward_progress 0
		.amdhsa_shared_vgpr_count 0
		.amdhsa_exception_fp_ieee_invalid_op 0
		.amdhsa_exception_fp_denorm_src 0
		.amdhsa_exception_fp_ieee_div_zero 0
		.amdhsa_exception_fp_ieee_overflow 0
		.amdhsa_exception_fp_ieee_underflow 0
		.amdhsa_exception_fp_ieee_inexact 0
		.amdhsa_exception_int_div_zero 0
	.end_amdhsa_kernel
	.section	.text._ZN5aiter36smooth_per_token_scaled_quant_kernelIDF16_aLi512ELi16ELb0ELb0ELb0ELi1024EEEvPT0_PfPT_S3_PiS6_iiPKiiiiiiiii,"axG",@progbits,_ZN5aiter36smooth_per_token_scaled_quant_kernelIDF16_aLi512ELi16ELb0ELb0ELb0ELi1024EEEvPT0_PfPT_S3_PiS6_iiPKiiiiiiiii,comdat
.Lfunc_end132:
	.size	_ZN5aiter36smooth_per_token_scaled_quant_kernelIDF16_aLi512ELi16ELb0ELb0ELb0ELi1024EEEvPT0_PfPT_S3_PiS6_iiPKiiiiiiiii, .Lfunc_end132-_ZN5aiter36smooth_per_token_scaled_quant_kernelIDF16_aLi512ELi16ELb0ELb0ELb0ELi1024EEEvPT0_PfPT_S3_PiS6_iiPKiiiiiiiii
                                        ; -- End function
	.section	.AMDGPU.csdata,"",@progbits
; Kernel info:
; codeLenInByte = 1852
; NumSgprs: 38
; NumVgprs: 46
; ScratchSize: 0
; MemoryBound: 0
; FloatMode: 240
; IeeeMode: 1
; LDSByteSize: 64 bytes/workgroup (compile time only)
; SGPRBlocks: 4
; VGPRBlocks: 5
; NumSGPRsForWavesPerEU: 38
; NumVGPRsForWavesPerEU: 46
; Occupancy: 16
; WaveLimiterHint : 0
; COMPUTE_PGM_RSRC2:SCRATCH_EN: 0
; COMPUTE_PGM_RSRC2:USER_SGPR: 15
; COMPUTE_PGM_RSRC2:TRAP_HANDLER: 0
; COMPUTE_PGM_RSRC2:TGID_X_EN: 1
; COMPUTE_PGM_RSRC2:TGID_Y_EN: 0
; COMPUTE_PGM_RSRC2:TGID_Z_EN: 0
; COMPUTE_PGM_RSRC2:TIDIG_COMP_CNT: 0
	.section	.text._ZN5aiter36smooth_per_token_scaled_quant_kernelItaLi512ELi16ELb0ELb0ELb0ELi1024EEEvPT0_PfPT_S3_PiS6_iiPKiiiiiiiii,"axG",@progbits,_ZN5aiter36smooth_per_token_scaled_quant_kernelItaLi512ELi16ELb0ELb0ELb0ELi1024EEEvPT0_PfPT_S3_PiS6_iiPKiiiiiiiii,comdat
	.protected	_ZN5aiter36smooth_per_token_scaled_quant_kernelItaLi512ELi16ELb0ELb0ELb0ELi1024EEEvPT0_PfPT_S3_PiS6_iiPKiiiiiiiii ; -- Begin function _ZN5aiter36smooth_per_token_scaled_quant_kernelItaLi512ELi16ELb0ELb0ELb0ELi1024EEEvPT0_PfPT_S3_PiS6_iiPKiiiiiiiii
	.globl	_ZN5aiter36smooth_per_token_scaled_quant_kernelItaLi512ELi16ELb0ELb0ELb0ELi1024EEEvPT0_PfPT_S3_PiS6_iiPKiiiiiiiii
	.p2align	8
	.type	_ZN5aiter36smooth_per_token_scaled_quant_kernelItaLi512ELi16ELb0ELb0ELb0ELi1024EEEvPT0_PfPT_S3_PiS6_iiPKiiiiiiiii,@function
_ZN5aiter36smooth_per_token_scaled_quant_kernelItaLi512ELi16ELb0ELb0ELb0ELi1024EEEvPT0_PfPT_S3_PiS6_iiPKiiiiiiiii: ; @_ZN5aiter36smooth_per_token_scaled_quant_kernelItaLi512ELi16ELb0ELb0ELb0ELi1024EEEvPT0_PfPT_S3_PiS6_iiPKiiiiiiiii
; %bb.0:
	s_clause 0x1
	s_load_b64 s[2:3], s[0:1], 0x38
	s_load_b256 s[4:11], s[0:1], 0x40
	s_waitcnt lgkmcnt(0)
	s_cmp_lg_u64 s[2:3], 0
	s_cbranch_scc0 .LBB133_19
; %bb.1:
	s_load_b32 s2, s[2:3], 0x0
	s_waitcnt lgkmcnt(0)
	s_mul_i32 s4, s2, s4
	s_cbranch_execnz .LBB133_3
.LBB133_2:
	s_mul_i32 s4, s6, s5
.LBB133_3:
	s_load_b64 s[2:3], s[0:1], 0x30
	s_abs_i32 s13, s4
	s_waitcnt lgkmcnt(0)
	s_abs_i32 s5, s2
	s_delay_alu instid0(SALU_CYCLE_1) | instskip(SKIP_1) | instid1(VALU_DEP_1)
	v_cvt_f32_u32_e32 v1, s5
	s_sub_i32 s12, 0, s5
	v_rcp_iflag_f32_e32 v1, v1
	s_waitcnt_depctr 0xfff
	v_mul_f32_e32 v1, 0x4f7ffffe, v1
	s_delay_alu instid0(VALU_DEP_1) | instskip(NEXT) | instid1(VALU_DEP_1)
	v_cvt_u32_f32_e32 v1, v1
	v_readfirstlane_b32 s11, v1
	s_delay_alu instid0(VALU_DEP_1) | instskip(NEXT) | instid1(SALU_CYCLE_1)
	s_mul_i32 s12, s12, s11
	s_mul_hi_u32 s12, s11, s12
	s_delay_alu instid0(SALU_CYCLE_1) | instskip(SKIP_4) | instid1(SALU_CYCLE_1)
	s_add_i32 s11, s11, s12
	s_xor_b32 s12, s4, s2
	s_mul_hi_u32 s11, s13, s11
	s_ashr_i32 s12, s12, 31
	s_mul_i32 s14, s11, s5
	s_sub_i32 s13, s13, s14
	s_add_i32 s14, s11, 1
	s_sub_i32 s16, s13, s5
	s_cmp_ge_u32 s13, s5
	s_cselect_b32 s11, s14, s11
	s_cselect_b32 s13, s16, s13
	s_add_i32 s14, s11, 1
	s_cmp_ge_u32 s13, s5
	s_cselect_b32 s5, s14, s11
	s_delay_alu instid0(SALU_CYCLE_1) | instskip(NEXT) | instid1(SALU_CYCLE_1)
	s_xor_b32 s5, s5, s12
	s_sub_i32 s5, s5, s12
	s_mov_b32 s12, 0
	s_mul_i32 s2, s5, s2
	s_delay_alu instid0(SALU_CYCLE_1) | instskip(NEXT) | instid1(SALU_CYCLE_1)
	s_sub_i32 s4, s4, s2
	s_cmp_lt_u32 s15, s4
	s_cselect_b32 s2, -1, 0
	s_add_i32 s11, s5, 1
	s_cmp_ge_u32 s15, s4
	s_cbranch_scc0 .LBB133_5
; %bb.4:
	s_sub_i32 s13, s15, s4
	s_mul_i32 s4, s4, s11
	s_mul_i32 s13, s13, s5
	s_delay_alu instid0(SALU_CYCLE_1)
	s_add_i32 s4, s13, s4
	s_and_not1_b32 vcc_lo, exec_lo, s12
	s_cbranch_vccz .LBB133_6
	s_branch .LBB133_7
.LBB133_5:
                                        ; implicit-def: $sgpr4
.LBB133_6:
	s_mul_i32 s4, s11, s15
.LBB133_7:
	v_cndmask_b32_e64 v1, 0, 1, s2
	s_delay_alu instid0(VALU_DEP_1) | instskip(NEXT) | instid1(VALU_DEP_1)
	v_readfirstlane_b32 s2, v1
	s_add_i32 s5, s5, s2
	s_delay_alu instid0(SALU_CYCLE_1)
	s_cmp_lt_i32 s5, 1
	s_cbranch_scc1 .LBB133_18
; %bb.8:
	s_abs_i32 s33, s6
	s_load_b256 s[12:19], s[0:1], 0x0
	v_cvt_f32_u32_e32 v3, s33
	s_add_i32 s1, s3, 15
	s_mov_b32 s11, s3
	s_ashr_i32 s2, s1, 31
	s_lshl_b32 s22, s3, 1
	v_rcp_iflag_f32_e32 v5, v3
	v_lshlrev_b32_e32 v2, 6, v0
	s_lshl_b32 s26, s3, 2
	s_lshr_b32 s2, s2, 28
	s_add_i32 s3, s3, 3
	s_add_i32 s1, s1, s2
	s_ashr_i32 s2, s3, 31
	v_and_b32_e32 v3, 31, v0
	v_lshrrev_b32_e32 v4, 3, v0
	s_waitcnt_depctr 0xfff
	v_dual_mul_f32 v5, 0x4f7ffffe, v5 :: v_dual_and_b32 v6, 15, v0
	s_lshr_b32 s2, s2, 30
	s_ashr_i32 s1, s1, 4
	s_add_i32 s3, s3, s2
	s_sub_i32 s2, 0, s33
	v_cvt_u32_f32_e32 v5, v5
	v_lshlrev_b32_e32 v1, 5, v0
	v_cmp_eq_u32_e32 vcc_lo, 31, v3
	v_and_b32_e32 v3, 0x7c, v4
	v_cmp_eq_u32_e64 s0, 0, v0
	v_readfirstlane_b32 s20, v5
	v_dual_mov_b32 v5, 0 :: v_dual_lshlrev_b32 v4, 2, v6
	v_cmp_gt_u32_e64 s1, s1, v0
	v_lshlrev_b32_e32 v0, 4, v0
	s_delay_alu instid0(VALU_DEP_4)
	s_mul_i32 s2, s2, s20
	s_mov_b32 s23, -1
	s_waitcnt lgkmcnt(0)
	s_and_b32 s19, s19, 0xffff
	s_mul_hi_u32 s2, s20, s2
	s_mov_b32 s27, s23
	s_and_b32 s30, s3, -4
	s_ashr_i32 s34, s6, 31
	s_add_i32 s35, s20, s2
	s_mov_b32 s24, s18
	s_mov_b32 s25, s19
	;; [unrolled: 1-line block ×4, first 2 shown]
                                        ; implicit-def: $vgpr6
                                        ; implicit-def: $vgpr7
                                        ; implicit-def: $vgpr8
                                        ; implicit-def: $vgpr9
                                        ; implicit-def: $vgpr10
                                        ; implicit-def: $vgpr11
                                        ; implicit-def: $vgpr12
                                        ; implicit-def: $vgpr13
                                        ; implicit-def: $vgpr14
                                        ; implicit-def: $vgpr15
                                        ; implicit-def: $vgpr16
                                        ; implicit-def: $vgpr17
                                        ; implicit-def: $vgpr18
                                        ; implicit-def: $vgpr19
                                        ; implicit-def: $vgpr20
                                        ; implicit-def: $vgpr21
	s_branch .LBB133_10
.LBB133_9:                              ;   in Loop: Header=BB133_10 Depth=1
	s_or_b32 exec_lo, exec_lo, s3
	s_add_i32 s5, s5, -1
	s_add_i32 s4, s4, 1
	s_cmp_eq_u32 s5, 0
	s_cbranch_scc1 .LBB133_18
.LBB133_10:                             ; =>This Inner Loop Header: Depth=1
	s_abs_i32 s2, s4
	s_ashr_i32 s20, s4, 31
	s_mul_hi_u32 s3, s2, s35
	s_xor_b32 s20, s20, s34
	s_mul_i32 s21, s3, s33
	s_delay_alu instid0(SALU_CYCLE_1)
	s_sub_i32 s2, s2, s21
	s_add_i32 s21, s3, 1
	s_sub_i32 s28, s2, s33
	s_cmp_ge_u32 s2, s33
	s_cselect_b32 s3, s21, s3
	s_cselect_b32 s2, s28, s2
	s_add_i32 s21, s3, 1
	s_cmp_ge_u32 s2, s33
	s_cselect_b32 s2, s21, s3
	s_delay_alu instid0(SALU_CYCLE_1) | instskip(NEXT) | instid1(SALU_CYCLE_1)
	s_xor_b32 s2, s2, s20
	s_sub_i32 s3, s2, s20
	s_delay_alu instid0(SALU_CYCLE_1) | instskip(SKIP_2) | instid1(SALU_CYCLE_1)
	s_mul_i32 s2, s3, s6
	s_mul_i32 s20, s3, s7
	s_sub_i32 s28, s4, s2
	s_mul_i32 s2, s28, s8
	s_delay_alu instid0(SALU_CYCLE_1) | instskip(NEXT) | instid1(SALU_CYCLE_1)
	s_add_i32 s2, s2, s20
	s_cmp_eq_u32 s2, s19
	s_cbranch_scc1 .LBB133_12
; %bb.11:                               ;   in Loop: Header=BB133_10 Depth=1
	s_mul_hi_i32 s21, s2, s11
	s_mul_i32 s20, s2, s11
	s_delay_alu instid0(SALU_CYCLE_1) | instskip(NEXT) | instid1(SALU_CYCLE_1)
	s_lshl_b64 s[20:21], s[20:21], 1
	s_add_u32 s20, s16, s20
	s_addc_u32 s19, s17, s21
	s_delay_alu instid0(SALU_CYCLE_1)
	s_and_b32 s21, s19, 0xffff
	s_clause 0x1
	buffer_load_b128 v[6:9], v1, s[20:23], 0 offen
	buffer_load_b128 v[10:13], v1, s[20:23], 16 offen
	s_mov_b32 s19, s2
	s_waitcnt vmcnt(1)
	v_and_b32_e32 v14, 0xffff, v6
	v_lshrrev_b32_e32 v15, 16, v6
	v_and_b32_e32 v16, 0xffff, v7
	v_lshrrev_b32_e32 v17, 16, v7
	;; [unrolled: 2-line block ×4, first 2 shown]
	s_waitcnt vmcnt(0)
	v_and_b32_e32 v22, 0xffff, v10
	v_lshrrev_b32_e32 v23, 16, v10
	v_and_b32_e32 v24, 0xffff, v11
	v_lshrrev_b32_e32 v25, 16, v11
	;; [unrolled: 2-line block ×4, first 2 shown]
	v_cvt_f32_u32_e32 v6, v14
	v_cvt_f32_u32_e32 v7, v15
	;; [unrolled: 1-line block ×16, first 2 shown]
.LBB133_12:                             ;   in Loop: Header=BB133_10 Depth=1
	s_clause 0x3
	buffer_load_b128 v[22:25], v2, s[24:27], 0 offen
	buffer_load_b128 v[26:29], v2, s[24:27], 16 offen
	;; [unrolled: 1-line block ×4, first 2 shown]
	s_waitcnt vmcnt(3)
	v_dual_mul_f32 v36, v6, v22 :: v_dual_mul_f32 v37, v7, v23
	v_dual_mul_f32 v30, v8, v24 :: v_dual_mul_f32 v31, v9, v25
	s_waitcnt vmcnt(2)
	v_dual_mul_f32 v32, v10, v26 :: v_dual_mul_f32 v33, v11, v27
	s_delay_alu instid0(VALU_DEP_3) | instskip(SKIP_3) | instid1(VALU_DEP_3)
	v_max3_f32 v22, |v36|, 0x2edbe6ff, |v37|
	v_dual_mul_f32 v34, v12, v28 :: v_dual_mul_f32 v35, v13, v29
	s_waitcnt vmcnt(1)
	v_dual_mul_f32 v26, v14, v38 :: v_dual_mul_f32 v27, v15, v39
	v_max3_f32 v22, v22, |v30|, |v31|
	s_waitcnt vmcnt(0)
	v_dual_mul_f32 v25, v18, v42 :: v_dual_mul_f32 v28, v19, v43
	v_mul_f32_e32 v23, v17, v41
	v_mul_f32_e32 v29, v21, v45
	v_max3_f32 v22, v22, |v32|, |v33|
	s_delay_alu instid0(VALU_DEP_1) | instskip(SKIP_1) | instid1(VALU_DEP_2)
	v_max3_f32 v24, v22, |v34|, |v35|
	v_mul_f32_e32 v22, v16, v40
	v_max3_f32 v24, v24, |v26|, |v27|
	s_delay_alu instid0(VALU_DEP_1) | instskip(SKIP_1) | instid1(VALU_DEP_2)
	v_max3_f32 v38, v24, |v22|, |v23|
	v_mul_f32_e32 v24, v20, v44
	v_max3_f32 v38, v38, |v25|, |v28|
	s_delay_alu instid0(VALU_DEP_1) | instskip(NEXT) | instid1(VALU_DEP_1)
	v_max3_f32 v38, v38, |v24|, |v29|
	v_mov_b32_dpp v39, v38 quad_perm:[1,0,3,2] row_mask:0xf bank_mask:0xf
	s_delay_alu instid0(VALU_DEP_1) | instskip(NEXT) | instid1(VALU_DEP_1)
	v_cmp_gt_f32_e64 s2, v38, v39
	v_cndmask_b32_e64 v38, v39, v38, s2
	s_delay_alu instid0(VALU_DEP_1) | instskip(NEXT) | instid1(VALU_DEP_1)
	v_mov_b32_dpp v39, v38 quad_perm:[2,3,0,1] row_mask:0xf bank_mask:0xf
	v_cmp_gt_f32_e64 s2, v38, v39
	s_delay_alu instid0(VALU_DEP_1) | instskip(NEXT) | instid1(VALU_DEP_1)
	v_cndmask_b32_e64 v38, v39, v38, s2
	v_mov_b32_dpp v39, v38 row_xmask:7 row_mask:0xf bank_mask:0xf
	s_delay_alu instid0(VALU_DEP_1) | instskip(NEXT) | instid1(VALU_DEP_1)
	v_cmp_gt_f32_e64 s2, v38, v39
	v_cndmask_b32_e64 v38, v39, v38, s2
	s_delay_alu instid0(VALU_DEP_1) | instskip(NEXT) | instid1(VALU_DEP_1)
	v_mov_b32_dpp v39, v38 row_xmask:15 row_mask:0xf bank_mask:0xf
	v_cmp_gt_f32_e64 s2, v38, v39
	s_and_saveexec_b32 s20, vcc_lo
	s_cbranch_execz .LBB133_14
; %bb.13:                               ;   in Loop: Header=BB133_10 Depth=1
	s_delay_alu instid0(VALU_DEP_1) | instskip(NEXT) | instid1(VALU_DEP_1)
	v_cndmask_b32_e64 v38, v39, v38, s2
	v_permlanex16_b32 v39, v38, s18, 0xfedcba98 op_sel:[1,1]
	s_delay_alu instid0(VALU_DEP_1) | instskip(NEXT) | instid1(VALU_DEP_1)
	v_cmp_gt_f32_e64 s2, v38, v39
	v_cndmask_b32_e64 v38, v39, v38, s2
	ds_store_b32 v3, v38
.LBB133_14:                             ;   in Loop: Header=BB133_10 Depth=1
	s_or_b32 exec_lo, exec_lo, s20
	s_waitcnt lgkmcnt(0)
	s_waitcnt_vscnt null, 0x0
	s_barrier
	buffer_gl0_inv
	ds_load_b32 v38, v4
	s_mul_i32 s3, s3, s9
	s_waitcnt lgkmcnt(0)
	v_mov_b32_dpp v39, v38 quad_perm:[1,0,3,2] row_mask:0xf bank_mask:0xf
	s_delay_alu instid0(VALU_DEP_1) | instskip(NEXT) | instid1(VALU_DEP_1)
	v_cmp_gt_f32_e64 s2, v38, v39
	v_cndmask_b32_e64 v38, v39, v38, s2
	s_delay_alu instid0(VALU_DEP_1) | instskip(NEXT) | instid1(VALU_DEP_1)
	v_mov_b32_dpp v39, v38 quad_perm:[2,3,0,1] row_mask:0xf bank_mask:0xf
	v_cmp_gt_f32_e64 s2, v38, v39
	s_delay_alu instid0(VALU_DEP_1) | instskip(NEXT) | instid1(VALU_DEP_1)
	v_cndmask_b32_e64 v38, v39, v38, s2
	v_mov_b32_dpp v39, v38 row_xmask:7 row_mask:0xf bank_mask:0xf
	s_delay_alu instid0(VALU_DEP_1) | instskip(NEXT) | instid1(VALU_DEP_1)
	v_cmp_gt_f32_e64 s2, v38, v39
	v_cndmask_b32_e64 v38, v39, v38, s2
	s_delay_alu instid0(VALU_DEP_1) | instskip(NEXT) | instid1(VALU_DEP_1)
	v_mov_b32_dpp v39, v38 row_xmask:15 row_mask:0xf bank_mask:0xf
	v_cmp_gt_f32_e64 s2, v38, v39
	s_delay_alu instid0(VALU_DEP_1) | instskip(SKIP_1) | instid1(SALU_CYCLE_1)
	v_cndmask_b32_e64 v38, v39, v38, s2
	s_mul_i32 s2, s28, s10
	s_add_i32 s2, s2, s3
	s_delay_alu instid0(VALU_DEP_1)
	v_mul_f32_e32 v38, 0x3c010204, v38
	s_and_saveexec_b32 s20, s0
	s_cbranch_execz .LBB133_16
; %bb.15:                               ;   in Loop: Header=BB133_10 Depth=1
	s_ashr_i32 s3, s2, 31
	s_delay_alu instid0(SALU_CYCLE_1) | instskip(NEXT) | instid1(SALU_CYCLE_1)
	s_lshl_b64 s[28:29], s[2:3], 2
	s_add_u32 s28, s14, s28
	s_addc_u32 s29, s15, s29
	global_store_b32 v5, v38, s[28:29]
.LBB133_16:                             ;   in Loop: Header=BB133_10 Depth=1
	s_or_b32 exec_lo, exec_lo, s20
	s_and_saveexec_b32 s3, s1
	s_cbranch_execz .LBB133_9
; %bb.17:                               ;   in Loop: Header=BB133_10 Depth=1
	v_rcp_f32_e32 v38, v38
	s_mul_i32 s20, s2, s11
	s_mul_hi_i32 s2, s2, s11
	s_add_u32 s28, s12, s20
	s_addc_u32 s2, s13, s2
	s_mov_b32 s31, s23
	s_and_b32 s29, s2, 0xffff
	s_waitcnt_depctr 0xfff
	v_mul_f32_e32 v28, v28, v38
	v_mul_f32_e32 v25, v25, v38
	;; [unrolled: 1-line block ×5, first 2 shown]
	v_cvt_i32_f32_e32 v28, v28
	v_cvt_i32_f32_e32 v25, v25
	;; [unrolled: 1-line block ×4, first 2 shown]
	v_mul_f32_e32 v36, v36, v38
	v_mul_f32_e32 v37, v37, v38
	;; [unrolled: 1-line block ×5, first 2 shown]
	v_lshlrev_b16 v28, 8, v28
	v_and_b32_e32 v25, 0xff, v25
	v_lshlrev_b16 v29, 8, v29
	v_and_b32_e32 v24, 0xff, v24
	v_cvt_i32_f32_e32 v36, v36
	v_mul_f32_e32 v35, v35, v38
	v_cvt_i32_f32_e32 v32, v32
	v_mul_f32_e32 v33, v33, v38
	v_cvt_i32_f32_e32 v34, v34
	v_cvt_i32_f32_e32 v26, v26
	;; [unrolled: 1-line block ×3, first 2 shown]
	v_mul_f32_e32 v23, v23, v38
	v_mul_f32_e32 v22, v22, v38
	v_or_b32_e32 v25, v25, v28
	v_and_b32_e32 v28, 0xff, v32
	v_mul_f32_e32 v30, v30, v38
	v_or_b32_e32 v24, v24, v29
	v_mul_f32_e32 v31, v31, v38
	v_cvt_i32_f32_e32 v37, v37
	v_cvt_i32_f32_e32 v33, v33
	v_lshlrev_b16 v27, 8, v27
	v_lshlrev_b32_e32 v24, 16, v24
	v_cvt_i32_f32_e32 v31, v31
	v_and_b32_e32 v26, 0xff, v26
	v_cvt_i32_f32_e32 v23, v23
	v_cvt_i32_f32_e32 v22, v22
	v_and_b32_e32 v25, 0xffff, v25
	v_cvt_i32_f32_e32 v30, v30
	v_and_b32_e32 v32, 0xff, v34
	v_and_b32_e32 v34, 0xff, v36
	v_cvt_i32_f32_e32 v35, v35
	v_or_b32_e32 v26, v26, v27
	v_lshlrev_b16 v23, 8, v23
	v_and_b32_e32 v22, 0xff, v22
	v_lshlrev_b16 v27, 8, v33
	v_lshlrev_b16 v29, 8, v35
	;; [unrolled: 1-line block ×4, first 2 shown]
	v_and_b32_e32 v30, 0xff, v30
	v_or_b32_e32 v22, v22, v23
	v_or_b32_e32 v23, v28, v27
	;; [unrolled: 1-line block ×5, first 2 shown]
	v_and_b32_e32 v26, 0xffff, v26
	v_lshlrev_b32_e32 v22, 16, v22
	v_and_b32_e32 v23, 0xffff, v23
	v_lshlrev_b32_e32 v27, 16, v27
	;; [unrolled: 2-line block ×3, first 2 shown]
	v_or_b32_e32 v25, v25, v24
	v_or_b32_e32 v24, v26, v22
	;; [unrolled: 1-line block ×3, first 2 shown]
	s_delay_alu instid0(VALU_DEP_4)
	v_or_b32_e32 v22, v28, v29
	buffer_store_b128 v[22:25], v0, s[28:31], 0 offen
	;;#ASMSTART
	s_nop 0
	;;#ASMEND
	s_branch .LBB133_9
.LBB133_18:
	s_nop 0
	s_sendmsg sendmsg(MSG_DEALLOC_VGPRS)
	s_endpgm
.LBB133_19:
                                        ; implicit-def: $sgpr4
	s_branch .LBB133_2
	.section	.rodata,"a",@progbits
	.p2align	6, 0x0
	.amdhsa_kernel _ZN5aiter36smooth_per_token_scaled_quant_kernelItaLi512ELi16ELb0ELb0ELb0ELi1024EEEvPT0_PfPT_S3_PiS6_iiPKiiiiiiiii
		.amdhsa_group_segment_fixed_size 64
		.amdhsa_private_segment_fixed_size 0
		.amdhsa_kernarg_size 96
		.amdhsa_user_sgpr_count 15
		.amdhsa_user_sgpr_dispatch_ptr 0
		.amdhsa_user_sgpr_queue_ptr 0
		.amdhsa_user_sgpr_kernarg_segment_ptr 1
		.amdhsa_user_sgpr_dispatch_id 0
		.amdhsa_user_sgpr_private_segment_size 0
		.amdhsa_wavefront_size32 1
		.amdhsa_uses_dynamic_stack 0
		.amdhsa_enable_private_segment 0
		.amdhsa_system_sgpr_workgroup_id_x 1
		.amdhsa_system_sgpr_workgroup_id_y 0
		.amdhsa_system_sgpr_workgroup_id_z 0
		.amdhsa_system_sgpr_workgroup_info 0
		.amdhsa_system_vgpr_workitem_id 0
		.amdhsa_next_free_vgpr 46
		.amdhsa_next_free_sgpr 36
		.amdhsa_reserve_vcc 1
		.amdhsa_float_round_mode_32 0
		.amdhsa_float_round_mode_16_64 0
		.amdhsa_float_denorm_mode_32 3
		.amdhsa_float_denorm_mode_16_64 3
		.amdhsa_dx10_clamp 1
		.amdhsa_ieee_mode 1
		.amdhsa_fp16_overflow 0
		.amdhsa_workgroup_processor_mode 1
		.amdhsa_memory_ordered 1
		.amdhsa_forward_progress 0
		.amdhsa_shared_vgpr_count 0
		.amdhsa_exception_fp_ieee_invalid_op 0
		.amdhsa_exception_fp_denorm_src 0
		.amdhsa_exception_fp_ieee_div_zero 0
		.amdhsa_exception_fp_ieee_overflow 0
		.amdhsa_exception_fp_ieee_underflow 0
		.amdhsa_exception_fp_ieee_inexact 0
		.amdhsa_exception_int_div_zero 0
	.end_amdhsa_kernel
	.section	.text._ZN5aiter36smooth_per_token_scaled_quant_kernelItaLi512ELi16ELb0ELb0ELb0ELi1024EEEvPT0_PfPT_S3_PiS6_iiPKiiiiiiiii,"axG",@progbits,_ZN5aiter36smooth_per_token_scaled_quant_kernelItaLi512ELi16ELb0ELb0ELb0ELi1024EEEvPT0_PfPT_S3_PiS6_iiPKiiiiiiiii,comdat
.Lfunc_end133:
	.size	_ZN5aiter36smooth_per_token_scaled_quant_kernelItaLi512ELi16ELb0ELb0ELb0ELi1024EEEvPT0_PfPT_S3_PiS6_iiPKiiiiiiiii, .Lfunc_end133-_ZN5aiter36smooth_per_token_scaled_quant_kernelItaLi512ELi16ELb0ELb0ELb0ELi1024EEEvPT0_PfPT_S3_PiS6_iiPKiiiiiiiii
                                        ; -- End function
	.section	.AMDGPU.csdata,"",@progbits
; Kernel info:
; codeLenInByte = 1916
; NumSgprs: 38
; NumVgprs: 46
; ScratchSize: 0
; MemoryBound: 0
; FloatMode: 240
; IeeeMode: 1
; LDSByteSize: 64 bytes/workgroup (compile time only)
; SGPRBlocks: 4
; VGPRBlocks: 5
; NumSGPRsForWavesPerEU: 38
; NumVGPRsForWavesPerEU: 46
; Occupancy: 16
; WaveLimiterHint : 0
; COMPUTE_PGM_RSRC2:SCRATCH_EN: 0
; COMPUTE_PGM_RSRC2:USER_SGPR: 15
; COMPUTE_PGM_RSRC2:TRAP_HANDLER: 0
; COMPUTE_PGM_RSRC2:TGID_X_EN: 1
; COMPUTE_PGM_RSRC2:TGID_Y_EN: 0
; COMPUTE_PGM_RSRC2:TGID_Z_EN: 0
; COMPUTE_PGM_RSRC2:TIDIG_COMP_CNT: 0
	.section	.text._ZN5aiter24partial_transpose_kernelIfLi256ELi4ELi10000EEEvPT_S2_PKii,"axG",@progbits,_ZN5aiter24partial_transpose_kernelIfLi256ELi4ELi10000EEEvPT_S2_PKii,comdat
	.protected	_ZN5aiter24partial_transpose_kernelIfLi256ELi4ELi10000EEEvPT_S2_PKii ; -- Begin function _ZN5aiter24partial_transpose_kernelIfLi256ELi4ELi10000EEEvPT_S2_PKii
	.globl	_ZN5aiter24partial_transpose_kernelIfLi256ELi4ELi10000EEEvPT_S2_PKii
	.p2align	8
	.type	_ZN5aiter24partial_transpose_kernelIfLi256ELi4ELi10000EEEvPT_S2_PKii,@function
_ZN5aiter24partial_transpose_kernelIfLi256ELi4ELi10000EEEvPT_S2_PKii: ; @_ZN5aiter24partial_transpose_kernelIfLi256ELi4ELi10000EEEvPT_S2_PKii
; %bb.0:
	s_clause 0x2
	s_load_b32 s22, s[0:1], 0x18
	s_load_b64 s[2:3], s[0:1], 0x10
	s_load_b32 s12, s[0:1], 0x20
	s_mov_b32 s11, -1
	s_lshl_b32 s26, s15, 8
	s_movk_i32 s27, 0x2710
	s_waitcnt lgkmcnt(0)
	s_add_i32 s4, s22, 3
	s_load_b32 s2, s[2:3], 0x0
	s_ashr_i32 s5, s4, 31
	s_lshl_b32 s25, s12, 9
	s_lshr_b32 s5, s5, 30
	s_delay_alu instid0(SALU_CYCLE_1) | instskip(NEXT) | instid1(SALU_CYCLE_1)
	s_add_i32 s4, s4, s5
	s_ashr_i32 s23, s4, 2
	s_load_b128 s[4:7], s[0:1], 0x0
	v_cvt_f32_u32_e32 v1, s23
	s_ashr_i32 s1, s23, 31
	s_delay_alu instid0(VALU_DEP_1)
	v_rcp_iflag_f32_e32 v1, v1
	s_waitcnt lgkmcnt(0)
	s_mul_i32 s0, s22, s2
	s_lshl_b32 s16, s2, 1
	s_lshl_b32 s10, s0, 2
	s_sub_i32 s0, 0, s23
	s_waitcnt_depctr 0xfff
	v_mul_f32_e32 v1, 0x4f7ffffe, v1
	s_mul_i32 s18, s2, 3
	s_ashr_i32 s3, s2, 31
	s_ashr_i32 s17, s16, 31
	s_and_b32 s7, s7, 0xffff
	v_cvt_u32_f32_e32 v1, v1
	s_mov_b64 s[8:9], s[6:7]
	s_ashr_i32 s19, s18, 31
	s_mov_b32 s6, 0
	s_mov_b32 s7, s1
	v_mul_lo_u32 v2, s0, v1
	s_add_i32 s0, s15, s12
	s_lshl_b64 s[12:13], s[2:3], 2
	s_lshl_b32 s24, s0, 8
	s_lshl_b64 s[14:15], s[16:17], 2
	s_lshl_b64 s[16:17], s[18:19], 2
	s_mov_b32 s28, s6
	s_delay_alu instid0(VALU_DEP_1) | instskip(NEXT) | instid1(VALU_DEP_1)
	v_mul_hi_u32 v2, v1, v2
	v_dual_mov_b32 v5, 0 :: v_dual_add_nc_u32 v8, v1, v2
	s_branch .LBB134_4
.LBB134_1:                              ;   in Loop: Header=BB134_4 Depth=1
	s_or_b32 exec_lo, exec_lo, s18
	s_add_i32 s27, s27, -2
	v_add_nc_u32_e32 v0, s25, v0
	s_cmp_eq_u32 s27, 0
	s_cselect_b32 s18, -1, 0
	s_delay_alu instid0(SALU_CYCLE_1)
	s_or_not1_b32 s18, s18, exec_lo
.LBB134_2:                              ;   in Loop: Header=BB134_4 Depth=1
	s_or_b32 exec_lo, exec_lo, s0
	s_delay_alu instid0(SALU_CYCLE_1)
	s_or_not1_b32 s0, s18, exec_lo
.LBB134_3:                              ;   in Loop: Header=BB134_4 Depth=1
	s_or_b32 exec_lo, exec_lo, s29
	s_delay_alu instid0(SALU_CYCLE_1) | instskip(NEXT) | instid1(SALU_CYCLE_1)
	s_and_b32 s0, exec_lo, s0
	s_or_b32 s28, s0, s28
	s_delay_alu instid0(SALU_CYCLE_1)
	s_and_not1_b32 exec_lo, exec_lo, s28
	s_cbranch_execz .LBB134_30
.LBB134_4:                              ; =>This Inner Loop Header: Depth=1
	v_add_nc_u32_e32 v1, s26, v0
	s_cmp_lg_u64 s[6:7], 0
                                        ; implicit-def: $vgpr6_vgpr7
	s_cselect_b32 s0, -1, 0
	s_delay_alu instid0(SALU_CYCLE_1) | instskip(NEXT) | instid1(SALU_CYCLE_1)
	s_and_saveexec_b32 s18, s0
	s_xor_b32 s29, exec_lo, s18
	s_cbranch_execz .LBB134_6
; %bb.5:                                ;   in Loop: Header=BB134_4 Depth=1
	s_add_u32 s20, s23, s1
	s_mov_b32 s18, s1
	s_mov_b32 s19, s1
	s_addc_u32 s21, s1, s1
	s_delay_alu instid0(SALU_CYCLE_1) | instskip(NEXT) | instid1(SALU_CYCLE_1)
	s_xor_b64 s[20:21], s[20:21], s[18:19]
	v_cvt_f32_u32_e32 v2, s20
	v_cvt_f32_u32_e32 v3, s21
	s_sub_u32 s0, 0, s20
	s_subb_u32 s30, 0, s21
	s_delay_alu instid0(VALU_DEP_1) | instskip(NEXT) | instid1(VALU_DEP_1)
	v_fmac_f32_e32 v2, 0x4f800000, v3
	v_rcp_f32_e32 v2, v2
	s_waitcnt_depctr 0xfff
	v_mul_f32_e32 v2, 0x5f7ffffc, v2
	s_delay_alu instid0(VALU_DEP_1) | instskip(NEXT) | instid1(VALU_DEP_1)
	v_mul_f32_e32 v3, 0x2f800000, v2
	v_trunc_f32_e32 v3, v3
	s_delay_alu instid0(VALU_DEP_1) | instskip(SKIP_1) | instid1(VALU_DEP_2)
	v_fmac_f32_e32 v2, 0xcf800000, v3
	v_cvt_u32_f32_e32 v3, v3
	v_cvt_u32_f32_e32 v2, v2
	s_delay_alu instid0(VALU_DEP_2) | instskip(NEXT) | instid1(VALU_DEP_2)
	v_mul_lo_u32 v4, s0, v3
	v_mul_hi_u32 v6, s0, v2
	v_mul_lo_u32 v7, s30, v2
	s_delay_alu instid0(VALU_DEP_2) | instskip(SKIP_1) | instid1(VALU_DEP_2)
	v_add_nc_u32_e32 v4, v6, v4
	v_mul_lo_u32 v6, s0, v2
	v_add_nc_u32_e32 v4, v4, v7
	s_delay_alu instid0(VALU_DEP_2) | instskip(NEXT) | instid1(VALU_DEP_2)
	v_mul_hi_u32 v7, v2, v6
	v_mul_lo_u32 v9, v2, v4
	v_mul_hi_u32 v10, v2, v4
	v_mul_hi_u32 v11, v3, v6
	v_mul_lo_u32 v6, v3, v6
	v_mul_hi_u32 v12, v3, v4
	v_mul_lo_u32 v4, v3, v4
	v_add_co_u32 v7, vcc_lo, v7, v9
	v_add_co_ci_u32_e32 v9, vcc_lo, 0, v10, vcc_lo
	s_delay_alu instid0(VALU_DEP_2) | instskip(NEXT) | instid1(VALU_DEP_2)
	v_add_co_u32 v6, vcc_lo, v7, v6
	v_add_co_ci_u32_e32 v6, vcc_lo, v9, v11, vcc_lo
	v_add_co_ci_u32_e32 v7, vcc_lo, 0, v12, vcc_lo
	s_delay_alu instid0(VALU_DEP_2) | instskip(NEXT) | instid1(VALU_DEP_2)
	v_add_co_u32 v4, vcc_lo, v6, v4
	v_add_co_ci_u32_e32 v6, vcc_lo, 0, v7, vcc_lo
	s_delay_alu instid0(VALU_DEP_2) | instskip(NEXT) | instid1(VALU_DEP_2)
	v_add_co_u32 v2, vcc_lo, v2, v4
	v_add_co_ci_u32_e32 v3, vcc_lo, v3, v6, vcc_lo
	s_delay_alu instid0(VALU_DEP_2) | instskip(SKIP_1) | instid1(VALU_DEP_3)
	v_mul_hi_u32 v4, s0, v2
	v_mul_lo_u32 v7, s30, v2
	v_mul_lo_u32 v6, s0, v3
	s_delay_alu instid0(VALU_DEP_1) | instskip(SKIP_1) | instid1(VALU_DEP_2)
	v_add_nc_u32_e32 v4, v4, v6
	v_mul_lo_u32 v6, s0, v2
	v_add_nc_u32_e32 v4, v4, v7
	s_delay_alu instid0(VALU_DEP_2) | instskip(NEXT) | instid1(VALU_DEP_2)
	v_mul_hi_u32 v7, v2, v6
	v_mul_lo_u32 v9, v2, v4
	v_mul_hi_u32 v10, v2, v4
	v_mul_hi_u32 v11, v3, v6
	v_mul_lo_u32 v6, v3, v6
	v_mul_hi_u32 v12, v3, v4
	v_mul_lo_u32 v4, v3, v4
	v_add_co_u32 v7, vcc_lo, v7, v9
	v_add_co_ci_u32_e32 v9, vcc_lo, 0, v10, vcc_lo
	s_delay_alu instid0(VALU_DEP_2) | instskip(NEXT) | instid1(VALU_DEP_2)
	v_add_co_u32 v6, vcc_lo, v7, v6
	v_add_co_ci_u32_e32 v6, vcc_lo, v9, v11, vcc_lo
	v_add_co_ci_u32_e32 v7, vcc_lo, 0, v12, vcc_lo
	s_delay_alu instid0(VALU_DEP_2) | instskip(NEXT) | instid1(VALU_DEP_2)
	v_add_co_u32 v4, vcc_lo, v6, v4
	v_add_co_ci_u32_e32 v6, vcc_lo, 0, v7, vcc_lo
	s_delay_alu instid0(VALU_DEP_2) | instskip(NEXT) | instid1(VALU_DEP_2)
	v_add_co_u32 v4, vcc_lo, v2, v4
	v_add_co_ci_u32_e32 v11, vcc_lo, v3, v6, vcc_lo
	s_delay_alu instid0(VALU_DEP_2) | instskip(SKIP_1) | instid1(VALU_DEP_3)
	v_mul_hi_u32 v12, v1, v4
	v_mad_u64_u32 v[6:7], null, 0, v4, 0
	v_mad_u64_u32 v[2:3], null, v1, v11, 0
	;; [unrolled: 1-line block ×3, first 2 shown]
	s_delay_alu instid0(VALU_DEP_2) | instskip(NEXT) | instid1(VALU_DEP_3)
	v_add_co_u32 v2, vcc_lo, v12, v2
	v_add_co_ci_u32_e32 v3, vcc_lo, 0, v3, vcc_lo
	s_delay_alu instid0(VALU_DEP_2) | instskip(NEXT) | instid1(VALU_DEP_2)
	v_add_co_u32 v2, vcc_lo, v2, v6
	v_add_co_ci_u32_e32 v2, vcc_lo, v3, v7, vcc_lo
	v_add_co_ci_u32_e32 v3, vcc_lo, 0, v10, vcc_lo
	s_delay_alu instid0(VALU_DEP_2) | instskip(NEXT) | instid1(VALU_DEP_2)
	v_add_co_u32 v4, vcc_lo, v2, v9
	v_add_co_ci_u32_e32 v6, vcc_lo, 0, v3, vcc_lo
	s_delay_alu instid0(VALU_DEP_2) | instskip(SKIP_1) | instid1(VALU_DEP_3)
	v_mul_lo_u32 v7, s21, v4
	v_mad_u64_u32 v[2:3], null, s20, v4, 0
	v_mul_lo_u32 v9, s20, v6
	s_delay_alu instid0(VALU_DEP_2) | instskip(NEXT) | instid1(VALU_DEP_2)
	v_sub_co_u32 v2, vcc_lo, v1, v2
	v_add3_u32 v3, v3, v9, v7
	s_delay_alu instid0(VALU_DEP_1) | instskip(NEXT) | instid1(VALU_DEP_1)
	v_sub_nc_u32_e32 v7, 0, v3
	v_subrev_co_ci_u32_e64 v7, s0, s21, v7, vcc_lo
	v_add_co_u32 v9, s0, v4, 2
	s_delay_alu instid0(VALU_DEP_1) | instskip(SKIP_3) | instid1(VALU_DEP_3)
	v_add_co_ci_u32_e64 v10, s0, 0, v6, s0
	v_sub_co_u32 v11, s0, v2, s20
	v_sub_co_ci_u32_e32 v3, vcc_lo, 0, v3, vcc_lo
	v_subrev_co_ci_u32_e64 v7, s0, 0, v7, s0
	v_cmp_le_u32_e32 vcc_lo, s20, v11
	s_delay_alu instid0(VALU_DEP_3) | instskip(SKIP_1) | instid1(VALU_DEP_4)
	v_cmp_eq_u32_e64 s0, s21, v3
	v_cndmask_b32_e64 v11, 0, -1, vcc_lo
	v_cmp_le_u32_e32 vcc_lo, s21, v7
	v_cndmask_b32_e64 v12, 0, -1, vcc_lo
	v_cmp_le_u32_e32 vcc_lo, s20, v2
	;; [unrolled: 2-line block ×3, first 2 shown]
	v_cndmask_b32_e64 v13, 0, -1, vcc_lo
	v_cmp_eq_u32_e32 vcc_lo, s21, v7
	s_delay_alu instid0(VALU_DEP_2) | instskip(SKIP_3) | instid1(VALU_DEP_3)
	v_cndmask_b32_e64 v2, v13, v2, s0
	v_cndmask_b32_e32 v7, v12, v11, vcc_lo
	v_add_co_u32 v11, vcc_lo, v4, 1
	v_add_co_ci_u32_e32 v12, vcc_lo, 0, v6, vcc_lo
	v_cmp_ne_u32_e32 vcc_lo, 0, v7
	s_delay_alu instid0(VALU_DEP_3) | instskip(NEXT) | instid1(VALU_DEP_3)
	v_cndmask_b32_e32 v7, v11, v9, vcc_lo
	v_cndmask_b32_e32 v3, v12, v10, vcc_lo
	v_cmp_ne_u32_e32 vcc_lo, 0, v2
	s_delay_alu instid0(VALU_DEP_2) | instskip(NEXT) | instid1(VALU_DEP_4)
	v_cndmask_b32_e32 v2, v6, v3, vcc_lo
	v_cndmask_b32_e32 v3, v4, v7, vcc_lo
	s_delay_alu instid0(VALU_DEP_2) | instskip(NEXT) | instid1(VALU_DEP_2)
	v_xor_b32_e32 v2, s19, v2
	v_xor_b32_e32 v3, s18, v3
	s_delay_alu instid0(VALU_DEP_1) | instskip(NEXT) | instid1(VALU_DEP_3)
	v_sub_co_u32 v6, vcc_lo, v3, s18
	v_subrev_co_ci_u32_e32 v7, vcc_lo, s19, v2, vcc_lo
.LBB134_6:                              ;   in Loop: Header=BB134_4 Depth=1
	s_and_not1_saveexec_b32 s0, s29
; %bb.7:                                ;   in Loop: Header=BB134_4 Depth=1
	v_mul_hi_u32 v2, v1, v8
	s_delay_alu instid0(VALU_DEP_1) | instskip(SKIP_1) | instid1(VALU_DEP_2)
	v_mul_lo_u32 v3, v2, s23
	v_add_nc_u32_e32 v4, 1, v2
	v_sub_nc_u32_e32 v3, v1, v3
	s_delay_alu instid0(VALU_DEP_1) | instskip(SKIP_1) | instid1(VALU_DEP_2)
	v_subrev_nc_u32_e32 v6, s23, v3
	v_cmp_le_u32_e32 vcc_lo, s23, v3
	v_dual_cndmask_b32 v3, v3, v6 :: v_dual_cndmask_b32 v2, v2, v4
	s_delay_alu instid0(VALU_DEP_1) | instskip(NEXT) | instid1(VALU_DEP_2)
	v_cmp_le_u32_e32 vcc_lo, s23, v3
	v_add_nc_u32_e32 v4, 1, v2
	s_delay_alu instid0(VALU_DEP_1) | instskip(NEXT) | instid1(VALU_DEP_1)
	v_cndmask_b32_e32 v4, v2, v4, vcc_lo
	v_dual_mov_b32 v7, v5 :: v_dual_mov_b32 v6, v4
; %bb.8:                                ;   in Loop: Header=BB134_4 Depth=1
	s_or_b32 exec_lo, exec_lo, s0
	s_mov_b32 s0, -1
	s_mov_b32 s29, exec_lo
	s_delay_alu instid0(VALU_DEP_1)
	v_cmpx_gt_i64_e64 s[2:3], v[6:7]
	s_cbranch_execz .LBB134_3
; %bb.9:                                ;   in Loop: Header=BB134_4 Depth=1
	v_mul_lo_u32 v2, v6, s23
	s_mov_b32 s0, exec_lo
	s_delay_alu instid0(VALU_DEP_1) | instskip(SKIP_2) | instid1(VALU_DEP_3)
	v_sub_nc_u32_e32 v1, v1, v2
	v_mul_lo_u32 v2, v6, s22
	v_lshlrev_b64 v[6:7], 2, v[6:7]
	v_lshlrev_b32_e32 v9, 2, v1
	s_delay_alu instid0(VALU_DEP_2) | instskip(NEXT) | instid1(VALU_DEP_2)
	v_add_co_u32 v6, vcc_lo, s4, v6
	v_add_lshl_u32 v1, v2, v9, 2
	v_mul_lo_u32 v10, v9, s2
	v_add_co_ci_u32_e32 v7, vcc_lo, s5, v7, vcc_lo
	buffer_load_b128 v[1:4], v1, s[8:11], 0 offen
	v_ashrrev_i32_e32 v11, 31, v10
	s_delay_alu instid0(VALU_DEP_1) | instskip(NEXT) | instid1(VALU_DEP_1)
	v_lshlrev_b64 v[10:11], 2, v[10:11]
	v_add_co_u32 v6, vcc_lo, v6, v10
	s_delay_alu instid0(VALU_DEP_2)
	v_add_co_ci_u32_e32 v7, vcc_lo, v7, v11, vcc_lo
	v_cmpx_gt_i32_e64 s22, v9
	s_cbranch_execz .LBB134_11
; %bb.10:                               ;   in Loop: Header=BB134_4 Depth=1
	s_waitcnt vmcnt(0)
	global_store_b32 v[6:7], v1, off
.LBB134_11:                             ;   in Loop: Header=BB134_4 Depth=1
	s_or_b32 exec_lo, exec_lo, s0
	s_waitcnt vmcnt(0)
	v_or_b32_e32 v1, 1, v9
	s_mov_b32 s0, exec_lo
	s_delay_alu instid0(VALU_DEP_1)
	v_cmpx_gt_i32_e64 s22, v1
	s_cbranch_execz .LBB134_13
; %bb.12:                               ;   in Loop: Header=BB134_4 Depth=1
	v_add_co_u32 v10, vcc_lo, v6, s12
	v_add_co_ci_u32_e32 v11, vcc_lo, s13, v7, vcc_lo
	global_store_b32 v[10:11], v2, off
.LBB134_13:                             ;   in Loop: Header=BB134_4 Depth=1
	s_or_b32 exec_lo, exec_lo, s0
	v_or_b32_e32 v1, 2, v9
	s_mov_b32 s0, exec_lo
	s_delay_alu instid0(VALU_DEP_1)
	v_cmpx_gt_i32_e64 s22, v1
	s_cbranch_execz .LBB134_15
; %bb.14:                               ;   in Loop: Header=BB134_4 Depth=1
	v_add_co_u32 v1, vcc_lo, v6, s14
	v_add_co_ci_u32_e32 v2, vcc_lo, s15, v7, vcc_lo
	global_store_b32 v[1:2], v3, off
.LBB134_15:                             ;   in Loop: Header=BB134_4 Depth=1
	s_or_b32 exec_lo, exec_lo, s0
	;; [unrolled: 11-line block ×3, first 2 shown]
	v_add_nc_u32_e32 v1, s24, v0
	s_cmp_lg_u64 s[6:7], 0
                                        ; implicit-def: $vgpr6_vgpr7
	s_cselect_b32 s0, -1, 0
	s_delay_alu instid0(SALU_CYCLE_1) | instskip(NEXT) | instid1(SALU_CYCLE_1)
	s_and_saveexec_b32 s18, s0
	s_xor_b32 s30, exec_lo, s18
	s_cbranch_execz .LBB134_19
; %bb.18:                               ;   in Loop: Header=BB134_4 Depth=1
	s_add_u32 s20, s23, s1
	s_mov_b32 s18, s1
	s_mov_b32 s19, s1
	s_addc_u32 s21, s1, s1
	s_delay_alu instid0(SALU_CYCLE_1) | instskip(NEXT) | instid1(SALU_CYCLE_1)
	s_xor_b64 s[20:21], s[20:21], s[18:19]
	v_cvt_f32_u32_e32 v2, s20
	v_cvt_f32_u32_e32 v3, s21
	s_sub_u32 s0, 0, s20
	s_subb_u32 s31, 0, s21
	s_delay_alu instid0(VALU_DEP_1) | instskip(NEXT) | instid1(VALU_DEP_1)
	v_fmac_f32_e32 v2, 0x4f800000, v3
	v_rcp_f32_e32 v2, v2
	s_waitcnt_depctr 0xfff
	v_mul_f32_e32 v2, 0x5f7ffffc, v2
	s_delay_alu instid0(VALU_DEP_1) | instskip(NEXT) | instid1(VALU_DEP_1)
	v_mul_f32_e32 v3, 0x2f800000, v2
	v_trunc_f32_e32 v3, v3
	s_delay_alu instid0(VALU_DEP_1) | instskip(SKIP_1) | instid1(VALU_DEP_2)
	v_fmac_f32_e32 v2, 0xcf800000, v3
	v_cvt_u32_f32_e32 v3, v3
	v_cvt_u32_f32_e32 v2, v2
	s_delay_alu instid0(VALU_DEP_2) | instskip(NEXT) | instid1(VALU_DEP_2)
	v_mul_lo_u32 v4, s0, v3
	v_mul_hi_u32 v6, s0, v2
	v_mul_lo_u32 v7, s31, v2
	s_delay_alu instid0(VALU_DEP_2) | instskip(SKIP_1) | instid1(VALU_DEP_2)
	v_add_nc_u32_e32 v4, v6, v4
	v_mul_lo_u32 v6, s0, v2
	v_add_nc_u32_e32 v4, v4, v7
	s_delay_alu instid0(VALU_DEP_2) | instskip(NEXT) | instid1(VALU_DEP_2)
	v_mul_hi_u32 v7, v2, v6
	v_mul_lo_u32 v9, v2, v4
	v_mul_hi_u32 v10, v2, v4
	v_mul_hi_u32 v11, v3, v6
	v_mul_lo_u32 v6, v3, v6
	v_mul_hi_u32 v12, v3, v4
	v_mul_lo_u32 v4, v3, v4
	v_add_co_u32 v7, vcc_lo, v7, v9
	v_add_co_ci_u32_e32 v9, vcc_lo, 0, v10, vcc_lo
	s_delay_alu instid0(VALU_DEP_2) | instskip(NEXT) | instid1(VALU_DEP_2)
	v_add_co_u32 v6, vcc_lo, v7, v6
	v_add_co_ci_u32_e32 v6, vcc_lo, v9, v11, vcc_lo
	v_add_co_ci_u32_e32 v7, vcc_lo, 0, v12, vcc_lo
	s_delay_alu instid0(VALU_DEP_2) | instskip(NEXT) | instid1(VALU_DEP_2)
	v_add_co_u32 v4, vcc_lo, v6, v4
	v_add_co_ci_u32_e32 v6, vcc_lo, 0, v7, vcc_lo
	s_delay_alu instid0(VALU_DEP_2) | instskip(NEXT) | instid1(VALU_DEP_2)
	v_add_co_u32 v2, vcc_lo, v2, v4
	v_add_co_ci_u32_e32 v3, vcc_lo, v3, v6, vcc_lo
	s_delay_alu instid0(VALU_DEP_2) | instskip(SKIP_1) | instid1(VALU_DEP_3)
	v_mul_hi_u32 v4, s0, v2
	v_mul_lo_u32 v7, s31, v2
	v_mul_lo_u32 v6, s0, v3
	s_delay_alu instid0(VALU_DEP_1) | instskip(SKIP_1) | instid1(VALU_DEP_2)
	v_add_nc_u32_e32 v4, v4, v6
	v_mul_lo_u32 v6, s0, v2
	v_add_nc_u32_e32 v4, v4, v7
	s_delay_alu instid0(VALU_DEP_2) | instskip(NEXT) | instid1(VALU_DEP_2)
	v_mul_hi_u32 v7, v2, v6
	v_mul_lo_u32 v9, v2, v4
	v_mul_hi_u32 v10, v2, v4
	v_mul_hi_u32 v11, v3, v6
	v_mul_lo_u32 v6, v3, v6
	v_mul_hi_u32 v12, v3, v4
	v_mul_lo_u32 v4, v3, v4
	v_add_co_u32 v7, vcc_lo, v7, v9
	v_add_co_ci_u32_e32 v9, vcc_lo, 0, v10, vcc_lo
	s_delay_alu instid0(VALU_DEP_2) | instskip(NEXT) | instid1(VALU_DEP_2)
	v_add_co_u32 v6, vcc_lo, v7, v6
	v_add_co_ci_u32_e32 v6, vcc_lo, v9, v11, vcc_lo
	v_add_co_ci_u32_e32 v7, vcc_lo, 0, v12, vcc_lo
	s_delay_alu instid0(VALU_DEP_2) | instskip(NEXT) | instid1(VALU_DEP_2)
	v_add_co_u32 v4, vcc_lo, v6, v4
	v_add_co_ci_u32_e32 v6, vcc_lo, 0, v7, vcc_lo
	s_delay_alu instid0(VALU_DEP_2) | instskip(NEXT) | instid1(VALU_DEP_2)
	v_add_co_u32 v4, vcc_lo, v2, v4
	v_add_co_ci_u32_e32 v11, vcc_lo, v3, v6, vcc_lo
	s_delay_alu instid0(VALU_DEP_2) | instskip(SKIP_1) | instid1(VALU_DEP_3)
	v_mul_hi_u32 v12, v1, v4
	v_mad_u64_u32 v[6:7], null, 0, v4, 0
	v_mad_u64_u32 v[2:3], null, v1, v11, 0
	;; [unrolled: 1-line block ×3, first 2 shown]
	s_delay_alu instid0(VALU_DEP_2) | instskip(NEXT) | instid1(VALU_DEP_3)
	v_add_co_u32 v2, vcc_lo, v12, v2
	v_add_co_ci_u32_e32 v3, vcc_lo, 0, v3, vcc_lo
	s_delay_alu instid0(VALU_DEP_2) | instskip(NEXT) | instid1(VALU_DEP_2)
	v_add_co_u32 v2, vcc_lo, v2, v6
	v_add_co_ci_u32_e32 v2, vcc_lo, v3, v7, vcc_lo
	v_add_co_ci_u32_e32 v3, vcc_lo, 0, v10, vcc_lo
	s_delay_alu instid0(VALU_DEP_2) | instskip(NEXT) | instid1(VALU_DEP_2)
	v_add_co_u32 v4, vcc_lo, v2, v9
	v_add_co_ci_u32_e32 v6, vcc_lo, 0, v3, vcc_lo
	s_delay_alu instid0(VALU_DEP_2) | instskip(SKIP_1) | instid1(VALU_DEP_3)
	v_mul_lo_u32 v7, s21, v4
	v_mad_u64_u32 v[2:3], null, s20, v4, 0
	v_mul_lo_u32 v9, s20, v6
	s_delay_alu instid0(VALU_DEP_2) | instskip(NEXT) | instid1(VALU_DEP_2)
	v_sub_co_u32 v2, vcc_lo, v1, v2
	v_add3_u32 v3, v3, v9, v7
	s_delay_alu instid0(VALU_DEP_1) | instskip(NEXT) | instid1(VALU_DEP_1)
	v_sub_nc_u32_e32 v7, 0, v3
	v_subrev_co_ci_u32_e64 v7, s0, s21, v7, vcc_lo
	v_add_co_u32 v9, s0, v4, 2
	s_delay_alu instid0(VALU_DEP_1) | instskip(SKIP_3) | instid1(VALU_DEP_3)
	v_add_co_ci_u32_e64 v10, s0, 0, v6, s0
	v_sub_co_u32 v11, s0, v2, s20
	v_sub_co_ci_u32_e32 v3, vcc_lo, 0, v3, vcc_lo
	v_subrev_co_ci_u32_e64 v7, s0, 0, v7, s0
	v_cmp_le_u32_e32 vcc_lo, s20, v11
	s_delay_alu instid0(VALU_DEP_3) | instskip(SKIP_1) | instid1(VALU_DEP_4)
	v_cmp_eq_u32_e64 s0, s21, v3
	v_cndmask_b32_e64 v11, 0, -1, vcc_lo
	v_cmp_le_u32_e32 vcc_lo, s21, v7
	v_cndmask_b32_e64 v12, 0, -1, vcc_lo
	v_cmp_le_u32_e32 vcc_lo, s20, v2
	;; [unrolled: 2-line block ×3, first 2 shown]
	v_cndmask_b32_e64 v13, 0, -1, vcc_lo
	v_cmp_eq_u32_e32 vcc_lo, s21, v7
	s_delay_alu instid0(VALU_DEP_2) | instskip(SKIP_3) | instid1(VALU_DEP_3)
	v_cndmask_b32_e64 v2, v13, v2, s0
	v_cndmask_b32_e32 v7, v12, v11, vcc_lo
	v_add_co_u32 v11, vcc_lo, v4, 1
	v_add_co_ci_u32_e32 v12, vcc_lo, 0, v6, vcc_lo
	v_cmp_ne_u32_e32 vcc_lo, 0, v7
	s_delay_alu instid0(VALU_DEP_3) | instskip(NEXT) | instid1(VALU_DEP_3)
	v_cndmask_b32_e32 v7, v11, v9, vcc_lo
	v_cndmask_b32_e32 v3, v12, v10, vcc_lo
	v_cmp_ne_u32_e32 vcc_lo, 0, v2
	s_delay_alu instid0(VALU_DEP_2) | instskip(NEXT) | instid1(VALU_DEP_4)
	v_cndmask_b32_e32 v2, v6, v3, vcc_lo
	v_cndmask_b32_e32 v3, v4, v7, vcc_lo
	s_delay_alu instid0(VALU_DEP_2) | instskip(NEXT) | instid1(VALU_DEP_2)
	v_xor_b32_e32 v2, s19, v2
	v_xor_b32_e32 v3, s18, v3
	s_delay_alu instid0(VALU_DEP_1) | instskip(NEXT) | instid1(VALU_DEP_3)
	v_sub_co_u32 v6, vcc_lo, v3, s18
	v_subrev_co_ci_u32_e32 v7, vcc_lo, s19, v2, vcc_lo
.LBB134_19:                             ;   in Loop: Header=BB134_4 Depth=1
	s_and_not1_saveexec_b32 s0, s30
; %bb.20:                               ;   in Loop: Header=BB134_4 Depth=1
	v_mul_hi_u32 v2, v1, v8
	s_delay_alu instid0(VALU_DEP_1) | instskip(SKIP_1) | instid1(VALU_DEP_2)
	v_mul_lo_u32 v3, v2, s23
	v_add_nc_u32_e32 v4, 1, v2
	v_sub_nc_u32_e32 v3, v1, v3
	s_delay_alu instid0(VALU_DEP_1) | instskip(SKIP_1) | instid1(VALU_DEP_2)
	v_subrev_nc_u32_e32 v6, s23, v3
	v_cmp_le_u32_e32 vcc_lo, s23, v3
	v_dual_cndmask_b32 v3, v3, v6 :: v_dual_cndmask_b32 v2, v2, v4
	s_delay_alu instid0(VALU_DEP_1) | instskip(NEXT) | instid1(VALU_DEP_2)
	v_cmp_le_u32_e32 vcc_lo, s23, v3
	v_add_nc_u32_e32 v4, 1, v2
	s_delay_alu instid0(VALU_DEP_1) | instskip(NEXT) | instid1(VALU_DEP_1)
	v_cndmask_b32_e32 v4, v2, v4, vcc_lo
	v_dual_mov_b32 v7, v5 :: v_dual_mov_b32 v6, v4
; %bb.21:                               ;   in Loop: Header=BB134_4 Depth=1
	s_or_b32 exec_lo, exec_lo, s0
	s_mov_b32 s18, -1
	s_mov_b32 s0, exec_lo
	s_delay_alu instid0(VALU_DEP_1)
	v_cmpx_gt_i64_e64 s[2:3], v[6:7]
	s_cbranch_execz .LBB134_2
; %bb.22:                               ;   in Loop: Header=BB134_4 Depth=1
	v_mul_lo_u32 v2, v6, s23
	s_mov_b32 s18, exec_lo
	s_delay_alu instid0(VALU_DEP_1) | instskip(SKIP_2) | instid1(VALU_DEP_3)
	v_sub_nc_u32_e32 v1, v1, v2
	v_mul_lo_u32 v2, v6, s22
	v_lshlrev_b64 v[6:7], 2, v[6:7]
	v_lshlrev_b32_e32 v9, 2, v1
	s_delay_alu instid0(VALU_DEP_2) | instskip(NEXT) | instid1(VALU_DEP_2)
	v_add_co_u32 v6, vcc_lo, s4, v6
	v_add_lshl_u32 v1, v2, v9, 2
	v_mul_lo_u32 v10, v9, s2
	v_add_co_ci_u32_e32 v7, vcc_lo, s5, v7, vcc_lo
	buffer_load_b128 v[1:4], v1, s[8:11], 0 offen
	v_ashrrev_i32_e32 v11, 31, v10
	s_delay_alu instid0(VALU_DEP_1) | instskip(NEXT) | instid1(VALU_DEP_1)
	v_lshlrev_b64 v[10:11], 2, v[10:11]
	v_add_co_u32 v6, vcc_lo, v6, v10
	s_delay_alu instid0(VALU_DEP_2)
	v_add_co_ci_u32_e32 v7, vcc_lo, v7, v11, vcc_lo
	v_cmpx_gt_i32_e64 s22, v9
	s_cbranch_execz .LBB134_24
; %bb.23:                               ;   in Loop: Header=BB134_4 Depth=1
	s_waitcnt vmcnt(0)
	global_store_b32 v[6:7], v1, off
.LBB134_24:                             ;   in Loop: Header=BB134_4 Depth=1
	s_or_b32 exec_lo, exec_lo, s18
	s_waitcnt vmcnt(0)
	v_or_b32_e32 v1, 1, v9
	s_mov_b32 s18, exec_lo
	s_delay_alu instid0(VALU_DEP_1)
	v_cmpx_gt_i32_e64 s22, v1
	s_cbranch_execz .LBB134_26
; %bb.25:                               ;   in Loop: Header=BB134_4 Depth=1
	v_add_co_u32 v10, vcc_lo, v6, s12
	v_add_co_ci_u32_e32 v11, vcc_lo, s13, v7, vcc_lo
	global_store_b32 v[10:11], v2, off
.LBB134_26:                             ;   in Loop: Header=BB134_4 Depth=1
	s_or_b32 exec_lo, exec_lo, s18
	v_or_b32_e32 v1, 2, v9
	s_mov_b32 s18, exec_lo
	s_delay_alu instid0(VALU_DEP_1)
	v_cmpx_gt_i32_e64 s22, v1
	s_cbranch_execz .LBB134_28
; %bb.27:                               ;   in Loop: Header=BB134_4 Depth=1
	v_add_co_u32 v1, vcc_lo, v6, s14
	v_add_co_ci_u32_e32 v2, vcc_lo, s15, v7, vcc_lo
	global_store_b32 v[1:2], v3, off
.LBB134_28:                             ;   in Loop: Header=BB134_4 Depth=1
	s_or_b32 exec_lo, exec_lo, s18
	v_or_b32_e32 v1, 3, v9
	s_mov_b32 s18, exec_lo
	s_delay_alu instid0(VALU_DEP_1)
	v_cmpx_gt_i32_e64 s22, v1
	s_cbranch_execz .LBB134_1
; %bb.29:                               ;   in Loop: Header=BB134_4 Depth=1
	v_add_co_u32 v1, vcc_lo, v6, s16
	v_add_co_ci_u32_e32 v2, vcc_lo, s17, v7, vcc_lo
	global_store_b32 v[1:2], v4, off
	s_branch .LBB134_1
.LBB134_30:
	s_nop 0
	s_sendmsg sendmsg(MSG_DEALLOC_VGPRS)
	s_endpgm
	.section	.rodata,"a",@progbits
	.p2align	6, 0x0
	.amdhsa_kernel _ZN5aiter24partial_transpose_kernelIfLi256ELi4ELi10000EEEvPT_S2_PKii
		.amdhsa_group_segment_fixed_size 0
		.amdhsa_private_segment_fixed_size 0
		.amdhsa_kernarg_size 288
		.amdhsa_user_sgpr_count 15
		.amdhsa_user_sgpr_dispatch_ptr 0
		.amdhsa_user_sgpr_queue_ptr 0
		.amdhsa_user_sgpr_kernarg_segment_ptr 1
		.amdhsa_user_sgpr_dispatch_id 0
		.amdhsa_user_sgpr_private_segment_size 0
		.amdhsa_wavefront_size32 1
		.amdhsa_uses_dynamic_stack 0
		.amdhsa_enable_private_segment 0
		.amdhsa_system_sgpr_workgroup_id_x 1
		.amdhsa_system_sgpr_workgroup_id_y 0
		.amdhsa_system_sgpr_workgroup_id_z 0
		.amdhsa_system_sgpr_workgroup_info 0
		.amdhsa_system_vgpr_workitem_id 0
		.amdhsa_next_free_vgpr 14
		.amdhsa_next_free_sgpr 32
		.amdhsa_reserve_vcc 1
		.amdhsa_float_round_mode_32 0
		.amdhsa_float_round_mode_16_64 0
		.amdhsa_float_denorm_mode_32 3
		.amdhsa_float_denorm_mode_16_64 3
		.amdhsa_dx10_clamp 1
		.amdhsa_ieee_mode 1
		.amdhsa_fp16_overflow 0
		.amdhsa_workgroup_processor_mode 1
		.amdhsa_memory_ordered 1
		.amdhsa_forward_progress 0
		.amdhsa_shared_vgpr_count 0
		.amdhsa_exception_fp_ieee_invalid_op 0
		.amdhsa_exception_fp_denorm_src 0
		.amdhsa_exception_fp_ieee_div_zero 0
		.amdhsa_exception_fp_ieee_overflow 0
		.amdhsa_exception_fp_ieee_underflow 0
		.amdhsa_exception_fp_ieee_inexact 0
		.amdhsa_exception_int_div_zero 0
	.end_amdhsa_kernel
	.section	.text._ZN5aiter24partial_transpose_kernelIfLi256ELi4ELi10000EEEvPT_S2_PKii,"axG",@progbits,_ZN5aiter24partial_transpose_kernelIfLi256ELi4ELi10000EEEvPT_S2_PKii,comdat
.Lfunc_end134:
	.size	_ZN5aiter24partial_transpose_kernelIfLi256ELi4ELi10000EEEvPT_S2_PKii, .Lfunc_end134-_ZN5aiter24partial_transpose_kernelIfLi256ELi4ELi10000EEEvPT_S2_PKii
                                        ; -- End function
	.section	.AMDGPU.csdata,"",@progbits
; Kernel info:
; codeLenInByte = 2744
; NumSgprs: 34
; NumVgprs: 14
; ScratchSize: 0
; MemoryBound: 0
; FloatMode: 240
; IeeeMode: 1
; LDSByteSize: 0 bytes/workgroup (compile time only)
; SGPRBlocks: 4
; VGPRBlocks: 1
; NumSGPRsForWavesPerEU: 34
; NumVGPRsForWavesPerEU: 14
; Occupancy: 16
; WaveLimiterHint : 1
; COMPUTE_PGM_RSRC2:SCRATCH_EN: 0
; COMPUTE_PGM_RSRC2:USER_SGPR: 15
; COMPUTE_PGM_RSRC2:TRAP_HANDLER: 0
; COMPUTE_PGM_RSRC2:TGID_X_EN: 1
; COMPUTE_PGM_RSRC2:TGID_Y_EN: 0
; COMPUTE_PGM_RSRC2:TGID_Z_EN: 0
; COMPUTE_PGM_RSRC2:TIDIG_COMP_CNT: 0
	.section	.text._ZN5aiter24partial_transpose_kernelIDF16_Li256ELi4ELi10000EEEvPT_S2_PKii,"axG",@progbits,_ZN5aiter24partial_transpose_kernelIDF16_Li256ELi4ELi10000EEEvPT_S2_PKii,comdat
	.protected	_ZN5aiter24partial_transpose_kernelIDF16_Li256ELi4ELi10000EEEvPT_S2_PKii ; -- Begin function _ZN5aiter24partial_transpose_kernelIDF16_Li256ELi4ELi10000EEEvPT_S2_PKii
	.globl	_ZN5aiter24partial_transpose_kernelIDF16_Li256ELi4ELi10000EEEvPT_S2_PKii
	.p2align	8
	.type	_ZN5aiter24partial_transpose_kernelIDF16_Li256ELi4ELi10000EEEvPT_S2_PKii,@function
_ZN5aiter24partial_transpose_kernelIDF16_Li256ELi4ELi10000EEEvPT_S2_PKii: ; @_ZN5aiter24partial_transpose_kernelIDF16_Li256ELi4ELi10000EEEvPT_S2_PKii
; %bb.0:
	s_clause 0x2
	s_load_b64 s[2:3], s[0:1], 0x10
	s_load_b32 s22, s[0:1], 0x18
	s_load_b32 s12, s[0:1], 0x20
	v_lshl_add_u32 v6, s15, 8, v0
	s_mov_b32 s11, -1
	s_movk_i32 s25, 0x2710
	s_waitcnt lgkmcnt(0)
	s_load_b32 s2, s[2:3], 0x0
	s_add_i32 s3, s22, 3
	s_lshl_b32 s24, s12, 8
	s_ashr_i32 s4, s3, 31
	s_delay_alu instid0(SALU_CYCLE_1) | instskip(NEXT) | instid1(SALU_CYCLE_1)
	s_lshr_b32 s4, s4, 30
	s_add_i32 s3, s3, s4
	s_load_b128 s[4:7], s[0:1], 0x0
	s_ashr_i32 s23, s3, 2
	s_delay_alu instid0(SALU_CYCLE_1) | instskip(NEXT) | instid1(VALU_DEP_1)
	v_cvt_f32_u32_e32 v1, s23
	v_rcp_iflag_f32_e32 v1, v1
	s_waitcnt lgkmcnt(0)
	s_mul_i32 s0, s2, s22
	s_lshl_b32 s16, s2, 1
	s_add_i32 s0, s0, 1
	s_mul_i32 s18, s2, 3
	s_lshr_b32 s1, s0, 31
	s_ashr_i32 s3, s2, 31
	s_waitcnt_depctr 0xfff
	v_mul_f32_e32 v1, 0x4f7ffffe, v1
	s_add_i32 s0, s0, s1
	s_and_b32 s7, s7, 0xffff
	s_lshl_b32 s0, s0, 1
	s_mov_b64 s[8:9], s[6:7]
	v_cvt_u32_f32_e32 v2, v1
	s_and_b32 s10, s0, -4
	s_sub_i32 s0, 0, s23
	s_ashr_i32 s1, s23, 31
	s_ashr_i32 s17, s16, 31
	v_mul_lo_u32 v1, s0, v2
	s_ashr_i32 s19, s18, 31
	s_mov_b32 s6, 0
	s_mov_b32 s7, s1
	s_lshl_b64 s[12:13], s[2:3], 1
	s_lshl_b64 s[14:15], s[16:17], 1
	;; [unrolled: 1-line block ×3, first 2 shown]
	s_mov_b32 s26, s6
	v_mul_hi_u32 v3, v2, v1
	v_mov_b32_e32 v1, 0
	s_delay_alu instid0(VALU_DEP_2)
	v_add_nc_u32_e32 v7, v2, v3
	s_branch .LBB135_3
.LBB135_1:                              ;   in Loop: Header=BB135_3 Depth=1
	s_or_b32 exec_lo, exec_lo, s18
	s_add_i32 s25, s25, -1
	v_add_nc_u32_e32 v6, s24, v6
	s_cmp_eq_u32 s25, 0
	s_cselect_b32 s18, -1, 0
	s_delay_alu instid0(SALU_CYCLE_1)
	s_or_not1_b32 s18, s18, exec_lo
.LBB135_2:                              ;   in Loop: Header=BB135_3 Depth=1
	s_or_b32 exec_lo, exec_lo, s0
	s_delay_alu instid0(SALU_CYCLE_1) | instskip(NEXT) | instid1(SALU_CYCLE_1)
	s_and_b32 s0, exec_lo, s18
	s_or_b32 s26, s0, s26
	s_delay_alu instid0(SALU_CYCLE_1)
	s_and_not1_b32 exec_lo, exec_lo, s26
	s_cbranch_execz .LBB135_16
.LBB135_3:                              ; =>This Inner Loop Header: Depth=1
	s_cmp_lg_u64 s[6:7], 0
                                        ; implicit-def: $vgpr4_vgpr5
	s_cselect_b32 s0, -1, 0
	s_delay_alu instid0(SALU_CYCLE_1) | instskip(NEXT) | instid1(SALU_CYCLE_1)
	s_and_saveexec_b32 s18, s0
	s_xor_b32 s27, exec_lo, s18
	s_cbranch_execz .LBB135_5
; %bb.4:                                ;   in Loop: Header=BB135_3 Depth=1
	s_add_u32 s20, s23, s1
	s_mov_b32 s18, s1
	s_mov_b32 s19, s1
	s_addc_u32 s21, s1, s1
	s_delay_alu instid0(SALU_CYCLE_1) | instskip(NEXT) | instid1(SALU_CYCLE_1)
	s_xor_b64 s[20:21], s[20:21], s[18:19]
	v_cvt_f32_u32_e32 v0, s20
	v_cvt_f32_u32_e32 v2, s21
	s_sub_u32 s0, 0, s20
	s_subb_u32 s28, 0, s21
	s_delay_alu instid0(VALU_DEP_1) | instskip(NEXT) | instid1(VALU_DEP_1)
	v_fmac_f32_e32 v0, 0x4f800000, v2
	v_rcp_f32_e32 v0, v0
	s_waitcnt_depctr 0xfff
	v_mul_f32_e32 v0, 0x5f7ffffc, v0
	s_delay_alu instid0(VALU_DEP_1) | instskip(NEXT) | instid1(VALU_DEP_1)
	v_mul_f32_e32 v2, 0x2f800000, v0
	v_trunc_f32_e32 v2, v2
	s_delay_alu instid0(VALU_DEP_1) | instskip(SKIP_1) | instid1(VALU_DEP_2)
	v_fmac_f32_e32 v0, 0xcf800000, v2
	v_cvt_u32_f32_e32 v2, v2
	v_cvt_u32_f32_e32 v0, v0
	s_delay_alu instid0(VALU_DEP_2) | instskip(NEXT) | instid1(VALU_DEP_2)
	v_mul_lo_u32 v3, s0, v2
	v_mul_hi_u32 v4, s0, v0
	v_mul_lo_u32 v5, s28, v0
	s_delay_alu instid0(VALU_DEP_2) | instskip(SKIP_1) | instid1(VALU_DEP_2)
	v_add_nc_u32_e32 v3, v4, v3
	v_mul_lo_u32 v4, s0, v0
	v_add_nc_u32_e32 v3, v3, v5
	s_delay_alu instid0(VALU_DEP_2) | instskip(NEXT) | instid1(VALU_DEP_2)
	v_mul_hi_u32 v5, v0, v4
	v_mul_lo_u32 v8, v0, v3
	v_mul_hi_u32 v9, v0, v3
	v_mul_hi_u32 v10, v2, v4
	v_mul_lo_u32 v4, v2, v4
	v_mul_hi_u32 v11, v2, v3
	v_mul_lo_u32 v3, v2, v3
	v_add_co_u32 v5, vcc_lo, v5, v8
	v_add_co_ci_u32_e32 v8, vcc_lo, 0, v9, vcc_lo
	s_delay_alu instid0(VALU_DEP_2) | instskip(NEXT) | instid1(VALU_DEP_2)
	v_add_co_u32 v4, vcc_lo, v5, v4
	v_add_co_ci_u32_e32 v4, vcc_lo, v8, v10, vcc_lo
	v_add_co_ci_u32_e32 v5, vcc_lo, 0, v11, vcc_lo
	s_delay_alu instid0(VALU_DEP_2) | instskip(NEXT) | instid1(VALU_DEP_2)
	v_add_co_u32 v3, vcc_lo, v4, v3
	v_add_co_ci_u32_e32 v4, vcc_lo, 0, v5, vcc_lo
	s_delay_alu instid0(VALU_DEP_2) | instskip(NEXT) | instid1(VALU_DEP_2)
	v_add_co_u32 v0, vcc_lo, v0, v3
	v_add_co_ci_u32_e32 v2, vcc_lo, v2, v4, vcc_lo
	s_delay_alu instid0(VALU_DEP_2) | instskip(SKIP_1) | instid1(VALU_DEP_3)
	v_mul_hi_u32 v3, s0, v0
	v_mul_lo_u32 v5, s28, v0
	v_mul_lo_u32 v4, s0, v2
	s_delay_alu instid0(VALU_DEP_1) | instskip(SKIP_1) | instid1(VALU_DEP_2)
	v_add_nc_u32_e32 v3, v3, v4
	v_mul_lo_u32 v4, s0, v0
	v_add_nc_u32_e32 v3, v3, v5
	s_delay_alu instid0(VALU_DEP_2) | instskip(NEXT) | instid1(VALU_DEP_2)
	v_mul_hi_u32 v5, v0, v4
	v_mul_lo_u32 v8, v0, v3
	v_mul_hi_u32 v9, v0, v3
	v_mul_hi_u32 v10, v2, v4
	v_mul_lo_u32 v4, v2, v4
	v_mul_hi_u32 v11, v2, v3
	v_mul_lo_u32 v3, v2, v3
	v_add_co_u32 v5, vcc_lo, v5, v8
	v_add_co_ci_u32_e32 v8, vcc_lo, 0, v9, vcc_lo
	s_delay_alu instid0(VALU_DEP_2) | instskip(NEXT) | instid1(VALU_DEP_2)
	v_add_co_u32 v4, vcc_lo, v5, v4
	v_add_co_ci_u32_e32 v4, vcc_lo, v8, v10, vcc_lo
	v_add_co_ci_u32_e32 v5, vcc_lo, 0, v11, vcc_lo
	s_delay_alu instid0(VALU_DEP_2) | instskip(NEXT) | instid1(VALU_DEP_2)
	v_add_co_u32 v3, vcc_lo, v4, v3
	v_add_co_ci_u32_e32 v4, vcc_lo, 0, v5, vcc_lo
	s_delay_alu instid0(VALU_DEP_2) | instskip(NEXT) | instid1(VALU_DEP_2)
	v_add_co_u32 v0, vcc_lo, v0, v3
	v_add_co_ci_u32_e32 v10, vcc_lo, v2, v4, vcc_lo
	s_delay_alu instid0(VALU_DEP_2) | instskip(SKIP_1) | instid1(VALU_DEP_3)
	v_mul_hi_u32 v11, v6, v0
	v_mad_u64_u32 v[4:5], null, 0, v0, 0
	v_mad_u64_u32 v[2:3], null, v6, v10, 0
	;; [unrolled: 1-line block ×3, first 2 shown]
	s_delay_alu instid0(VALU_DEP_2) | instskip(NEXT) | instid1(VALU_DEP_3)
	v_add_co_u32 v0, vcc_lo, v11, v2
	v_add_co_ci_u32_e32 v2, vcc_lo, 0, v3, vcc_lo
	s_delay_alu instid0(VALU_DEP_2) | instskip(NEXT) | instid1(VALU_DEP_2)
	v_add_co_u32 v0, vcc_lo, v0, v4
	v_add_co_ci_u32_e32 v0, vcc_lo, v2, v5, vcc_lo
	v_add_co_ci_u32_e32 v2, vcc_lo, 0, v9, vcc_lo
	s_delay_alu instid0(VALU_DEP_2) | instskip(NEXT) | instid1(VALU_DEP_2)
	v_add_co_u32 v0, vcc_lo, v0, v8
	v_add_co_ci_u32_e32 v4, vcc_lo, 0, v2, vcc_lo
	s_delay_alu instid0(VALU_DEP_2) | instskip(SKIP_1) | instid1(VALU_DEP_3)
	v_mul_lo_u32 v5, s21, v0
	v_mad_u64_u32 v[2:3], null, s20, v0, 0
	v_mul_lo_u32 v8, s20, v4
	s_delay_alu instid0(VALU_DEP_2) | instskip(NEXT) | instid1(VALU_DEP_2)
	v_sub_co_u32 v2, vcc_lo, v6, v2
	v_add3_u32 v3, v3, v8, v5
	s_delay_alu instid0(VALU_DEP_1) | instskip(NEXT) | instid1(VALU_DEP_1)
	v_sub_nc_u32_e32 v5, 0, v3
	v_subrev_co_ci_u32_e64 v5, s0, s21, v5, vcc_lo
	v_add_co_u32 v8, s0, v0, 2
	s_delay_alu instid0(VALU_DEP_1) | instskip(SKIP_3) | instid1(VALU_DEP_3)
	v_add_co_ci_u32_e64 v9, s0, 0, v4, s0
	v_sub_co_u32 v10, s0, v2, s20
	v_sub_co_ci_u32_e32 v3, vcc_lo, 0, v3, vcc_lo
	v_subrev_co_ci_u32_e64 v5, s0, 0, v5, s0
	v_cmp_le_u32_e32 vcc_lo, s20, v10
	s_delay_alu instid0(VALU_DEP_3) | instskip(SKIP_1) | instid1(VALU_DEP_4)
	v_cmp_eq_u32_e64 s0, s21, v3
	v_cndmask_b32_e64 v10, 0, -1, vcc_lo
	v_cmp_le_u32_e32 vcc_lo, s21, v5
	v_cndmask_b32_e64 v11, 0, -1, vcc_lo
	v_cmp_le_u32_e32 vcc_lo, s20, v2
	;; [unrolled: 2-line block ×3, first 2 shown]
	v_cndmask_b32_e64 v12, 0, -1, vcc_lo
	v_cmp_eq_u32_e32 vcc_lo, s21, v5
	s_delay_alu instid0(VALU_DEP_2) | instskip(SKIP_3) | instid1(VALU_DEP_3)
	v_cndmask_b32_e64 v2, v12, v2, s0
	v_cndmask_b32_e32 v5, v11, v10, vcc_lo
	v_add_co_u32 v10, vcc_lo, v0, 1
	v_add_co_ci_u32_e32 v11, vcc_lo, 0, v4, vcc_lo
	v_cmp_ne_u32_e32 vcc_lo, 0, v5
	s_delay_alu instid0(VALU_DEP_2) | instskip(NEXT) | instid1(VALU_DEP_4)
	v_cndmask_b32_e32 v3, v11, v9, vcc_lo
	v_cndmask_b32_e32 v5, v10, v8, vcc_lo
	v_cmp_ne_u32_e32 vcc_lo, 0, v2
	s_delay_alu instid0(VALU_DEP_3) | instskip(NEXT) | instid1(VALU_DEP_3)
	v_cndmask_b32_e32 v2, v4, v3, vcc_lo
	v_cndmask_b32_e32 v0, v0, v5, vcc_lo
	s_delay_alu instid0(VALU_DEP_2) | instskip(NEXT) | instid1(VALU_DEP_2)
	v_xor_b32_e32 v2, s19, v2
	v_xor_b32_e32 v0, s18, v0
	s_delay_alu instid0(VALU_DEP_1) | instskip(NEXT) | instid1(VALU_DEP_3)
	v_sub_co_u32 v4, vcc_lo, v0, s18
	v_subrev_co_ci_u32_e32 v5, vcc_lo, s19, v2, vcc_lo
.LBB135_5:                              ;   in Loop: Header=BB135_3 Depth=1
	s_and_not1_saveexec_b32 s0, s27
	s_cbranch_execz .LBB135_7
; %bb.6:                                ;   in Loop: Header=BB135_3 Depth=1
	v_mul_hi_u32 v0, v6, v7
	s_delay_alu instid0(VALU_DEP_1) | instskip(SKIP_1) | instid1(VALU_DEP_2)
	v_mul_lo_u32 v2, v0, s23
	v_add_nc_u32_e32 v3, 1, v0
	v_sub_nc_u32_e32 v2, v6, v2
	s_delay_alu instid0(VALU_DEP_1) | instskip(SKIP_1) | instid1(VALU_DEP_2)
	v_subrev_nc_u32_e32 v4, s23, v2
	v_cmp_le_u32_e32 vcc_lo, s23, v2
	v_cndmask_b32_e32 v2, v2, v4, vcc_lo
	v_cndmask_b32_e32 v0, v0, v3, vcc_lo
	s_delay_alu instid0(VALU_DEP_2) | instskip(NEXT) | instid1(VALU_DEP_2)
	v_cmp_le_u32_e32 vcc_lo, s23, v2
	v_add_nc_u32_e32 v3, 1, v0
	s_delay_alu instid0(VALU_DEP_1) | instskip(NEXT) | instid1(VALU_DEP_1)
	v_cndmask_b32_e32 v0, v0, v3, vcc_lo
	v_dual_mov_b32 v5, v1 :: v_dual_mov_b32 v4, v0
.LBB135_7:                              ;   in Loop: Header=BB135_3 Depth=1
	s_or_b32 exec_lo, exec_lo, s0
	s_mov_b32 s18, -1
	s_mov_b32 s0, exec_lo
	s_delay_alu instid0(VALU_DEP_1)
	v_cmpx_gt_i64_e64 s[2:3], v[4:5]
	s_cbranch_execz .LBB135_2
; %bb.8:                                ;   in Loop: Header=BB135_3 Depth=1
	v_mul_lo_u32 v0, v4, s23
	v_mul_lo_u32 v2, v4, s22
	v_lshlrev_b64 v[4:5], 1, v[4:5]
	s_mov_b32 s18, exec_lo
	s_delay_alu instid0(VALU_DEP_1) | instskip(NEXT) | instid1(VALU_DEP_4)
	v_add_co_u32 v4, vcc_lo, s4, v4
	v_sub_nc_u32_e32 v0, v6, v0
	s_delay_alu instid0(VALU_DEP_3) | instskip(NEXT) | instid1(VALU_DEP_2)
	v_add_co_ci_u32_e32 v5, vcc_lo, s5, v5, vcc_lo
	v_lshlrev_b32_e32 v0, 2, v0
	s_delay_alu instid0(VALU_DEP_1) | instskip(SKIP_3) | instid1(VALU_DEP_1)
	v_add_lshl_u32 v2, v2, v0, 1
	v_mul_lo_u32 v8, v0, s2
	buffer_load_b64 v[2:3], v2, s[8:11], 0 offen
	v_ashrrev_i32_e32 v9, 31, v8
	v_lshlrev_b64 v[8:9], 1, v[8:9]
	s_delay_alu instid0(VALU_DEP_1) | instskip(NEXT) | instid1(VALU_DEP_2)
	v_add_co_u32 v4, vcc_lo, v4, v8
	v_add_co_ci_u32_e32 v5, vcc_lo, v5, v9, vcc_lo
	v_cmpx_gt_i32_e64 s22, v0
	s_cbranch_execz .LBB135_10
; %bb.9:                                ;   in Loop: Header=BB135_3 Depth=1
	s_waitcnt vmcnt(0)
	global_store_b16 v[4:5], v2, off
.LBB135_10:                             ;   in Loop: Header=BB135_3 Depth=1
	s_or_b32 exec_lo, exec_lo, s18
	v_or_b32_e32 v8, 1, v0
	s_mov_b32 s18, exec_lo
	s_delay_alu instid0(VALU_DEP_1)
	v_cmpx_gt_i32_e64 s22, v8
	s_cbranch_execz .LBB135_12
; %bb.11:                               ;   in Loop: Header=BB135_3 Depth=1
	v_add_co_u32 v8, vcc_lo, v4, s12
	v_add_co_ci_u32_e32 v9, vcc_lo, s13, v5, vcc_lo
	s_waitcnt vmcnt(0)
	global_store_d16_hi_b16 v[8:9], v2, off
.LBB135_12:                             ;   in Loop: Header=BB135_3 Depth=1
	s_or_b32 exec_lo, exec_lo, s18
	s_waitcnt vmcnt(0)
	v_or_b32_e32 v2, 2, v0
	s_mov_b32 s18, exec_lo
	s_delay_alu instid0(VALU_DEP_1)
	v_cmpx_gt_i32_e64 s22, v2
	s_cbranch_execz .LBB135_14
; %bb.13:                               ;   in Loop: Header=BB135_3 Depth=1
	v_add_co_u32 v8, vcc_lo, v4, s14
	v_add_co_ci_u32_e32 v9, vcc_lo, s15, v5, vcc_lo
	global_store_b16 v[8:9], v3, off
.LBB135_14:                             ;   in Loop: Header=BB135_3 Depth=1
	s_or_b32 exec_lo, exec_lo, s18
	v_or_b32_e32 v0, 3, v0
	s_mov_b32 s18, exec_lo
	s_delay_alu instid0(VALU_DEP_1)
	v_cmpx_gt_i32_e64 s22, v0
	s_cbranch_execz .LBB135_1
; %bb.15:                               ;   in Loop: Header=BB135_3 Depth=1
	v_add_co_u32 v4, vcc_lo, v4, s16
	v_add_co_ci_u32_e32 v5, vcc_lo, s17, v5, vcc_lo
	global_store_d16_hi_b16 v[4:5], v3, off
	s_branch .LBB135_1
.LBB135_16:
	s_nop 0
	s_sendmsg sendmsg(MSG_DEALLOC_VGPRS)
	s_endpgm
	.section	.rodata,"a",@progbits
	.p2align	6, 0x0
	.amdhsa_kernel _ZN5aiter24partial_transpose_kernelIDF16_Li256ELi4ELi10000EEEvPT_S2_PKii
		.amdhsa_group_segment_fixed_size 0
		.amdhsa_private_segment_fixed_size 0
		.amdhsa_kernarg_size 288
		.amdhsa_user_sgpr_count 15
		.amdhsa_user_sgpr_dispatch_ptr 0
		.amdhsa_user_sgpr_queue_ptr 0
		.amdhsa_user_sgpr_kernarg_segment_ptr 1
		.amdhsa_user_sgpr_dispatch_id 0
		.amdhsa_user_sgpr_private_segment_size 0
		.amdhsa_wavefront_size32 1
		.amdhsa_uses_dynamic_stack 0
		.amdhsa_enable_private_segment 0
		.amdhsa_system_sgpr_workgroup_id_x 1
		.amdhsa_system_sgpr_workgroup_id_y 0
		.amdhsa_system_sgpr_workgroup_id_z 0
		.amdhsa_system_sgpr_workgroup_info 0
		.amdhsa_system_vgpr_workitem_id 0
		.amdhsa_next_free_vgpr 13
		.amdhsa_next_free_sgpr 29
		.amdhsa_reserve_vcc 1
		.amdhsa_float_round_mode_32 0
		.amdhsa_float_round_mode_16_64 0
		.amdhsa_float_denorm_mode_32 3
		.amdhsa_float_denorm_mode_16_64 3
		.amdhsa_dx10_clamp 1
		.amdhsa_ieee_mode 1
		.amdhsa_fp16_overflow 0
		.amdhsa_workgroup_processor_mode 1
		.amdhsa_memory_ordered 1
		.amdhsa_forward_progress 0
		.amdhsa_shared_vgpr_count 0
		.amdhsa_exception_fp_ieee_invalid_op 0
		.amdhsa_exception_fp_denorm_src 0
		.amdhsa_exception_fp_ieee_div_zero 0
		.amdhsa_exception_fp_ieee_overflow 0
		.amdhsa_exception_fp_ieee_underflow 0
		.amdhsa_exception_fp_ieee_inexact 0
		.amdhsa_exception_int_div_zero 0
	.end_amdhsa_kernel
	.section	.text._ZN5aiter24partial_transpose_kernelIDF16_Li256ELi4ELi10000EEEvPT_S2_PKii,"axG",@progbits,_ZN5aiter24partial_transpose_kernelIDF16_Li256ELi4ELi10000EEEvPT_S2_PKii,comdat
.Lfunc_end135:
	.size	_ZN5aiter24partial_transpose_kernelIDF16_Li256ELi4ELi10000EEEvPT_S2_PKii, .Lfunc_end135-_ZN5aiter24partial_transpose_kernelIDF16_Li256ELi4ELi10000EEEvPT_S2_PKii
                                        ; -- End function
	.section	.AMDGPU.csdata,"",@progbits
; Kernel info:
; codeLenInByte = 1532
; NumSgprs: 31
; NumVgprs: 13
; ScratchSize: 0
; MemoryBound: 0
; FloatMode: 240
; IeeeMode: 1
; LDSByteSize: 0 bytes/workgroup (compile time only)
; SGPRBlocks: 3
; VGPRBlocks: 1
; NumSGPRsForWavesPerEU: 31
; NumVGPRsForWavesPerEU: 13
; Occupancy: 16
; WaveLimiterHint : 1
; COMPUTE_PGM_RSRC2:SCRATCH_EN: 0
; COMPUTE_PGM_RSRC2:USER_SGPR: 15
; COMPUTE_PGM_RSRC2:TRAP_HANDLER: 0
; COMPUTE_PGM_RSRC2:TGID_X_EN: 1
; COMPUTE_PGM_RSRC2:TGID_Y_EN: 0
; COMPUTE_PGM_RSRC2:TGID_Z_EN: 0
; COMPUTE_PGM_RSRC2:TIDIG_COMP_CNT: 0
	.section	.text._ZN5aiter24partial_transpose_kernelItLi256ELi4ELi10000EEEvPT_S2_PKii,"axG",@progbits,_ZN5aiter24partial_transpose_kernelItLi256ELi4ELi10000EEEvPT_S2_PKii,comdat
	.protected	_ZN5aiter24partial_transpose_kernelItLi256ELi4ELi10000EEEvPT_S2_PKii ; -- Begin function _ZN5aiter24partial_transpose_kernelItLi256ELi4ELi10000EEEvPT_S2_PKii
	.globl	_ZN5aiter24partial_transpose_kernelItLi256ELi4ELi10000EEEvPT_S2_PKii
	.p2align	8
	.type	_ZN5aiter24partial_transpose_kernelItLi256ELi4ELi10000EEEvPT_S2_PKii,@function
_ZN5aiter24partial_transpose_kernelItLi256ELi4ELi10000EEEvPT_S2_PKii: ; @_ZN5aiter24partial_transpose_kernelItLi256ELi4ELi10000EEEvPT_S2_PKii
; %bb.0:
	s_clause 0x2
	s_load_b64 s[2:3], s[0:1], 0x10
	s_load_b32 s22, s[0:1], 0x18
	s_load_b32 s12, s[0:1], 0x20
	v_lshl_add_u32 v6, s15, 8, v0
	s_mov_b32 s11, -1
	s_movk_i32 s25, 0x2710
	s_waitcnt lgkmcnt(0)
	s_load_b32 s2, s[2:3], 0x0
	s_add_i32 s3, s22, 3
	s_lshl_b32 s24, s12, 8
	s_ashr_i32 s4, s3, 31
	s_delay_alu instid0(SALU_CYCLE_1) | instskip(NEXT) | instid1(SALU_CYCLE_1)
	s_lshr_b32 s4, s4, 30
	s_add_i32 s3, s3, s4
	s_load_b128 s[4:7], s[0:1], 0x0
	s_ashr_i32 s23, s3, 2
	s_delay_alu instid0(SALU_CYCLE_1) | instskip(NEXT) | instid1(VALU_DEP_1)
	v_cvt_f32_u32_e32 v1, s23
	v_rcp_iflag_f32_e32 v1, v1
	s_waitcnt lgkmcnt(0)
	s_mul_i32 s0, s2, s22
	s_lshl_b32 s16, s2, 1
	s_add_i32 s0, s0, 1
	s_mul_i32 s18, s2, 3
	s_lshr_b32 s1, s0, 31
	s_ashr_i32 s3, s2, 31
	s_waitcnt_depctr 0xfff
	v_mul_f32_e32 v1, 0x4f7ffffe, v1
	s_add_i32 s0, s0, s1
	s_and_b32 s7, s7, 0xffff
	s_lshl_b32 s0, s0, 1
	s_mov_b64 s[8:9], s[6:7]
	v_cvt_u32_f32_e32 v2, v1
	s_and_b32 s10, s0, -4
	s_sub_i32 s0, 0, s23
	s_ashr_i32 s1, s23, 31
	s_ashr_i32 s17, s16, 31
	v_mul_lo_u32 v1, s0, v2
	s_ashr_i32 s19, s18, 31
	s_mov_b32 s6, 0
	s_mov_b32 s7, s1
	s_lshl_b64 s[12:13], s[2:3], 1
	s_lshl_b64 s[14:15], s[16:17], 1
	;; [unrolled: 1-line block ×3, first 2 shown]
	s_mov_b32 s26, s6
	v_mul_hi_u32 v3, v2, v1
	v_mov_b32_e32 v1, 0
	s_delay_alu instid0(VALU_DEP_2)
	v_add_nc_u32_e32 v7, v2, v3
	s_branch .LBB136_3
.LBB136_1:                              ;   in Loop: Header=BB136_3 Depth=1
	s_or_b32 exec_lo, exec_lo, s18
	s_add_i32 s25, s25, -1
	v_add_nc_u32_e32 v6, s24, v6
	s_cmp_eq_u32 s25, 0
	s_cselect_b32 s18, -1, 0
	s_delay_alu instid0(SALU_CYCLE_1)
	s_or_not1_b32 s18, s18, exec_lo
.LBB136_2:                              ;   in Loop: Header=BB136_3 Depth=1
	s_or_b32 exec_lo, exec_lo, s0
	s_delay_alu instid0(SALU_CYCLE_1) | instskip(NEXT) | instid1(SALU_CYCLE_1)
	s_and_b32 s0, exec_lo, s18
	s_or_b32 s26, s0, s26
	s_delay_alu instid0(SALU_CYCLE_1)
	s_and_not1_b32 exec_lo, exec_lo, s26
	s_cbranch_execz .LBB136_16
.LBB136_3:                              ; =>This Inner Loop Header: Depth=1
	s_cmp_lg_u64 s[6:7], 0
                                        ; implicit-def: $vgpr4_vgpr5
	s_cselect_b32 s0, -1, 0
	s_delay_alu instid0(SALU_CYCLE_1) | instskip(NEXT) | instid1(SALU_CYCLE_1)
	s_and_saveexec_b32 s18, s0
	s_xor_b32 s27, exec_lo, s18
	s_cbranch_execz .LBB136_5
; %bb.4:                                ;   in Loop: Header=BB136_3 Depth=1
	s_add_u32 s20, s23, s1
	s_mov_b32 s18, s1
	s_mov_b32 s19, s1
	s_addc_u32 s21, s1, s1
	s_delay_alu instid0(SALU_CYCLE_1) | instskip(NEXT) | instid1(SALU_CYCLE_1)
	s_xor_b64 s[20:21], s[20:21], s[18:19]
	v_cvt_f32_u32_e32 v0, s20
	v_cvt_f32_u32_e32 v2, s21
	s_sub_u32 s0, 0, s20
	s_subb_u32 s28, 0, s21
	s_delay_alu instid0(VALU_DEP_1) | instskip(NEXT) | instid1(VALU_DEP_1)
	v_fmac_f32_e32 v0, 0x4f800000, v2
	v_rcp_f32_e32 v0, v0
	s_waitcnt_depctr 0xfff
	v_mul_f32_e32 v0, 0x5f7ffffc, v0
	s_delay_alu instid0(VALU_DEP_1) | instskip(NEXT) | instid1(VALU_DEP_1)
	v_mul_f32_e32 v2, 0x2f800000, v0
	v_trunc_f32_e32 v2, v2
	s_delay_alu instid0(VALU_DEP_1) | instskip(SKIP_1) | instid1(VALU_DEP_2)
	v_fmac_f32_e32 v0, 0xcf800000, v2
	v_cvt_u32_f32_e32 v2, v2
	v_cvt_u32_f32_e32 v0, v0
	s_delay_alu instid0(VALU_DEP_2) | instskip(NEXT) | instid1(VALU_DEP_2)
	v_mul_lo_u32 v3, s0, v2
	v_mul_hi_u32 v4, s0, v0
	v_mul_lo_u32 v5, s28, v0
	s_delay_alu instid0(VALU_DEP_2) | instskip(SKIP_1) | instid1(VALU_DEP_2)
	v_add_nc_u32_e32 v3, v4, v3
	v_mul_lo_u32 v4, s0, v0
	v_add_nc_u32_e32 v3, v3, v5
	s_delay_alu instid0(VALU_DEP_2) | instskip(NEXT) | instid1(VALU_DEP_2)
	v_mul_hi_u32 v5, v0, v4
	v_mul_lo_u32 v8, v0, v3
	v_mul_hi_u32 v9, v0, v3
	v_mul_hi_u32 v10, v2, v4
	v_mul_lo_u32 v4, v2, v4
	v_mul_hi_u32 v11, v2, v3
	v_mul_lo_u32 v3, v2, v3
	v_add_co_u32 v5, vcc_lo, v5, v8
	v_add_co_ci_u32_e32 v8, vcc_lo, 0, v9, vcc_lo
	s_delay_alu instid0(VALU_DEP_2) | instskip(NEXT) | instid1(VALU_DEP_2)
	v_add_co_u32 v4, vcc_lo, v5, v4
	v_add_co_ci_u32_e32 v4, vcc_lo, v8, v10, vcc_lo
	v_add_co_ci_u32_e32 v5, vcc_lo, 0, v11, vcc_lo
	s_delay_alu instid0(VALU_DEP_2) | instskip(NEXT) | instid1(VALU_DEP_2)
	v_add_co_u32 v3, vcc_lo, v4, v3
	v_add_co_ci_u32_e32 v4, vcc_lo, 0, v5, vcc_lo
	s_delay_alu instid0(VALU_DEP_2) | instskip(NEXT) | instid1(VALU_DEP_2)
	v_add_co_u32 v0, vcc_lo, v0, v3
	v_add_co_ci_u32_e32 v2, vcc_lo, v2, v4, vcc_lo
	s_delay_alu instid0(VALU_DEP_2) | instskip(SKIP_1) | instid1(VALU_DEP_3)
	v_mul_hi_u32 v3, s0, v0
	v_mul_lo_u32 v5, s28, v0
	v_mul_lo_u32 v4, s0, v2
	s_delay_alu instid0(VALU_DEP_1) | instskip(SKIP_1) | instid1(VALU_DEP_2)
	v_add_nc_u32_e32 v3, v3, v4
	v_mul_lo_u32 v4, s0, v0
	v_add_nc_u32_e32 v3, v3, v5
	s_delay_alu instid0(VALU_DEP_2) | instskip(NEXT) | instid1(VALU_DEP_2)
	v_mul_hi_u32 v5, v0, v4
	v_mul_lo_u32 v8, v0, v3
	v_mul_hi_u32 v9, v0, v3
	v_mul_hi_u32 v10, v2, v4
	v_mul_lo_u32 v4, v2, v4
	v_mul_hi_u32 v11, v2, v3
	v_mul_lo_u32 v3, v2, v3
	v_add_co_u32 v5, vcc_lo, v5, v8
	v_add_co_ci_u32_e32 v8, vcc_lo, 0, v9, vcc_lo
	s_delay_alu instid0(VALU_DEP_2) | instskip(NEXT) | instid1(VALU_DEP_2)
	v_add_co_u32 v4, vcc_lo, v5, v4
	v_add_co_ci_u32_e32 v4, vcc_lo, v8, v10, vcc_lo
	v_add_co_ci_u32_e32 v5, vcc_lo, 0, v11, vcc_lo
	s_delay_alu instid0(VALU_DEP_2) | instskip(NEXT) | instid1(VALU_DEP_2)
	v_add_co_u32 v3, vcc_lo, v4, v3
	v_add_co_ci_u32_e32 v4, vcc_lo, 0, v5, vcc_lo
	s_delay_alu instid0(VALU_DEP_2) | instskip(NEXT) | instid1(VALU_DEP_2)
	v_add_co_u32 v0, vcc_lo, v0, v3
	v_add_co_ci_u32_e32 v10, vcc_lo, v2, v4, vcc_lo
	s_delay_alu instid0(VALU_DEP_2) | instskip(SKIP_1) | instid1(VALU_DEP_3)
	v_mul_hi_u32 v11, v6, v0
	v_mad_u64_u32 v[4:5], null, 0, v0, 0
	v_mad_u64_u32 v[2:3], null, v6, v10, 0
	;; [unrolled: 1-line block ×3, first 2 shown]
	s_delay_alu instid0(VALU_DEP_2) | instskip(NEXT) | instid1(VALU_DEP_3)
	v_add_co_u32 v0, vcc_lo, v11, v2
	v_add_co_ci_u32_e32 v2, vcc_lo, 0, v3, vcc_lo
	s_delay_alu instid0(VALU_DEP_2) | instskip(NEXT) | instid1(VALU_DEP_2)
	v_add_co_u32 v0, vcc_lo, v0, v4
	v_add_co_ci_u32_e32 v0, vcc_lo, v2, v5, vcc_lo
	v_add_co_ci_u32_e32 v2, vcc_lo, 0, v9, vcc_lo
	s_delay_alu instid0(VALU_DEP_2) | instskip(NEXT) | instid1(VALU_DEP_2)
	v_add_co_u32 v0, vcc_lo, v0, v8
	v_add_co_ci_u32_e32 v4, vcc_lo, 0, v2, vcc_lo
	s_delay_alu instid0(VALU_DEP_2) | instskip(SKIP_1) | instid1(VALU_DEP_3)
	v_mul_lo_u32 v5, s21, v0
	v_mad_u64_u32 v[2:3], null, s20, v0, 0
	v_mul_lo_u32 v8, s20, v4
	s_delay_alu instid0(VALU_DEP_2) | instskip(NEXT) | instid1(VALU_DEP_2)
	v_sub_co_u32 v2, vcc_lo, v6, v2
	v_add3_u32 v3, v3, v8, v5
	s_delay_alu instid0(VALU_DEP_1) | instskip(NEXT) | instid1(VALU_DEP_1)
	v_sub_nc_u32_e32 v5, 0, v3
	v_subrev_co_ci_u32_e64 v5, s0, s21, v5, vcc_lo
	v_add_co_u32 v8, s0, v0, 2
	s_delay_alu instid0(VALU_DEP_1) | instskip(SKIP_3) | instid1(VALU_DEP_3)
	v_add_co_ci_u32_e64 v9, s0, 0, v4, s0
	v_sub_co_u32 v10, s0, v2, s20
	v_sub_co_ci_u32_e32 v3, vcc_lo, 0, v3, vcc_lo
	v_subrev_co_ci_u32_e64 v5, s0, 0, v5, s0
	v_cmp_le_u32_e32 vcc_lo, s20, v10
	s_delay_alu instid0(VALU_DEP_3) | instskip(SKIP_1) | instid1(VALU_DEP_4)
	v_cmp_eq_u32_e64 s0, s21, v3
	v_cndmask_b32_e64 v10, 0, -1, vcc_lo
	v_cmp_le_u32_e32 vcc_lo, s21, v5
	v_cndmask_b32_e64 v11, 0, -1, vcc_lo
	v_cmp_le_u32_e32 vcc_lo, s20, v2
	;; [unrolled: 2-line block ×3, first 2 shown]
	v_cndmask_b32_e64 v12, 0, -1, vcc_lo
	v_cmp_eq_u32_e32 vcc_lo, s21, v5
	s_delay_alu instid0(VALU_DEP_2) | instskip(SKIP_3) | instid1(VALU_DEP_3)
	v_cndmask_b32_e64 v2, v12, v2, s0
	v_cndmask_b32_e32 v5, v11, v10, vcc_lo
	v_add_co_u32 v10, vcc_lo, v0, 1
	v_add_co_ci_u32_e32 v11, vcc_lo, 0, v4, vcc_lo
	v_cmp_ne_u32_e32 vcc_lo, 0, v5
	s_delay_alu instid0(VALU_DEP_2) | instskip(NEXT) | instid1(VALU_DEP_4)
	v_cndmask_b32_e32 v3, v11, v9, vcc_lo
	v_cndmask_b32_e32 v5, v10, v8, vcc_lo
	v_cmp_ne_u32_e32 vcc_lo, 0, v2
	s_delay_alu instid0(VALU_DEP_3) | instskip(NEXT) | instid1(VALU_DEP_3)
	v_cndmask_b32_e32 v2, v4, v3, vcc_lo
	v_cndmask_b32_e32 v0, v0, v5, vcc_lo
	s_delay_alu instid0(VALU_DEP_2) | instskip(NEXT) | instid1(VALU_DEP_2)
	v_xor_b32_e32 v2, s19, v2
	v_xor_b32_e32 v0, s18, v0
	s_delay_alu instid0(VALU_DEP_1) | instskip(NEXT) | instid1(VALU_DEP_3)
	v_sub_co_u32 v4, vcc_lo, v0, s18
	v_subrev_co_ci_u32_e32 v5, vcc_lo, s19, v2, vcc_lo
.LBB136_5:                              ;   in Loop: Header=BB136_3 Depth=1
	s_and_not1_saveexec_b32 s0, s27
	s_cbranch_execz .LBB136_7
; %bb.6:                                ;   in Loop: Header=BB136_3 Depth=1
	v_mul_hi_u32 v0, v6, v7
	s_delay_alu instid0(VALU_DEP_1) | instskip(SKIP_1) | instid1(VALU_DEP_2)
	v_mul_lo_u32 v2, v0, s23
	v_add_nc_u32_e32 v3, 1, v0
	v_sub_nc_u32_e32 v2, v6, v2
	s_delay_alu instid0(VALU_DEP_1) | instskip(SKIP_1) | instid1(VALU_DEP_2)
	v_subrev_nc_u32_e32 v4, s23, v2
	v_cmp_le_u32_e32 vcc_lo, s23, v2
	v_cndmask_b32_e32 v2, v2, v4, vcc_lo
	v_cndmask_b32_e32 v0, v0, v3, vcc_lo
	s_delay_alu instid0(VALU_DEP_2) | instskip(NEXT) | instid1(VALU_DEP_2)
	v_cmp_le_u32_e32 vcc_lo, s23, v2
	v_add_nc_u32_e32 v3, 1, v0
	s_delay_alu instid0(VALU_DEP_1) | instskip(NEXT) | instid1(VALU_DEP_1)
	v_cndmask_b32_e32 v0, v0, v3, vcc_lo
	v_dual_mov_b32 v5, v1 :: v_dual_mov_b32 v4, v0
.LBB136_7:                              ;   in Loop: Header=BB136_3 Depth=1
	s_or_b32 exec_lo, exec_lo, s0
	s_mov_b32 s18, -1
	s_mov_b32 s0, exec_lo
	s_delay_alu instid0(VALU_DEP_1)
	v_cmpx_gt_i64_e64 s[2:3], v[4:5]
	s_cbranch_execz .LBB136_2
; %bb.8:                                ;   in Loop: Header=BB136_3 Depth=1
	v_mul_lo_u32 v0, v4, s23
	v_mul_lo_u32 v2, v4, s22
	v_lshlrev_b64 v[4:5], 1, v[4:5]
	s_mov_b32 s18, exec_lo
	s_delay_alu instid0(VALU_DEP_1) | instskip(NEXT) | instid1(VALU_DEP_4)
	v_add_co_u32 v4, vcc_lo, s4, v4
	v_sub_nc_u32_e32 v0, v6, v0
	s_delay_alu instid0(VALU_DEP_3) | instskip(NEXT) | instid1(VALU_DEP_2)
	v_add_co_ci_u32_e32 v5, vcc_lo, s5, v5, vcc_lo
	v_lshlrev_b32_e32 v0, 2, v0
	s_delay_alu instid0(VALU_DEP_1) | instskip(SKIP_3) | instid1(VALU_DEP_1)
	v_add_lshl_u32 v2, v2, v0, 1
	v_mul_lo_u32 v8, v0, s2
	buffer_load_b64 v[2:3], v2, s[8:11], 0 offen
	v_ashrrev_i32_e32 v9, 31, v8
	v_lshlrev_b64 v[8:9], 1, v[8:9]
	s_delay_alu instid0(VALU_DEP_1) | instskip(NEXT) | instid1(VALU_DEP_2)
	v_add_co_u32 v4, vcc_lo, v4, v8
	v_add_co_ci_u32_e32 v5, vcc_lo, v5, v9, vcc_lo
	v_cmpx_gt_i32_e64 s22, v0
	s_cbranch_execz .LBB136_10
; %bb.9:                                ;   in Loop: Header=BB136_3 Depth=1
	s_waitcnt vmcnt(0)
	global_store_b16 v[4:5], v2, off
.LBB136_10:                             ;   in Loop: Header=BB136_3 Depth=1
	s_or_b32 exec_lo, exec_lo, s18
	v_or_b32_e32 v8, 1, v0
	s_mov_b32 s18, exec_lo
	s_delay_alu instid0(VALU_DEP_1)
	v_cmpx_gt_i32_e64 s22, v8
	s_cbranch_execz .LBB136_12
; %bb.11:                               ;   in Loop: Header=BB136_3 Depth=1
	v_add_co_u32 v8, vcc_lo, v4, s12
	v_add_co_ci_u32_e32 v9, vcc_lo, s13, v5, vcc_lo
	s_waitcnt vmcnt(0)
	global_store_d16_hi_b16 v[8:9], v2, off
.LBB136_12:                             ;   in Loop: Header=BB136_3 Depth=1
	s_or_b32 exec_lo, exec_lo, s18
	s_waitcnt vmcnt(0)
	v_or_b32_e32 v2, 2, v0
	s_mov_b32 s18, exec_lo
	s_delay_alu instid0(VALU_DEP_1)
	v_cmpx_gt_i32_e64 s22, v2
	s_cbranch_execz .LBB136_14
; %bb.13:                               ;   in Loop: Header=BB136_3 Depth=1
	v_add_co_u32 v8, vcc_lo, v4, s14
	v_add_co_ci_u32_e32 v9, vcc_lo, s15, v5, vcc_lo
	global_store_b16 v[8:9], v3, off
.LBB136_14:                             ;   in Loop: Header=BB136_3 Depth=1
	s_or_b32 exec_lo, exec_lo, s18
	v_or_b32_e32 v0, 3, v0
	s_mov_b32 s18, exec_lo
	s_delay_alu instid0(VALU_DEP_1)
	v_cmpx_gt_i32_e64 s22, v0
	s_cbranch_execz .LBB136_1
; %bb.15:                               ;   in Loop: Header=BB136_3 Depth=1
	v_add_co_u32 v4, vcc_lo, v4, s16
	v_add_co_ci_u32_e32 v5, vcc_lo, s17, v5, vcc_lo
	global_store_d16_hi_b16 v[4:5], v3, off
	s_branch .LBB136_1
.LBB136_16:
	s_nop 0
	s_sendmsg sendmsg(MSG_DEALLOC_VGPRS)
	s_endpgm
	.section	.rodata,"a",@progbits
	.p2align	6, 0x0
	.amdhsa_kernel _ZN5aiter24partial_transpose_kernelItLi256ELi4ELi10000EEEvPT_S2_PKii
		.amdhsa_group_segment_fixed_size 0
		.amdhsa_private_segment_fixed_size 0
		.amdhsa_kernarg_size 288
		.amdhsa_user_sgpr_count 15
		.amdhsa_user_sgpr_dispatch_ptr 0
		.amdhsa_user_sgpr_queue_ptr 0
		.amdhsa_user_sgpr_kernarg_segment_ptr 1
		.amdhsa_user_sgpr_dispatch_id 0
		.amdhsa_user_sgpr_private_segment_size 0
		.amdhsa_wavefront_size32 1
		.amdhsa_uses_dynamic_stack 0
		.amdhsa_enable_private_segment 0
		.amdhsa_system_sgpr_workgroup_id_x 1
		.amdhsa_system_sgpr_workgroup_id_y 0
		.amdhsa_system_sgpr_workgroup_id_z 0
		.amdhsa_system_sgpr_workgroup_info 0
		.amdhsa_system_vgpr_workitem_id 0
		.amdhsa_next_free_vgpr 13
		.amdhsa_next_free_sgpr 29
		.amdhsa_reserve_vcc 1
		.amdhsa_float_round_mode_32 0
		.amdhsa_float_round_mode_16_64 0
		.amdhsa_float_denorm_mode_32 3
		.amdhsa_float_denorm_mode_16_64 3
		.amdhsa_dx10_clamp 1
		.amdhsa_ieee_mode 1
		.amdhsa_fp16_overflow 0
		.amdhsa_workgroup_processor_mode 1
		.amdhsa_memory_ordered 1
		.amdhsa_forward_progress 0
		.amdhsa_shared_vgpr_count 0
		.amdhsa_exception_fp_ieee_invalid_op 0
		.amdhsa_exception_fp_denorm_src 0
		.amdhsa_exception_fp_ieee_div_zero 0
		.amdhsa_exception_fp_ieee_overflow 0
		.amdhsa_exception_fp_ieee_underflow 0
		.amdhsa_exception_fp_ieee_inexact 0
		.amdhsa_exception_int_div_zero 0
	.end_amdhsa_kernel
	.section	.text._ZN5aiter24partial_transpose_kernelItLi256ELi4ELi10000EEEvPT_S2_PKii,"axG",@progbits,_ZN5aiter24partial_transpose_kernelItLi256ELi4ELi10000EEEvPT_S2_PKii,comdat
.Lfunc_end136:
	.size	_ZN5aiter24partial_transpose_kernelItLi256ELi4ELi10000EEEvPT_S2_PKii, .Lfunc_end136-_ZN5aiter24partial_transpose_kernelItLi256ELi4ELi10000EEEvPT_S2_PKii
                                        ; -- End function
	.section	.AMDGPU.csdata,"",@progbits
; Kernel info:
; codeLenInByte = 1532
; NumSgprs: 31
; NumVgprs: 13
; ScratchSize: 0
; MemoryBound: 0
; FloatMode: 240
; IeeeMode: 1
; LDSByteSize: 0 bytes/workgroup (compile time only)
; SGPRBlocks: 3
; VGPRBlocks: 1
; NumSGPRsForWavesPerEU: 31
; NumVGPRsForWavesPerEU: 13
; Occupancy: 16
; WaveLimiterHint : 1
; COMPUTE_PGM_RSRC2:SCRATCH_EN: 0
; COMPUTE_PGM_RSRC2:USER_SGPR: 15
; COMPUTE_PGM_RSRC2:TRAP_HANDLER: 0
; COMPUTE_PGM_RSRC2:TGID_X_EN: 1
; COMPUTE_PGM_RSRC2:TGID_Y_EN: 0
; COMPUTE_PGM_RSRC2:TGID_Z_EN: 0
; COMPUTE_PGM_RSRC2:TIDIG_COMP_CNT: 0
	.section	.text._ZN5aiter24partial_transpose_kernelIfLi256ELi8ELi10000EEEvPT_S2_PKii,"axG",@progbits,_ZN5aiter24partial_transpose_kernelIfLi256ELi8ELi10000EEEvPT_S2_PKii,comdat
	.protected	_ZN5aiter24partial_transpose_kernelIfLi256ELi8ELi10000EEEvPT_S2_PKii ; -- Begin function _ZN5aiter24partial_transpose_kernelIfLi256ELi8ELi10000EEEvPT_S2_PKii
	.globl	_ZN5aiter24partial_transpose_kernelIfLi256ELi8ELi10000EEEvPT_S2_PKii
	.p2align	8
	.type	_ZN5aiter24partial_transpose_kernelIfLi256ELi8ELi10000EEEvPT_S2_PKii,@function
_ZN5aiter24partial_transpose_kernelIfLi256ELi8ELi10000EEEvPT_S2_PKii: ; @_ZN5aiter24partial_transpose_kernelIfLi256ELi8ELi10000EEEvPT_S2_PKii
; %bb.0:
	s_clause 0x3
	s_load_b64 s[2:3], s[0:1], 0x10
	s_load_b32 s30, s[0:1], 0x18
	s_load_b128 s[4:7], s[0:1], 0x0
	s_load_b32 s0, s[0:1], 0x20
	v_lshl_add_u32 v11, s15, 8, v0
	s_mov_b32 s11, -1
	s_movk_i32 s34, 0x2710
	v_mov_b32_e32 v8, 0
	s_waitcnt lgkmcnt(0)
	s_load_b32 s2, s[2:3], 0x0
	s_add_i32 s1, s30, 7
	s_and_b32 s7, s7, 0xffff
	s_ashr_i32 s3, s1, 31
	s_mov_b64 s[8:9], s[6:7]
	s_lshr_b32 s3, s3, 29
	s_lshl_b32 s33, s0, 8
	s_add_i32 s1, s1, s3
	s_delay_alu instid0(SALU_CYCLE_1) | instskip(NEXT) | instid1(SALU_CYCLE_1)
	s_ashr_i32 s1, s1, 3
	v_cvt_f32_u32_e32 v1, s1
	s_ashr_i32 s31, s1, 31
	s_delay_alu instid0(SALU_CYCLE_1) | instskip(NEXT) | instid1(VALU_DEP_1)
	s_mov_b32 s7, s31
	v_rcp_iflag_f32_e32 v1, v1
	s_waitcnt lgkmcnt(0)
	s_mul_i32 s6, s30, s2
	s_lshl_b32 s12, s2, 1
	s_lshl_b32 s10, s6, 2
	s_sub_i32 s6, 0, s1
	s_mul_i32 s16, s2, 3
	s_lshl_b32 s18, s2, 2
	s_waitcnt_depctr 0xfff
	v_mul_f32_e32 v1, 0x4f7ffffe, v1
	s_mul_i32 s20, s2, 5
	s_mul_i32 s22, s2, 6
	;; [unrolled: 1-line block ×3, first 2 shown]
	s_ashr_i32 s3, s2, 31
	v_cvt_u32_f32_e32 v1, v1
	s_ashr_i32 s13, s12, 31
	s_ashr_i32 s17, s16, 31
	;; [unrolled: 1-line block ×4, first 2 shown]
	v_mul_lo_u32 v2, s6, v1
	s_ashr_i32 s23, s22, 31
	s_ashr_i32 s25, s24, 31
	s_mov_b32 s6, 0
	s_lshl_b64 s[12:13], s[12:13], 2
	s_lshl_b64 s[14:15], s[16:17], 2
	;; [unrolled: 1-line block ×4, first 2 shown]
	v_mul_hi_u32 v0, v1, v2
	s_lshl_b64 s[20:21], s[22:23], 2
	s_lshl_b64 s[22:23], s[24:25], 2
	;; [unrolled: 1-line block ×3, first 2 shown]
	s_mov_b32 s35, s6
	s_delay_alu instid0(VALU_DEP_1)
	v_add_nc_u32_e32 v12, v1, v0
	s_branch .LBB137_3
.LBB137_1:                              ;   in Loop: Header=BB137_3 Depth=1
	s_or_b32 exec_lo, exec_lo, s26
	s_add_i32 s34, s34, -1
	v_add_nc_u32_e32 v11, s33, v11
	s_cmp_eq_u32 s34, 0
	s_cselect_b32 s26, -1, 0
	s_delay_alu instid0(SALU_CYCLE_1)
	s_or_not1_b32 s26, s26, exec_lo
.LBB137_2:                              ;   in Loop: Header=BB137_3 Depth=1
	s_or_b32 exec_lo, exec_lo, s0
	s_delay_alu instid0(SALU_CYCLE_1) | instskip(NEXT) | instid1(SALU_CYCLE_1)
	s_and_b32 s0, exec_lo, s26
	s_or_b32 s35, s0, s35
	s_delay_alu instid0(SALU_CYCLE_1)
	s_and_not1_b32 exec_lo, exec_lo, s35
	s_cbranch_execz .LBB137_24
.LBB137_3:                              ; =>This Inner Loop Header: Depth=1
	s_cmp_lg_u64 s[6:7], 0
                                        ; implicit-def: $vgpr9_vgpr10
	s_cselect_b32 s0, -1, 0
	s_delay_alu instid0(SALU_CYCLE_1) | instskip(NEXT) | instid1(SALU_CYCLE_1)
	s_and_saveexec_b32 s26, s0
	s_xor_b32 s36, exec_lo, s26
	s_cbranch_execz .LBB137_5
; %bb.4:                                ;   in Loop: Header=BB137_3 Depth=1
	s_add_u32 s28, s1, s31
	s_mov_b32 s26, s31
	s_mov_b32 s27, s31
	s_addc_u32 s29, s31, s31
	s_delay_alu instid0(SALU_CYCLE_1) | instskip(NEXT) | instid1(SALU_CYCLE_1)
	s_xor_b64 s[28:29], s[28:29], s[26:27]
	v_cvt_f32_u32_e32 v0, s28
	v_cvt_f32_u32_e32 v1, s29
	s_sub_u32 s0, 0, s28
	s_subb_u32 s37, 0, s29
	s_delay_alu instid0(VALU_DEP_1) | instskip(NEXT) | instid1(VALU_DEP_1)
	v_fmac_f32_e32 v0, 0x4f800000, v1
	v_rcp_f32_e32 v0, v0
	s_waitcnt_depctr 0xfff
	v_mul_f32_e32 v0, 0x5f7ffffc, v0
	s_delay_alu instid0(VALU_DEP_1) | instskip(NEXT) | instid1(VALU_DEP_1)
	v_mul_f32_e32 v1, 0x2f800000, v0
	v_trunc_f32_e32 v1, v1
	s_delay_alu instid0(VALU_DEP_1) | instskip(SKIP_1) | instid1(VALU_DEP_2)
	v_fmac_f32_e32 v0, 0xcf800000, v1
	v_cvt_u32_f32_e32 v1, v1
	v_cvt_u32_f32_e32 v0, v0
	s_delay_alu instid0(VALU_DEP_2) | instskip(NEXT) | instid1(VALU_DEP_2)
	v_mul_lo_u32 v2, s0, v1
	v_mul_hi_u32 v3, s0, v0
	v_mul_lo_u32 v4, s37, v0
	s_delay_alu instid0(VALU_DEP_2) | instskip(SKIP_1) | instid1(VALU_DEP_2)
	v_add_nc_u32_e32 v2, v3, v2
	v_mul_lo_u32 v3, s0, v0
	v_add_nc_u32_e32 v2, v2, v4
	s_delay_alu instid0(VALU_DEP_2) | instskip(NEXT) | instid1(VALU_DEP_2)
	v_mul_hi_u32 v4, v0, v3
	v_mul_lo_u32 v5, v0, v2
	v_mul_hi_u32 v6, v0, v2
	v_mul_hi_u32 v7, v1, v3
	v_mul_lo_u32 v3, v1, v3
	v_mul_hi_u32 v9, v1, v2
	v_mul_lo_u32 v2, v1, v2
	v_add_co_u32 v4, vcc_lo, v4, v5
	v_add_co_ci_u32_e32 v5, vcc_lo, 0, v6, vcc_lo
	s_delay_alu instid0(VALU_DEP_2) | instskip(NEXT) | instid1(VALU_DEP_2)
	v_add_co_u32 v3, vcc_lo, v4, v3
	v_add_co_ci_u32_e32 v3, vcc_lo, v5, v7, vcc_lo
	v_add_co_ci_u32_e32 v4, vcc_lo, 0, v9, vcc_lo
	s_delay_alu instid0(VALU_DEP_2) | instskip(NEXT) | instid1(VALU_DEP_2)
	v_add_co_u32 v2, vcc_lo, v3, v2
	v_add_co_ci_u32_e32 v3, vcc_lo, 0, v4, vcc_lo
	s_delay_alu instid0(VALU_DEP_2) | instskip(NEXT) | instid1(VALU_DEP_2)
	v_add_co_u32 v0, vcc_lo, v0, v2
	v_add_co_ci_u32_e32 v1, vcc_lo, v1, v3, vcc_lo
	s_delay_alu instid0(VALU_DEP_2) | instskip(SKIP_1) | instid1(VALU_DEP_3)
	v_mul_hi_u32 v2, s0, v0
	v_mul_lo_u32 v4, s37, v0
	v_mul_lo_u32 v3, s0, v1
	s_delay_alu instid0(VALU_DEP_1) | instskip(SKIP_1) | instid1(VALU_DEP_2)
	v_add_nc_u32_e32 v2, v2, v3
	v_mul_lo_u32 v3, s0, v0
	v_add_nc_u32_e32 v2, v2, v4
	s_delay_alu instid0(VALU_DEP_2) | instskip(NEXT) | instid1(VALU_DEP_2)
	v_mul_hi_u32 v4, v0, v3
	v_mul_lo_u32 v5, v0, v2
	v_mul_hi_u32 v6, v0, v2
	v_mul_hi_u32 v7, v1, v3
	v_mul_lo_u32 v3, v1, v3
	v_mul_hi_u32 v9, v1, v2
	v_mul_lo_u32 v2, v1, v2
	v_add_co_u32 v4, vcc_lo, v4, v5
	v_add_co_ci_u32_e32 v5, vcc_lo, 0, v6, vcc_lo
	s_delay_alu instid0(VALU_DEP_2) | instskip(NEXT) | instid1(VALU_DEP_2)
	v_add_co_u32 v3, vcc_lo, v4, v3
	v_add_co_ci_u32_e32 v3, vcc_lo, v5, v7, vcc_lo
	v_add_co_ci_u32_e32 v4, vcc_lo, 0, v9, vcc_lo
	s_delay_alu instid0(VALU_DEP_2) | instskip(NEXT) | instid1(VALU_DEP_2)
	v_add_co_u32 v2, vcc_lo, v3, v2
	v_add_co_ci_u32_e32 v3, vcc_lo, 0, v4, vcc_lo
	s_delay_alu instid0(VALU_DEP_2) | instskip(NEXT) | instid1(VALU_DEP_2)
	v_add_co_u32 v4, vcc_lo, v0, v2
	v_add_co_ci_u32_e32 v6, vcc_lo, v1, v3, vcc_lo
	s_delay_alu instid0(VALU_DEP_2) | instskip(SKIP_1) | instid1(VALU_DEP_3)
	v_mul_hi_u32 v7, v11, v4
	v_mad_u64_u32 v[2:3], null, 0, v4, 0
	v_mad_u64_u32 v[0:1], null, v11, v6, 0
	;; [unrolled: 1-line block ×3, first 2 shown]
	s_delay_alu instid0(VALU_DEP_2) | instskip(NEXT) | instid1(VALU_DEP_3)
	v_add_co_u32 v0, vcc_lo, v7, v0
	v_add_co_ci_u32_e32 v1, vcc_lo, 0, v1, vcc_lo
	s_delay_alu instid0(VALU_DEP_2) | instskip(NEXT) | instid1(VALU_DEP_2)
	v_add_co_u32 v0, vcc_lo, v0, v2
	v_add_co_ci_u32_e32 v0, vcc_lo, v1, v3, vcc_lo
	v_add_co_ci_u32_e32 v1, vcc_lo, 0, v5, vcc_lo
	s_delay_alu instid0(VALU_DEP_2) | instskip(NEXT) | instid1(VALU_DEP_2)
	v_add_co_u32 v2, vcc_lo, v0, v4
	v_add_co_ci_u32_e32 v3, vcc_lo, 0, v1, vcc_lo
	s_delay_alu instid0(VALU_DEP_2) | instskip(SKIP_1) | instid1(VALU_DEP_3)
	v_mul_lo_u32 v4, s29, v2
	v_mad_u64_u32 v[0:1], null, s28, v2, 0
	v_mul_lo_u32 v5, s28, v3
	s_delay_alu instid0(VALU_DEP_2) | instskip(NEXT) | instid1(VALU_DEP_2)
	v_sub_co_u32 v0, vcc_lo, v11, v0
	v_add3_u32 v1, v1, v5, v4
	s_delay_alu instid0(VALU_DEP_1) | instskip(NEXT) | instid1(VALU_DEP_1)
	v_sub_nc_u32_e32 v4, 0, v1
	v_subrev_co_ci_u32_e64 v4, s0, s29, v4, vcc_lo
	v_add_co_u32 v5, s0, v2, 2
	s_delay_alu instid0(VALU_DEP_1) | instskip(SKIP_3) | instid1(VALU_DEP_3)
	v_add_co_ci_u32_e64 v6, s0, 0, v3, s0
	v_sub_co_u32 v7, s0, v0, s28
	v_sub_co_ci_u32_e32 v1, vcc_lo, 0, v1, vcc_lo
	v_subrev_co_ci_u32_e64 v4, s0, 0, v4, s0
	v_cmp_le_u32_e32 vcc_lo, s28, v7
	s_delay_alu instid0(VALU_DEP_3) | instskip(SKIP_1) | instid1(VALU_DEP_4)
	v_cmp_eq_u32_e64 s0, s29, v1
	v_cndmask_b32_e64 v7, 0, -1, vcc_lo
	v_cmp_le_u32_e32 vcc_lo, s29, v4
	v_cndmask_b32_e64 v9, 0, -1, vcc_lo
	v_cmp_le_u32_e32 vcc_lo, s28, v0
	;; [unrolled: 2-line block ×3, first 2 shown]
	v_cndmask_b32_e64 v10, 0, -1, vcc_lo
	v_cmp_eq_u32_e32 vcc_lo, s29, v4
	s_delay_alu instid0(VALU_DEP_2) | instskip(SKIP_3) | instid1(VALU_DEP_3)
	v_cndmask_b32_e64 v0, v10, v0, s0
	v_cndmask_b32_e32 v4, v9, v7, vcc_lo
	v_add_co_u32 v7, vcc_lo, v2, 1
	v_add_co_ci_u32_e32 v9, vcc_lo, 0, v3, vcc_lo
	v_cmp_ne_u32_e32 vcc_lo, 0, v4
	s_delay_alu instid0(VALU_DEP_2) | instskip(SKIP_1) | instid1(VALU_DEP_2)
	v_dual_cndmask_b32 v1, v9, v6 :: v_dual_cndmask_b32 v4, v7, v5
	v_cmp_ne_u32_e32 vcc_lo, 0, v0
	v_dual_cndmask_b32 v0, v3, v1 :: v_dual_cndmask_b32 v1, v2, v4
	s_delay_alu instid0(VALU_DEP_1) | instskip(NEXT) | instid1(VALU_DEP_2)
	v_xor_b32_e32 v0, s27, v0
	v_xor_b32_e32 v1, s26, v1
	s_delay_alu instid0(VALU_DEP_1) | instskip(NEXT) | instid1(VALU_DEP_3)
	v_sub_co_u32 v9, vcc_lo, v1, s26
	v_subrev_co_ci_u32_e32 v10, vcc_lo, s27, v0, vcc_lo
.LBB137_5:                              ;   in Loop: Header=BB137_3 Depth=1
	s_and_not1_saveexec_b32 s0, s36
; %bb.6:                                ;   in Loop: Header=BB137_3 Depth=1
	v_mul_hi_u32 v0, v11, v12
	s_delay_alu instid0(VALU_DEP_1) | instskip(NEXT) | instid1(VALU_DEP_1)
	v_mul_lo_u32 v1, v0, s1
	v_sub_nc_u32_e32 v1, v11, v1
	s_delay_alu instid0(VALU_DEP_1) | instskip(SKIP_1) | instid1(VALU_DEP_2)
	v_subrev_nc_u32_e32 v3, s1, v1
	v_cmp_le_u32_e32 vcc_lo, s1, v1
	v_dual_cndmask_b32 v1, v1, v3 :: v_dual_add_nc_u32 v2, 1, v0
	s_delay_alu instid0(VALU_DEP_1) | instskip(NEXT) | instid1(VALU_DEP_2)
	v_cndmask_b32_e32 v0, v0, v2, vcc_lo
	v_cmp_le_u32_e32 vcc_lo, s1, v1
	s_delay_alu instid0(VALU_DEP_2) | instskip(NEXT) | instid1(VALU_DEP_1)
	v_add_nc_u32_e32 v2, 1, v0
	v_cndmask_b32_e32 v7, v0, v2, vcc_lo
	s_delay_alu instid0(VALU_DEP_1)
	v_dual_mov_b32 v10, v8 :: v_dual_mov_b32 v9, v7
; %bb.7:                                ;   in Loop: Header=BB137_3 Depth=1
	s_or_b32 exec_lo, exec_lo, s0
	s_mov_b32 s26, -1
	s_mov_b32 s0, exec_lo
	s_delay_alu instid0(VALU_DEP_1)
	v_cmpx_gt_i64_e64 s[2:3], v[9:10]
	s_cbranch_execz .LBB137_2
; %bb.8:                                ;   in Loop: Header=BB137_3 Depth=1
	v_mul_lo_u32 v0, v9, s1
	v_mul_lo_u32 v1, v9, s30
	v_lshlrev_b64 v[9:10], 2, v[9:10]
	s_mov_b32 s26, exec_lo
	s_delay_alu instid0(VALU_DEP_1) | instskip(NEXT) | instid1(VALU_DEP_4)
	v_add_co_u32 v9, vcc_lo, s4, v9
	v_sub_nc_u32_e32 v0, v11, v0
	s_delay_alu instid0(VALU_DEP_3) | instskip(NEXT) | instid1(VALU_DEP_2)
	v_add_co_ci_u32_e32 v10, vcc_lo, s5, v10, vcc_lo
	v_lshlrev_b32_e32 v13, 3, v0
	s_delay_alu instid0(VALU_DEP_1)
	v_add_lshl_u32 v0, v1, v13, 2
	v_mul_lo_u32 v14, v13, s2
	s_clause 0x1
	buffer_load_b128 v[4:7], v0, s[8:11], 0 offen
	buffer_load_b128 v[0:3], v0, s[8:11], 16 offen
	v_ashrrev_i32_e32 v15, 31, v14
	s_delay_alu instid0(VALU_DEP_1) | instskip(NEXT) | instid1(VALU_DEP_1)
	v_lshlrev_b64 v[14:15], 2, v[14:15]
	v_add_co_u32 v9, vcc_lo, v9, v14
	s_delay_alu instid0(VALU_DEP_2)
	v_add_co_ci_u32_e32 v10, vcc_lo, v10, v15, vcc_lo
	v_cmpx_gt_i32_e64 s30, v13
	s_cbranch_execz .LBB137_10
; %bb.9:                                ;   in Loop: Header=BB137_3 Depth=1
	s_waitcnt vmcnt(1)
	global_store_b32 v[9:10], v4, off
.LBB137_10:                             ;   in Loop: Header=BB137_3 Depth=1
	s_or_b32 exec_lo, exec_lo, s26
	s_waitcnt vmcnt(1)
	v_or_b32_e32 v4, 1, v13
	s_mov_b32 s26, exec_lo
	s_delay_alu instid0(VALU_DEP_1)
	v_cmpx_gt_i32_e64 s30, v4
	s_cbranch_execz .LBB137_12
; %bb.11:                               ;   in Loop: Header=BB137_3 Depth=1
	v_add_co_u32 v14, vcc_lo, v9, s24
	v_add_co_ci_u32_e32 v15, vcc_lo, s25, v10, vcc_lo
	global_store_b32 v[14:15], v5, off
.LBB137_12:                             ;   in Loop: Header=BB137_3 Depth=1
	s_or_b32 exec_lo, exec_lo, s26
	v_or_b32_e32 v4, 2, v13
	s_mov_b32 s26, exec_lo
	s_delay_alu instid0(VALU_DEP_1)
	v_cmpx_gt_i32_e64 s30, v4
	s_cbranch_execz .LBB137_14
; %bb.13:                               ;   in Loop: Header=BB137_3 Depth=1
	v_add_co_u32 v4, vcc_lo, v9, s12
	v_add_co_ci_u32_e32 v5, vcc_lo, s13, v10, vcc_lo
	global_store_b32 v[4:5], v6, off
.LBB137_14:                             ;   in Loop: Header=BB137_3 Depth=1
	s_or_b32 exec_lo, exec_lo, s26
	;; [unrolled: 11-line block ×3, first 2 shown]
	v_or_b32_e32 v4, 4, v13
	s_mov_b32 s26, exec_lo
	s_delay_alu instid0(VALU_DEP_1)
	v_cmpx_gt_i32_e64 s30, v4
	s_cbranch_execz .LBB137_18
; %bb.17:                               ;   in Loop: Header=BB137_3 Depth=1
	v_add_co_u32 v4, vcc_lo, v9, s16
	v_add_co_ci_u32_e32 v5, vcc_lo, s17, v10, vcc_lo
	s_waitcnt vmcnt(0)
	global_store_b32 v[4:5], v0, off
.LBB137_18:                             ;   in Loop: Header=BB137_3 Depth=1
	s_or_b32 exec_lo, exec_lo, s26
	s_waitcnt vmcnt(0)
	v_or_b32_e32 v0, 5, v13
	s_mov_b32 s26, exec_lo
	s_delay_alu instid0(VALU_DEP_1)
	v_cmpx_gt_i32_e64 s30, v0
	s_cbranch_execz .LBB137_20
; %bb.19:                               ;   in Loop: Header=BB137_3 Depth=1
	v_add_co_u32 v4, vcc_lo, v9, s18
	v_add_co_ci_u32_e32 v5, vcc_lo, s19, v10, vcc_lo
	global_store_b32 v[4:5], v1, off
.LBB137_20:                             ;   in Loop: Header=BB137_3 Depth=1
	s_or_b32 exec_lo, exec_lo, s26
	v_or_b32_e32 v0, 6, v13
	s_mov_b32 s26, exec_lo
	s_delay_alu instid0(VALU_DEP_1)
	v_cmpx_gt_i32_e64 s30, v0
	s_cbranch_execz .LBB137_22
; %bb.21:                               ;   in Loop: Header=BB137_3 Depth=1
	v_add_co_u32 v0, vcc_lo, v9, s20
	v_add_co_ci_u32_e32 v1, vcc_lo, s21, v10, vcc_lo
	global_store_b32 v[0:1], v2, off
.LBB137_22:                             ;   in Loop: Header=BB137_3 Depth=1
	s_or_b32 exec_lo, exec_lo, s26
	v_or_b32_e32 v0, 7, v13
	s_mov_b32 s26, exec_lo
	s_delay_alu instid0(VALU_DEP_1)
	v_cmpx_gt_i32_e64 s30, v0
	s_cbranch_execz .LBB137_1
; %bb.23:                               ;   in Loop: Header=BB137_3 Depth=1
	v_add_co_u32 v0, vcc_lo, v9, s22
	v_add_co_ci_u32_e32 v1, vcc_lo, s23, v10, vcc_lo
	global_store_b32 v[0:1], v3, off
	s_branch .LBB137_1
.LBB137_24:
	s_nop 0
	s_sendmsg sendmsg(MSG_DEALLOC_VGPRS)
	s_endpgm
	.section	.rodata,"a",@progbits
	.p2align	6, 0x0
	.amdhsa_kernel _ZN5aiter24partial_transpose_kernelIfLi256ELi8ELi10000EEEvPT_S2_PKii
		.amdhsa_group_segment_fixed_size 0
		.amdhsa_private_segment_fixed_size 0
		.amdhsa_kernarg_size 288
		.amdhsa_user_sgpr_count 15
		.amdhsa_user_sgpr_dispatch_ptr 0
		.amdhsa_user_sgpr_queue_ptr 0
		.amdhsa_user_sgpr_kernarg_segment_ptr 1
		.amdhsa_user_sgpr_dispatch_id 0
		.amdhsa_user_sgpr_private_segment_size 0
		.amdhsa_wavefront_size32 1
		.amdhsa_uses_dynamic_stack 0
		.amdhsa_enable_private_segment 0
		.amdhsa_system_sgpr_workgroup_id_x 1
		.amdhsa_system_sgpr_workgroup_id_y 0
		.amdhsa_system_sgpr_workgroup_id_z 0
		.amdhsa_system_sgpr_workgroup_info 0
		.amdhsa_system_vgpr_workitem_id 0
		.amdhsa_next_free_vgpr 16
		.amdhsa_next_free_sgpr 38
		.amdhsa_reserve_vcc 1
		.amdhsa_float_round_mode_32 0
		.amdhsa_float_round_mode_16_64 0
		.amdhsa_float_denorm_mode_32 3
		.amdhsa_float_denorm_mode_16_64 3
		.amdhsa_dx10_clamp 1
		.amdhsa_ieee_mode 1
		.amdhsa_fp16_overflow 0
		.amdhsa_workgroup_processor_mode 1
		.amdhsa_memory_ordered 1
		.amdhsa_forward_progress 0
		.amdhsa_shared_vgpr_count 0
		.amdhsa_exception_fp_ieee_invalid_op 0
		.amdhsa_exception_fp_denorm_src 0
		.amdhsa_exception_fp_ieee_div_zero 0
		.amdhsa_exception_fp_ieee_overflow 0
		.amdhsa_exception_fp_ieee_underflow 0
		.amdhsa_exception_fp_ieee_inexact 0
		.amdhsa_exception_int_div_zero 0
	.end_amdhsa_kernel
	.section	.text._ZN5aiter24partial_transpose_kernelIfLi256ELi8ELi10000EEEvPT_S2_PKii,"axG",@progbits,_ZN5aiter24partial_transpose_kernelIfLi256ELi8ELi10000EEEvPT_S2_PKii,comdat
.Lfunc_end137:
	.size	_ZN5aiter24partial_transpose_kernelIfLi256ELi8ELi10000EEEvPT_S2_PKii, .Lfunc_end137-_ZN5aiter24partial_transpose_kernelIfLi256ELi8ELi10000EEEvPT_S2_PKii
                                        ; -- End function
	.section	.AMDGPU.csdata,"",@progbits
; Kernel info:
; codeLenInByte = 1772
; NumSgprs: 40
; NumVgprs: 16
; ScratchSize: 0
; MemoryBound: 0
; FloatMode: 240
; IeeeMode: 1
; LDSByteSize: 0 bytes/workgroup (compile time only)
; SGPRBlocks: 4
; VGPRBlocks: 1
; NumSGPRsForWavesPerEU: 40
; NumVGPRsForWavesPerEU: 16
; Occupancy: 16
; WaveLimiterHint : 1
; COMPUTE_PGM_RSRC2:SCRATCH_EN: 0
; COMPUTE_PGM_RSRC2:USER_SGPR: 15
; COMPUTE_PGM_RSRC2:TRAP_HANDLER: 0
; COMPUTE_PGM_RSRC2:TGID_X_EN: 1
; COMPUTE_PGM_RSRC2:TGID_Y_EN: 0
; COMPUTE_PGM_RSRC2:TGID_Z_EN: 0
; COMPUTE_PGM_RSRC2:TIDIG_COMP_CNT: 0
	.section	.text._ZN5aiter24partial_transpose_kernelIDF16_Li256ELi8ELi10000EEEvPT_S2_PKii,"axG",@progbits,_ZN5aiter24partial_transpose_kernelIDF16_Li256ELi8ELi10000EEEvPT_S2_PKii,comdat
	.protected	_ZN5aiter24partial_transpose_kernelIDF16_Li256ELi8ELi10000EEEvPT_S2_PKii ; -- Begin function _ZN5aiter24partial_transpose_kernelIDF16_Li256ELi8ELi10000EEEvPT_S2_PKii
	.globl	_ZN5aiter24partial_transpose_kernelIDF16_Li256ELi8ELi10000EEEvPT_S2_PKii
	.p2align	8
	.type	_ZN5aiter24partial_transpose_kernelIDF16_Li256ELi8ELi10000EEEvPT_S2_PKii,@function
_ZN5aiter24partial_transpose_kernelIDF16_Li256ELi8ELi10000EEEvPT_S2_PKii: ; @_ZN5aiter24partial_transpose_kernelIDF16_Li256ELi8ELi10000EEEvPT_S2_PKii
; %bb.0:
	s_clause 0x2
	s_load_b64 s[2:3], s[0:1], 0x10
	s_load_b32 s30, s[0:1], 0x18
	s_load_b128 s[4:7], s[0:1], 0x0
	v_lshl_add_u32 v7, s15, 8, v0
	s_mov_b32 s11, -1
	s_movk_i32 s34, 0x2710
	s_waitcnt lgkmcnt(0)
	s_load_b32 s2, s[2:3], 0x0
	s_load_b32 s0, s[0:1], 0x20
	s_add_i32 s1, s30, 7
	s_and_b32 s7, s7, 0xffff
	s_ashr_i32 s3, s1, 31
	s_mov_b64 s[8:9], s[6:7]
	s_lshr_b32 s3, s3, 29
	v_mov_b32_e32 v4, 0
	s_add_i32 s1, s1, s3
	s_delay_alu instid0(SALU_CYCLE_1) | instskip(NEXT) | instid1(SALU_CYCLE_1)
	s_ashr_i32 s1, s1, 3
	v_cvt_f32_u32_e32 v1, s1
	s_ashr_i32 s31, s1, 31
	s_delay_alu instid0(VALU_DEP_1)
	v_rcp_iflag_f32_e32 v1, v1
	s_waitcnt lgkmcnt(0)
	s_mul_i32 s6, s2, s30
	s_lshl_b32 s12, s2, 1
	s_add_i32 s6, s6, 1
	s_mul_i32 s16, s2, 3
	s_lshr_b32 s7, s6, 31
	s_lshl_b32 s18, s2, 2
	s_add_i32 s6, s6, s7
	s_waitcnt_depctr 0xfff
	v_mul_f32_e32 v1, 0x4f7ffffe, v1
	s_lshl_b32 s6, s6, 1
	s_mul_i32 s20, s2, 5
	s_and_b32 s10, s6, -4
	s_sub_i32 s6, 0, s1
	v_cvt_u32_f32_e32 v1, v1
	s_mul_i32 s22, s2, 6
	s_mul_i32 s24, s2, 7
	s_ashr_i32 s3, s2, 31
	s_ashr_i32 s13, s12, 31
	v_mul_lo_u32 v2, s6, v1
	s_ashr_i32 s17, s16, 31
	s_ashr_i32 s19, s18, 31
	;; [unrolled: 1-line block ×5, first 2 shown]
	s_mov_b32 s6, 0
	s_lshl_b32 s33, s0, 8
	v_mul_hi_u32 v0, v1, v2
	s_mov_b32 s7, s31
	s_lshl_b64 s[12:13], s[12:13], 1
	s_lshl_b64 s[14:15], s[16:17], 1
	;; [unrolled: 1-line block ×6, first 2 shown]
	v_add_nc_u32_e32 v8, v1, v0
	s_lshl_b64 s[24:25], s[2:3], 1
	s_mov_b32 s35, s6
	s_branch .LBB138_3
.LBB138_1:                              ;   in Loop: Header=BB138_3 Depth=1
	s_or_b32 exec_lo, exec_lo, s26
	s_add_i32 s34, s34, -1
	v_add_nc_u32_e32 v7, s33, v7
	s_cmp_eq_u32 s34, 0
	s_cselect_b32 s26, -1, 0
	s_delay_alu instid0(SALU_CYCLE_1)
	s_or_not1_b32 s26, s26, exec_lo
.LBB138_2:                              ;   in Loop: Header=BB138_3 Depth=1
	s_or_b32 exec_lo, exec_lo, s0
	s_delay_alu instid0(SALU_CYCLE_1) | instskip(NEXT) | instid1(SALU_CYCLE_1)
	s_and_b32 s0, exec_lo, s26
	s_or_b32 s35, s0, s35
	s_delay_alu instid0(SALU_CYCLE_1)
	s_and_not1_b32 exec_lo, exec_lo, s35
	s_cbranch_execz .LBB138_24
.LBB138_3:                              ; =>This Inner Loop Header: Depth=1
	s_cmp_lg_u64 s[6:7], 0
                                        ; implicit-def: $vgpr5_vgpr6
	s_cselect_b32 s0, -1, 0
	s_delay_alu instid0(SALU_CYCLE_1) | instskip(NEXT) | instid1(SALU_CYCLE_1)
	s_and_saveexec_b32 s26, s0
	s_xor_b32 s36, exec_lo, s26
	s_cbranch_execz .LBB138_5
; %bb.4:                                ;   in Loop: Header=BB138_3 Depth=1
	s_add_u32 s28, s1, s31
	s_mov_b32 s26, s31
	s_mov_b32 s27, s31
	s_addc_u32 s29, s31, s31
	s_delay_alu instid0(SALU_CYCLE_1) | instskip(NEXT) | instid1(SALU_CYCLE_1)
	s_xor_b64 s[28:29], s[28:29], s[26:27]
	v_cvt_f32_u32_e32 v0, s28
	v_cvt_f32_u32_e32 v1, s29
	s_sub_u32 s0, 0, s28
	s_subb_u32 s37, 0, s29
	s_delay_alu instid0(VALU_DEP_1) | instskip(NEXT) | instid1(VALU_DEP_1)
	v_fmac_f32_e32 v0, 0x4f800000, v1
	v_rcp_f32_e32 v0, v0
	s_waitcnt_depctr 0xfff
	v_mul_f32_e32 v0, 0x5f7ffffc, v0
	s_delay_alu instid0(VALU_DEP_1) | instskip(NEXT) | instid1(VALU_DEP_1)
	v_mul_f32_e32 v1, 0x2f800000, v0
	v_trunc_f32_e32 v1, v1
	s_delay_alu instid0(VALU_DEP_1) | instskip(SKIP_1) | instid1(VALU_DEP_2)
	v_fmac_f32_e32 v0, 0xcf800000, v1
	v_cvt_u32_f32_e32 v1, v1
	v_cvt_u32_f32_e32 v0, v0
	s_delay_alu instid0(VALU_DEP_2) | instskip(NEXT) | instid1(VALU_DEP_2)
	v_mul_lo_u32 v2, s0, v1
	v_mul_hi_u32 v3, s0, v0
	v_mul_lo_u32 v5, s37, v0
	s_delay_alu instid0(VALU_DEP_2) | instskip(SKIP_1) | instid1(VALU_DEP_2)
	v_add_nc_u32_e32 v2, v3, v2
	v_mul_lo_u32 v3, s0, v0
	v_add_nc_u32_e32 v2, v2, v5
	s_delay_alu instid0(VALU_DEP_2) | instskip(NEXT) | instid1(VALU_DEP_2)
	v_mul_hi_u32 v5, v0, v3
	v_mul_lo_u32 v6, v0, v2
	v_mul_hi_u32 v9, v0, v2
	v_mul_hi_u32 v10, v1, v3
	v_mul_lo_u32 v3, v1, v3
	v_mul_hi_u32 v11, v1, v2
	v_mul_lo_u32 v2, v1, v2
	v_add_co_u32 v5, vcc_lo, v5, v6
	v_add_co_ci_u32_e32 v6, vcc_lo, 0, v9, vcc_lo
	s_delay_alu instid0(VALU_DEP_2) | instskip(NEXT) | instid1(VALU_DEP_2)
	v_add_co_u32 v3, vcc_lo, v5, v3
	v_add_co_ci_u32_e32 v3, vcc_lo, v6, v10, vcc_lo
	v_add_co_ci_u32_e32 v5, vcc_lo, 0, v11, vcc_lo
	s_delay_alu instid0(VALU_DEP_2) | instskip(NEXT) | instid1(VALU_DEP_2)
	v_add_co_u32 v2, vcc_lo, v3, v2
	v_add_co_ci_u32_e32 v3, vcc_lo, 0, v5, vcc_lo
	s_delay_alu instid0(VALU_DEP_2) | instskip(NEXT) | instid1(VALU_DEP_2)
	v_add_co_u32 v0, vcc_lo, v0, v2
	v_add_co_ci_u32_e32 v1, vcc_lo, v1, v3, vcc_lo
	s_delay_alu instid0(VALU_DEP_2) | instskip(SKIP_1) | instid1(VALU_DEP_3)
	v_mul_hi_u32 v2, s0, v0
	v_mul_lo_u32 v5, s37, v0
	v_mul_lo_u32 v3, s0, v1
	s_delay_alu instid0(VALU_DEP_1) | instskip(SKIP_1) | instid1(VALU_DEP_2)
	v_add_nc_u32_e32 v2, v2, v3
	v_mul_lo_u32 v3, s0, v0
	v_add_nc_u32_e32 v2, v2, v5
	s_delay_alu instid0(VALU_DEP_2) | instskip(NEXT) | instid1(VALU_DEP_2)
	v_mul_hi_u32 v5, v0, v3
	v_mul_lo_u32 v6, v0, v2
	v_mul_hi_u32 v9, v0, v2
	v_mul_hi_u32 v10, v1, v3
	v_mul_lo_u32 v3, v1, v3
	v_mul_hi_u32 v11, v1, v2
	v_mul_lo_u32 v2, v1, v2
	v_add_co_u32 v5, vcc_lo, v5, v6
	v_add_co_ci_u32_e32 v6, vcc_lo, 0, v9, vcc_lo
	s_delay_alu instid0(VALU_DEP_2) | instskip(NEXT) | instid1(VALU_DEP_2)
	v_add_co_u32 v3, vcc_lo, v5, v3
	v_add_co_ci_u32_e32 v3, vcc_lo, v6, v10, vcc_lo
	v_add_co_ci_u32_e32 v5, vcc_lo, 0, v11, vcc_lo
	s_delay_alu instid0(VALU_DEP_2) | instskip(NEXT) | instid1(VALU_DEP_2)
	v_add_co_u32 v2, vcc_lo, v3, v2
	v_add_co_ci_u32_e32 v3, vcc_lo, 0, v5, vcc_lo
	s_delay_alu instid0(VALU_DEP_2) | instskip(NEXT) | instid1(VALU_DEP_2)
	v_add_co_u32 v5, vcc_lo, v0, v2
	v_add_co_ci_u32_e32 v9, vcc_lo, v1, v3, vcc_lo
	s_delay_alu instid0(VALU_DEP_2) | instskip(SKIP_1) | instid1(VALU_DEP_3)
	v_mul_hi_u32 v10, v7, v5
	v_mad_u64_u32 v[2:3], null, 0, v5, 0
	v_mad_u64_u32 v[0:1], null, v7, v9, 0
	;; [unrolled: 1-line block ×3, first 2 shown]
	s_delay_alu instid0(VALU_DEP_2) | instskip(NEXT) | instid1(VALU_DEP_3)
	v_add_co_u32 v0, vcc_lo, v10, v0
	v_add_co_ci_u32_e32 v1, vcc_lo, 0, v1, vcc_lo
	s_delay_alu instid0(VALU_DEP_2) | instskip(NEXT) | instid1(VALU_DEP_2)
	v_add_co_u32 v0, vcc_lo, v0, v2
	v_add_co_ci_u32_e32 v0, vcc_lo, v1, v3, vcc_lo
	v_add_co_ci_u32_e32 v1, vcc_lo, 0, v6, vcc_lo
	s_delay_alu instid0(VALU_DEP_2) | instskip(NEXT) | instid1(VALU_DEP_2)
	v_add_co_u32 v2, vcc_lo, v0, v5
	v_add_co_ci_u32_e32 v3, vcc_lo, 0, v1, vcc_lo
	s_delay_alu instid0(VALU_DEP_2) | instskip(SKIP_1) | instid1(VALU_DEP_3)
	v_mul_lo_u32 v5, s29, v2
	v_mad_u64_u32 v[0:1], null, s28, v2, 0
	v_mul_lo_u32 v6, s28, v3
	s_delay_alu instid0(VALU_DEP_2) | instskip(NEXT) | instid1(VALU_DEP_2)
	v_sub_co_u32 v0, vcc_lo, v7, v0
	v_add3_u32 v1, v1, v6, v5
	s_delay_alu instid0(VALU_DEP_1) | instskip(NEXT) | instid1(VALU_DEP_1)
	v_sub_nc_u32_e32 v5, 0, v1
	v_subrev_co_ci_u32_e64 v5, s0, s29, v5, vcc_lo
	v_add_co_u32 v6, s0, v2, 2
	s_delay_alu instid0(VALU_DEP_1) | instskip(SKIP_3) | instid1(VALU_DEP_3)
	v_add_co_ci_u32_e64 v9, s0, 0, v3, s0
	v_sub_co_u32 v10, s0, v0, s28
	v_sub_co_ci_u32_e32 v1, vcc_lo, 0, v1, vcc_lo
	v_subrev_co_ci_u32_e64 v5, s0, 0, v5, s0
	v_cmp_le_u32_e32 vcc_lo, s28, v10
	s_delay_alu instid0(VALU_DEP_3) | instskip(SKIP_1) | instid1(VALU_DEP_4)
	v_cmp_eq_u32_e64 s0, s29, v1
	v_cndmask_b32_e64 v10, 0, -1, vcc_lo
	v_cmp_le_u32_e32 vcc_lo, s29, v5
	v_cndmask_b32_e64 v11, 0, -1, vcc_lo
	v_cmp_le_u32_e32 vcc_lo, s28, v0
	;; [unrolled: 2-line block ×3, first 2 shown]
	v_cndmask_b32_e64 v12, 0, -1, vcc_lo
	v_cmp_eq_u32_e32 vcc_lo, s29, v5
	s_delay_alu instid0(VALU_DEP_2) | instskip(SKIP_3) | instid1(VALU_DEP_3)
	v_cndmask_b32_e64 v0, v12, v0, s0
	v_cndmask_b32_e32 v5, v11, v10, vcc_lo
	v_add_co_u32 v10, vcc_lo, v2, 1
	v_add_co_ci_u32_e32 v11, vcc_lo, 0, v3, vcc_lo
	v_cmp_ne_u32_e32 vcc_lo, 0, v5
	s_delay_alu instid0(VALU_DEP_3) | instskip(NEXT) | instid1(VALU_DEP_3)
	v_cndmask_b32_e32 v5, v10, v6, vcc_lo
	v_cndmask_b32_e32 v1, v11, v9, vcc_lo
	v_cmp_ne_u32_e32 vcc_lo, 0, v0
	s_delay_alu instid0(VALU_DEP_2) | instskip(NEXT) | instid1(VALU_DEP_4)
	v_cndmask_b32_e32 v0, v3, v1, vcc_lo
	v_cndmask_b32_e32 v1, v2, v5, vcc_lo
	s_delay_alu instid0(VALU_DEP_2) | instskip(NEXT) | instid1(VALU_DEP_2)
	v_xor_b32_e32 v0, s27, v0
	v_xor_b32_e32 v1, s26, v1
	s_delay_alu instid0(VALU_DEP_1) | instskip(NEXT) | instid1(VALU_DEP_3)
	v_sub_co_u32 v5, vcc_lo, v1, s26
	v_subrev_co_ci_u32_e32 v6, vcc_lo, s27, v0, vcc_lo
.LBB138_5:                              ;   in Loop: Header=BB138_3 Depth=1
	s_and_not1_saveexec_b32 s0, s36
; %bb.6:                                ;   in Loop: Header=BB138_3 Depth=1
	v_mul_hi_u32 v0, v7, v8
	s_delay_alu instid0(VALU_DEP_1) | instskip(NEXT) | instid1(VALU_DEP_1)
	v_mul_lo_u32 v1, v0, s1
	v_sub_nc_u32_e32 v1, v7, v1
	s_delay_alu instid0(VALU_DEP_1) | instskip(SKIP_1) | instid1(VALU_DEP_2)
	v_subrev_nc_u32_e32 v3, s1, v1
	v_cmp_le_u32_e32 vcc_lo, s1, v1
	v_dual_cndmask_b32 v1, v1, v3 :: v_dual_add_nc_u32 v2, 1, v0
	s_delay_alu instid0(VALU_DEP_1) | instskip(NEXT) | instid1(VALU_DEP_2)
	v_cndmask_b32_e32 v0, v0, v2, vcc_lo
	v_cmp_le_u32_e32 vcc_lo, s1, v1
	s_delay_alu instid0(VALU_DEP_2) | instskip(NEXT) | instid1(VALU_DEP_1)
	v_add_nc_u32_e32 v2, 1, v0
	v_cndmask_b32_e32 v3, v0, v2, vcc_lo
	s_delay_alu instid0(VALU_DEP_1)
	v_dual_mov_b32 v6, v4 :: v_dual_mov_b32 v5, v3
; %bb.7:                                ;   in Loop: Header=BB138_3 Depth=1
	s_or_b32 exec_lo, exec_lo, s0
	s_mov_b32 s26, -1
	s_mov_b32 s0, exec_lo
	s_delay_alu instid0(VALU_DEP_1)
	v_cmpx_gt_i64_e64 s[2:3], v[5:6]
	s_cbranch_execz .LBB138_2
; %bb.8:                                ;   in Loop: Header=BB138_3 Depth=1
	v_mul_lo_u32 v0, v5, s1
	v_mul_lo_u32 v1, v5, s30
	v_lshlrev_b64 v[5:6], 1, v[5:6]
	s_mov_b32 s26, exec_lo
	s_delay_alu instid0(VALU_DEP_1) | instskip(NEXT) | instid1(VALU_DEP_4)
	v_add_co_u32 v5, vcc_lo, s4, v5
	v_sub_nc_u32_e32 v0, v7, v0
	s_delay_alu instid0(VALU_DEP_3) | instskip(NEXT) | instid1(VALU_DEP_2)
	v_add_co_ci_u32_e32 v6, vcc_lo, s5, v6, vcc_lo
	v_lshlrev_b32_e32 v9, 3, v0
	s_delay_alu instid0(VALU_DEP_1) | instskip(SKIP_3) | instid1(VALU_DEP_1)
	v_add_lshl_u32 v0, v1, v9, 1
	v_mul_lo_u32 v10, v9, s2
	buffer_load_b128 v[0:3], v0, s[8:11], 0 offen
	v_ashrrev_i32_e32 v11, 31, v10
	v_lshlrev_b64 v[10:11], 1, v[10:11]
	s_delay_alu instid0(VALU_DEP_1) | instskip(NEXT) | instid1(VALU_DEP_2)
	v_add_co_u32 v5, vcc_lo, v5, v10
	v_add_co_ci_u32_e32 v6, vcc_lo, v6, v11, vcc_lo
	v_cmpx_gt_i32_e64 s30, v9
	s_cbranch_execz .LBB138_10
; %bb.9:                                ;   in Loop: Header=BB138_3 Depth=1
	s_waitcnt vmcnt(0)
	global_store_b16 v[5:6], v0, off
.LBB138_10:                             ;   in Loop: Header=BB138_3 Depth=1
	s_or_b32 exec_lo, exec_lo, s26
	v_or_b32_e32 v10, 1, v9
	s_mov_b32 s26, exec_lo
	s_delay_alu instid0(VALU_DEP_1)
	v_cmpx_gt_i32_e64 s30, v10
	s_cbranch_execz .LBB138_12
; %bb.11:                               ;   in Loop: Header=BB138_3 Depth=1
	v_add_co_u32 v10, vcc_lo, v5, s24
	v_add_co_ci_u32_e32 v11, vcc_lo, s25, v6, vcc_lo
	s_waitcnt vmcnt(0)
	global_store_d16_hi_b16 v[10:11], v0, off
.LBB138_12:                             ;   in Loop: Header=BB138_3 Depth=1
	s_or_b32 exec_lo, exec_lo, s26
	s_waitcnt vmcnt(0)
	v_or_b32_e32 v0, 2, v9
	s_mov_b32 s26, exec_lo
	s_delay_alu instid0(VALU_DEP_1)
	v_cmpx_gt_i32_e64 s30, v0
	s_cbranch_execz .LBB138_14
; %bb.13:                               ;   in Loop: Header=BB138_3 Depth=1
	v_add_co_u32 v10, vcc_lo, v5, s12
	v_add_co_ci_u32_e32 v11, vcc_lo, s13, v6, vcc_lo
	global_store_b16 v[10:11], v1, off
.LBB138_14:                             ;   in Loop: Header=BB138_3 Depth=1
	s_or_b32 exec_lo, exec_lo, s26
	v_or_b32_e32 v0, 3, v9
	s_mov_b32 s26, exec_lo
	s_delay_alu instid0(VALU_DEP_1)
	v_cmpx_gt_i32_e64 s30, v0
	s_cbranch_execz .LBB138_16
; %bb.15:                               ;   in Loop: Header=BB138_3 Depth=1
	v_add_co_u32 v10, vcc_lo, v5, s14
	v_add_co_ci_u32_e32 v11, vcc_lo, s15, v6, vcc_lo
	global_store_d16_hi_b16 v[10:11], v1, off
.LBB138_16:                             ;   in Loop: Header=BB138_3 Depth=1
	s_or_b32 exec_lo, exec_lo, s26
	v_or_b32_e32 v0, 4, v9
	s_mov_b32 s26, exec_lo
	s_delay_alu instid0(VALU_DEP_1)
	v_cmpx_gt_i32_e64 s30, v0
	s_cbranch_execz .LBB138_18
; %bb.17:                               ;   in Loop: Header=BB138_3 Depth=1
	v_add_co_u32 v0, vcc_lo, v5, s16
	v_add_co_ci_u32_e32 v1, vcc_lo, s17, v6, vcc_lo
	global_store_b16 v[0:1], v2, off
.LBB138_18:                             ;   in Loop: Header=BB138_3 Depth=1
	s_or_b32 exec_lo, exec_lo, s26
	v_or_b32_e32 v0, 5, v9
	s_mov_b32 s26, exec_lo
	s_delay_alu instid0(VALU_DEP_1)
	v_cmpx_gt_i32_e64 s30, v0
	s_cbranch_execz .LBB138_20
; %bb.19:                               ;   in Loop: Header=BB138_3 Depth=1
	v_add_co_u32 v0, vcc_lo, v5, s18
	v_add_co_ci_u32_e32 v1, vcc_lo, s19, v6, vcc_lo
	global_store_d16_hi_b16 v[0:1], v2, off
.LBB138_20:                             ;   in Loop: Header=BB138_3 Depth=1
	s_or_b32 exec_lo, exec_lo, s26
	v_or_b32_e32 v0, 6, v9
	s_mov_b32 s26, exec_lo
	s_delay_alu instid0(VALU_DEP_1)
	v_cmpx_gt_i32_e64 s30, v0
	s_cbranch_execz .LBB138_22
; %bb.21:                               ;   in Loop: Header=BB138_3 Depth=1
	v_add_co_u32 v0, vcc_lo, v5, s20
	v_add_co_ci_u32_e32 v1, vcc_lo, s21, v6, vcc_lo
	global_store_b16 v[0:1], v3, off
.LBB138_22:                             ;   in Loop: Header=BB138_3 Depth=1
	s_or_b32 exec_lo, exec_lo, s26
	v_or_b32_e32 v0, 7, v9
	s_mov_b32 s26, exec_lo
	s_delay_alu instid0(VALU_DEP_1)
	v_cmpx_gt_i32_e64 s30, v0
	s_cbranch_execz .LBB138_1
; %bb.23:                               ;   in Loop: Header=BB138_3 Depth=1
	v_add_co_u32 v0, vcc_lo, v5, s22
	v_add_co_ci_u32_e32 v1, vcc_lo, s23, v6, vcc_lo
	global_store_d16_hi_b16 v[0:1], v3, off
	s_branch .LBB138_1
.LBB138_24:
	s_nop 0
	s_sendmsg sendmsg(MSG_DEALLOC_VGPRS)
	s_endpgm
	.section	.rodata,"a",@progbits
	.p2align	6, 0x0
	.amdhsa_kernel _ZN5aiter24partial_transpose_kernelIDF16_Li256ELi8ELi10000EEEvPT_S2_PKii
		.amdhsa_group_segment_fixed_size 0
		.amdhsa_private_segment_fixed_size 0
		.amdhsa_kernarg_size 288
		.amdhsa_user_sgpr_count 15
		.amdhsa_user_sgpr_dispatch_ptr 0
		.amdhsa_user_sgpr_queue_ptr 0
		.amdhsa_user_sgpr_kernarg_segment_ptr 1
		.amdhsa_user_sgpr_dispatch_id 0
		.amdhsa_user_sgpr_private_segment_size 0
		.amdhsa_wavefront_size32 1
		.amdhsa_uses_dynamic_stack 0
		.amdhsa_enable_private_segment 0
		.amdhsa_system_sgpr_workgroup_id_x 1
		.amdhsa_system_sgpr_workgroup_id_y 0
		.amdhsa_system_sgpr_workgroup_id_z 0
		.amdhsa_system_sgpr_workgroup_info 0
		.amdhsa_system_vgpr_workitem_id 0
		.amdhsa_next_free_vgpr 13
		.amdhsa_next_free_sgpr 38
		.amdhsa_reserve_vcc 1
		.amdhsa_float_round_mode_32 0
		.amdhsa_float_round_mode_16_64 0
		.amdhsa_float_denorm_mode_32 3
		.amdhsa_float_denorm_mode_16_64 3
		.amdhsa_dx10_clamp 1
		.amdhsa_ieee_mode 1
		.amdhsa_fp16_overflow 0
		.amdhsa_workgroup_processor_mode 1
		.amdhsa_memory_ordered 1
		.amdhsa_forward_progress 0
		.amdhsa_shared_vgpr_count 0
		.amdhsa_exception_fp_ieee_invalid_op 0
		.amdhsa_exception_fp_denorm_src 0
		.amdhsa_exception_fp_ieee_div_zero 0
		.amdhsa_exception_fp_ieee_overflow 0
		.amdhsa_exception_fp_ieee_underflow 0
		.amdhsa_exception_fp_ieee_inexact 0
		.amdhsa_exception_int_div_zero 0
	.end_amdhsa_kernel
	.section	.text._ZN5aiter24partial_transpose_kernelIDF16_Li256ELi8ELi10000EEEvPT_S2_PKii,"axG",@progbits,_ZN5aiter24partial_transpose_kernelIDF16_Li256ELi8ELi10000EEEvPT_S2_PKii,comdat
.Lfunc_end138:
	.size	_ZN5aiter24partial_transpose_kernelIDF16_Li256ELi8ELi10000EEEvPT_S2_PKii, .Lfunc_end138-_ZN5aiter24partial_transpose_kernelIDF16_Li256ELi8ELi10000EEEvPT_S2_PKii
                                        ; -- End function
	.section	.AMDGPU.csdata,"",@progbits
; Kernel info:
; codeLenInByte = 1768
; NumSgprs: 40
; NumVgprs: 13
; ScratchSize: 0
; MemoryBound: 0
; FloatMode: 240
; IeeeMode: 1
; LDSByteSize: 0 bytes/workgroup (compile time only)
; SGPRBlocks: 4
; VGPRBlocks: 1
; NumSGPRsForWavesPerEU: 40
; NumVGPRsForWavesPerEU: 13
; Occupancy: 16
; WaveLimiterHint : 1
; COMPUTE_PGM_RSRC2:SCRATCH_EN: 0
; COMPUTE_PGM_RSRC2:USER_SGPR: 15
; COMPUTE_PGM_RSRC2:TRAP_HANDLER: 0
; COMPUTE_PGM_RSRC2:TGID_X_EN: 1
; COMPUTE_PGM_RSRC2:TGID_Y_EN: 0
; COMPUTE_PGM_RSRC2:TGID_Z_EN: 0
; COMPUTE_PGM_RSRC2:TIDIG_COMP_CNT: 0
	.section	.text._ZN5aiter24partial_transpose_kernelItLi256ELi8ELi10000EEEvPT_S2_PKii,"axG",@progbits,_ZN5aiter24partial_transpose_kernelItLi256ELi8ELi10000EEEvPT_S2_PKii,comdat
	.protected	_ZN5aiter24partial_transpose_kernelItLi256ELi8ELi10000EEEvPT_S2_PKii ; -- Begin function _ZN5aiter24partial_transpose_kernelItLi256ELi8ELi10000EEEvPT_S2_PKii
	.globl	_ZN5aiter24partial_transpose_kernelItLi256ELi8ELi10000EEEvPT_S2_PKii
	.p2align	8
	.type	_ZN5aiter24partial_transpose_kernelItLi256ELi8ELi10000EEEvPT_S2_PKii,@function
_ZN5aiter24partial_transpose_kernelItLi256ELi8ELi10000EEEvPT_S2_PKii: ; @_ZN5aiter24partial_transpose_kernelItLi256ELi8ELi10000EEEvPT_S2_PKii
; %bb.0:
	s_clause 0x2
	s_load_b64 s[2:3], s[0:1], 0x10
	s_load_b32 s30, s[0:1], 0x18
	s_load_b128 s[4:7], s[0:1], 0x0
	v_lshl_add_u32 v7, s15, 8, v0
	s_mov_b32 s11, -1
	s_movk_i32 s34, 0x2710
	s_waitcnt lgkmcnt(0)
	s_load_b32 s2, s[2:3], 0x0
	s_load_b32 s0, s[0:1], 0x20
	s_add_i32 s1, s30, 7
	s_and_b32 s7, s7, 0xffff
	s_ashr_i32 s3, s1, 31
	s_mov_b64 s[8:9], s[6:7]
	s_lshr_b32 s3, s3, 29
	v_mov_b32_e32 v4, 0
	s_add_i32 s1, s1, s3
	s_delay_alu instid0(SALU_CYCLE_1) | instskip(NEXT) | instid1(SALU_CYCLE_1)
	s_ashr_i32 s1, s1, 3
	v_cvt_f32_u32_e32 v1, s1
	s_ashr_i32 s31, s1, 31
	s_delay_alu instid0(VALU_DEP_1)
	v_rcp_iflag_f32_e32 v1, v1
	s_waitcnt lgkmcnt(0)
	s_mul_i32 s6, s2, s30
	s_lshl_b32 s12, s2, 1
	s_add_i32 s6, s6, 1
	s_mul_i32 s16, s2, 3
	s_lshr_b32 s7, s6, 31
	s_lshl_b32 s18, s2, 2
	s_add_i32 s6, s6, s7
	s_waitcnt_depctr 0xfff
	v_mul_f32_e32 v1, 0x4f7ffffe, v1
	s_lshl_b32 s6, s6, 1
	s_mul_i32 s20, s2, 5
	s_and_b32 s10, s6, -4
	s_sub_i32 s6, 0, s1
	v_cvt_u32_f32_e32 v1, v1
	s_mul_i32 s22, s2, 6
	s_mul_i32 s24, s2, 7
	s_ashr_i32 s3, s2, 31
	s_ashr_i32 s13, s12, 31
	v_mul_lo_u32 v2, s6, v1
	s_ashr_i32 s17, s16, 31
	s_ashr_i32 s19, s18, 31
	;; [unrolled: 1-line block ×5, first 2 shown]
	s_mov_b32 s6, 0
	s_lshl_b32 s33, s0, 8
	v_mul_hi_u32 v0, v1, v2
	s_mov_b32 s7, s31
	s_lshl_b64 s[12:13], s[12:13], 1
	s_lshl_b64 s[14:15], s[16:17], 1
	;; [unrolled: 1-line block ×6, first 2 shown]
	v_add_nc_u32_e32 v8, v1, v0
	s_lshl_b64 s[24:25], s[2:3], 1
	s_mov_b32 s35, s6
	s_branch .LBB139_3
.LBB139_1:                              ;   in Loop: Header=BB139_3 Depth=1
	s_or_b32 exec_lo, exec_lo, s26
	s_add_i32 s34, s34, -1
	v_add_nc_u32_e32 v7, s33, v7
	s_cmp_eq_u32 s34, 0
	s_cselect_b32 s26, -1, 0
	s_delay_alu instid0(SALU_CYCLE_1)
	s_or_not1_b32 s26, s26, exec_lo
.LBB139_2:                              ;   in Loop: Header=BB139_3 Depth=1
	s_or_b32 exec_lo, exec_lo, s0
	s_delay_alu instid0(SALU_CYCLE_1) | instskip(NEXT) | instid1(SALU_CYCLE_1)
	s_and_b32 s0, exec_lo, s26
	s_or_b32 s35, s0, s35
	s_delay_alu instid0(SALU_CYCLE_1)
	s_and_not1_b32 exec_lo, exec_lo, s35
	s_cbranch_execz .LBB139_24
.LBB139_3:                              ; =>This Inner Loop Header: Depth=1
	s_cmp_lg_u64 s[6:7], 0
                                        ; implicit-def: $vgpr5_vgpr6
	s_cselect_b32 s0, -1, 0
	s_delay_alu instid0(SALU_CYCLE_1) | instskip(NEXT) | instid1(SALU_CYCLE_1)
	s_and_saveexec_b32 s26, s0
	s_xor_b32 s36, exec_lo, s26
	s_cbranch_execz .LBB139_5
; %bb.4:                                ;   in Loop: Header=BB139_3 Depth=1
	s_add_u32 s28, s1, s31
	s_mov_b32 s26, s31
	s_mov_b32 s27, s31
	s_addc_u32 s29, s31, s31
	s_delay_alu instid0(SALU_CYCLE_1) | instskip(NEXT) | instid1(SALU_CYCLE_1)
	s_xor_b64 s[28:29], s[28:29], s[26:27]
	v_cvt_f32_u32_e32 v0, s28
	v_cvt_f32_u32_e32 v1, s29
	s_sub_u32 s0, 0, s28
	s_subb_u32 s37, 0, s29
	s_delay_alu instid0(VALU_DEP_1) | instskip(NEXT) | instid1(VALU_DEP_1)
	v_fmac_f32_e32 v0, 0x4f800000, v1
	v_rcp_f32_e32 v0, v0
	s_waitcnt_depctr 0xfff
	v_mul_f32_e32 v0, 0x5f7ffffc, v0
	s_delay_alu instid0(VALU_DEP_1) | instskip(NEXT) | instid1(VALU_DEP_1)
	v_mul_f32_e32 v1, 0x2f800000, v0
	v_trunc_f32_e32 v1, v1
	s_delay_alu instid0(VALU_DEP_1) | instskip(SKIP_1) | instid1(VALU_DEP_2)
	v_fmac_f32_e32 v0, 0xcf800000, v1
	v_cvt_u32_f32_e32 v1, v1
	v_cvt_u32_f32_e32 v0, v0
	s_delay_alu instid0(VALU_DEP_2) | instskip(NEXT) | instid1(VALU_DEP_2)
	v_mul_lo_u32 v2, s0, v1
	v_mul_hi_u32 v3, s0, v0
	v_mul_lo_u32 v5, s37, v0
	s_delay_alu instid0(VALU_DEP_2) | instskip(SKIP_1) | instid1(VALU_DEP_2)
	v_add_nc_u32_e32 v2, v3, v2
	v_mul_lo_u32 v3, s0, v0
	v_add_nc_u32_e32 v2, v2, v5
	s_delay_alu instid0(VALU_DEP_2) | instskip(NEXT) | instid1(VALU_DEP_2)
	v_mul_hi_u32 v5, v0, v3
	v_mul_lo_u32 v6, v0, v2
	v_mul_hi_u32 v9, v0, v2
	v_mul_hi_u32 v10, v1, v3
	v_mul_lo_u32 v3, v1, v3
	v_mul_hi_u32 v11, v1, v2
	v_mul_lo_u32 v2, v1, v2
	v_add_co_u32 v5, vcc_lo, v5, v6
	v_add_co_ci_u32_e32 v6, vcc_lo, 0, v9, vcc_lo
	s_delay_alu instid0(VALU_DEP_2) | instskip(NEXT) | instid1(VALU_DEP_2)
	v_add_co_u32 v3, vcc_lo, v5, v3
	v_add_co_ci_u32_e32 v3, vcc_lo, v6, v10, vcc_lo
	v_add_co_ci_u32_e32 v5, vcc_lo, 0, v11, vcc_lo
	s_delay_alu instid0(VALU_DEP_2) | instskip(NEXT) | instid1(VALU_DEP_2)
	v_add_co_u32 v2, vcc_lo, v3, v2
	v_add_co_ci_u32_e32 v3, vcc_lo, 0, v5, vcc_lo
	s_delay_alu instid0(VALU_DEP_2) | instskip(NEXT) | instid1(VALU_DEP_2)
	v_add_co_u32 v0, vcc_lo, v0, v2
	v_add_co_ci_u32_e32 v1, vcc_lo, v1, v3, vcc_lo
	s_delay_alu instid0(VALU_DEP_2) | instskip(SKIP_1) | instid1(VALU_DEP_3)
	v_mul_hi_u32 v2, s0, v0
	v_mul_lo_u32 v5, s37, v0
	v_mul_lo_u32 v3, s0, v1
	s_delay_alu instid0(VALU_DEP_1) | instskip(SKIP_1) | instid1(VALU_DEP_2)
	v_add_nc_u32_e32 v2, v2, v3
	v_mul_lo_u32 v3, s0, v0
	v_add_nc_u32_e32 v2, v2, v5
	s_delay_alu instid0(VALU_DEP_2) | instskip(NEXT) | instid1(VALU_DEP_2)
	v_mul_hi_u32 v5, v0, v3
	v_mul_lo_u32 v6, v0, v2
	v_mul_hi_u32 v9, v0, v2
	v_mul_hi_u32 v10, v1, v3
	v_mul_lo_u32 v3, v1, v3
	v_mul_hi_u32 v11, v1, v2
	v_mul_lo_u32 v2, v1, v2
	v_add_co_u32 v5, vcc_lo, v5, v6
	v_add_co_ci_u32_e32 v6, vcc_lo, 0, v9, vcc_lo
	s_delay_alu instid0(VALU_DEP_2) | instskip(NEXT) | instid1(VALU_DEP_2)
	v_add_co_u32 v3, vcc_lo, v5, v3
	v_add_co_ci_u32_e32 v3, vcc_lo, v6, v10, vcc_lo
	v_add_co_ci_u32_e32 v5, vcc_lo, 0, v11, vcc_lo
	s_delay_alu instid0(VALU_DEP_2) | instskip(NEXT) | instid1(VALU_DEP_2)
	v_add_co_u32 v2, vcc_lo, v3, v2
	v_add_co_ci_u32_e32 v3, vcc_lo, 0, v5, vcc_lo
	s_delay_alu instid0(VALU_DEP_2) | instskip(NEXT) | instid1(VALU_DEP_2)
	v_add_co_u32 v5, vcc_lo, v0, v2
	v_add_co_ci_u32_e32 v9, vcc_lo, v1, v3, vcc_lo
	s_delay_alu instid0(VALU_DEP_2) | instskip(SKIP_1) | instid1(VALU_DEP_3)
	v_mul_hi_u32 v10, v7, v5
	v_mad_u64_u32 v[2:3], null, 0, v5, 0
	v_mad_u64_u32 v[0:1], null, v7, v9, 0
	;; [unrolled: 1-line block ×3, first 2 shown]
	s_delay_alu instid0(VALU_DEP_2) | instskip(NEXT) | instid1(VALU_DEP_3)
	v_add_co_u32 v0, vcc_lo, v10, v0
	v_add_co_ci_u32_e32 v1, vcc_lo, 0, v1, vcc_lo
	s_delay_alu instid0(VALU_DEP_2) | instskip(NEXT) | instid1(VALU_DEP_2)
	v_add_co_u32 v0, vcc_lo, v0, v2
	v_add_co_ci_u32_e32 v0, vcc_lo, v1, v3, vcc_lo
	v_add_co_ci_u32_e32 v1, vcc_lo, 0, v6, vcc_lo
	s_delay_alu instid0(VALU_DEP_2) | instskip(NEXT) | instid1(VALU_DEP_2)
	v_add_co_u32 v2, vcc_lo, v0, v5
	v_add_co_ci_u32_e32 v3, vcc_lo, 0, v1, vcc_lo
	s_delay_alu instid0(VALU_DEP_2) | instskip(SKIP_1) | instid1(VALU_DEP_3)
	v_mul_lo_u32 v5, s29, v2
	v_mad_u64_u32 v[0:1], null, s28, v2, 0
	v_mul_lo_u32 v6, s28, v3
	s_delay_alu instid0(VALU_DEP_2) | instskip(NEXT) | instid1(VALU_DEP_2)
	v_sub_co_u32 v0, vcc_lo, v7, v0
	v_add3_u32 v1, v1, v6, v5
	s_delay_alu instid0(VALU_DEP_1) | instskip(NEXT) | instid1(VALU_DEP_1)
	v_sub_nc_u32_e32 v5, 0, v1
	v_subrev_co_ci_u32_e64 v5, s0, s29, v5, vcc_lo
	v_add_co_u32 v6, s0, v2, 2
	s_delay_alu instid0(VALU_DEP_1) | instskip(SKIP_3) | instid1(VALU_DEP_3)
	v_add_co_ci_u32_e64 v9, s0, 0, v3, s0
	v_sub_co_u32 v10, s0, v0, s28
	v_sub_co_ci_u32_e32 v1, vcc_lo, 0, v1, vcc_lo
	v_subrev_co_ci_u32_e64 v5, s0, 0, v5, s0
	v_cmp_le_u32_e32 vcc_lo, s28, v10
	s_delay_alu instid0(VALU_DEP_3) | instskip(SKIP_1) | instid1(VALU_DEP_4)
	v_cmp_eq_u32_e64 s0, s29, v1
	v_cndmask_b32_e64 v10, 0, -1, vcc_lo
	v_cmp_le_u32_e32 vcc_lo, s29, v5
	v_cndmask_b32_e64 v11, 0, -1, vcc_lo
	v_cmp_le_u32_e32 vcc_lo, s28, v0
	;; [unrolled: 2-line block ×3, first 2 shown]
	v_cndmask_b32_e64 v12, 0, -1, vcc_lo
	v_cmp_eq_u32_e32 vcc_lo, s29, v5
	s_delay_alu instid0(VALU_DEP_2) | instskip(SKIP_3) | instid1(VALU_DEP_3)
	v_cndmask_b32_e64 v0, v12, v0, s0
	v_cndmask_b32_e32 v5, v11, v10, vcc_lo
	v_add_co_u32 v10, vcc_lo, v2, 1
	v_add_co_ci_u32_e32 v11, vcc_lo, 0, v3, vcc_lo
	v_cmp_ne_u32_e32 vcc_lo, 0, v5
	s_delay_alu instid0(VALU_DEP_3) | instskip(NEXT) | instid1(VALU_DEP_3)
	v_cndmask_b32_e32 v5, v10, v6, vcc_lo
	v_cndmask_b32_e32 v1, v11, v9, vcc_lo
	v_cmp_ne_u32_e32 vcc_lo, 0, v0
	s_delay_alu instid0(VALU_DEP_2) | instskip(NEXT) | instid1(VALU_DEP_4)
	v_cndmask_b32_e32 v0, v3, v1, vcc_lo
	v_cndmask_b32_e32 v1, v2, v5, vcc_lo
	s_delay_alu instid0(VALU_DEP_2) | instskip(NEXT) | instid1(VALU_DEP_2)
	v_xor_b32_e32 v0, s27, v0
	v_xor_b32_e32 v1, s26, v1
	s_delay_alu instid0(VALU_DEP_1) | instskip(NEXT) | instid1(VALU_DEP_3)
	v_sub_co_u32 v5, vcc_lo, v1, s26
	v_subrev_co_ci_u32_e32 v6, vcc_lo, s27, v0, vcc_lo
.LBB139_5:                              ;   in Loop: Header=BB139_3 Depth=1
	s_and_not1_saveexec_b32 s0, s36
; %bb.6:                                ;   in Loop: Header=BB139_3 Depth=1
	v_mul_hi_u32 v0, v7, v8
	s_delay_alu instid0(VALU_DEP_1) | instskip(NEXT) | instid1(VALU_DEP_1)
	v_mul_lo_u32 v1, v0, s1
	v_sub_nc_u32_e32 v1, v7, v1
	s_delay_alu instid0(VALU_DEP_1) | instskip(SKIP_1) | instid1(VALU_DEP_2)
	v_subrev_nc_u32_e32 v3, s1, v1
	v_cmp_le_u32_e32 vcc_lo, s1, v1
	v_dual_cndmask_b32 v1, v1, v3 :: v_dual_add_nc_u32 v2, 1, v0
	s_delay_alu instid0(VALU_DEP_1) | instskip(NEXT) | instid1(VALU_DEP_2)
	v_cndmask_b32_e32 v0, v0, v2, vcc_lo
	v_cmp_le_u32_e32 vcc_lo, s1, v1
	s_delay_alu instid0(VALU_DEP_2) | instskip(NEXT) | instid1(VALU_DEP_1)
	v_add_nc_u32_e32 v2, 1, v0
	v_cndmask_b32_e32 v3, v0, v2, vcc_lo
	s_delay_alu instid0(VALU_DEP_1)
	v_dual_mov_b32 v6, v4 :: v_dual_mov_b32 v5, v3
; %bb.7:                                ;   in Loop: Header=BB139_3 Depth=1
	s_or_b32 exec_lo, exec_lo, s0
	s_mov_b32 s26, -1
	s_mov_b32 s0, exec_lo
	s_delay_alu instid0(VALU_DEP_1)
	v_cmpx_gt_i64_e64 s[2:3], v[5:6]
	s_cbranch_execz .LBB139_2
; %bb.8:                                ;   in Loop: Header=BB139_3 Depth=1
	v_mul_lo_u32 v0, v5, s1
	v_mul_lo_u32 v1, v5, s30
	v_lshlrev_b64 v[5:6], 1, v[5:6]
	s_mov_b32 s26, exec_lo
	s_delay_alu instid0(VALU_DEP_1) | instskip(NEXT) | instid1(VALU_DEP_4)
	v_add_co_u32 v5, vcc_lo, s4, v5
	v_sub_nc_u32_e32 v0, v7, v0
	s_delay_alu instid0(VALU_DEP_3) | instskip(NEXT) | instid1(VALU_DEP_2)
	v_add_co_ci_u32_e32 v6, vcc_lo, s5, v6, vcc_lo
	v_lshlrev_b32_e32 v9, 3, v0
	s_delay_alu instid0(VALU_DEP_1) | instskip(SKIP_3) | instid1(VALU_DEP_1)
	v_add_lshl_u32 v0, v1, v9, 1
	v_mul_lo_u32 v10, v9, s2
	buffer_load_b128 v[0:3], v0, s[8:11], 0 offen
	v_ashrrev_i32_e32 v11, 31, v10
	v_lshlrev_b64 v[10:11], 1, v[10:11]
	s_delay_alu instid0(VALU_DEP_1) | instskip(NEXT) | instid1(VALU_DEP_2)
	v_add_co_u32 v5, vcc_lo, v5, v10
	v_add_co_ci_u32_e32 v6, vcc_lo, v6, v11, vcc_lo
	v_cmpx_gt_i32_e64 s30, v9
	s_cbranch_execz .LBB139_10
; %bb.9:                                ;   in Loop: Header=BB139_3 Depth=1
	s_waitcnt vmcnt(0)
	global_store_b16 v[5:6], v0, off
.LBB139_10:                             ;   in Loop: Header=BB139_3 Depth=1
	s_or_b32 exec_lo, exec_lo, s26
	v_or_b32_e32 v10, 1, v9
	s_mov_b32 s26, exec_lo
	s_delay_alu instid0(VALU_DEP_1)
	v_cmpx_gt_i32_e64 s30, v10
	s_cbranch_execz .LBB139_12
; %bb.11:                               ;   in Loop: Header=BB139_3 Depth=1
	v_add_co_u32 v10, vcc_lo, v5, s24
	v_add_co_ci_u32_e32 v11, vcc_lo, s25, v6, vcc_lo
	s_waitcnt vmcnt(0)
	global_store_d16_hi_b16 v[10:11], v0, off
.LBB139_12:                             ;   in Loop: Header=BB139_3 Depth=1
	s_or_b32 exec_lo, exec_lo, s26
	s_waitcnt vmcnt(0)
	v_or_b32_e32 v0, 2, v9
	s_mov_b32 s26, exec_lo
	s_delay_alu instid0(VALU_DEP_1)
	v_cmpx_gt_i32_e64 s30, v0
	s_cbranch_execz .LBB139_14
; %bb.13:                               ;   in Loop: Header=BB139_3 Depth=1
	v_add_co_u32 v10, vcc_lo, v5, s12
	v_add_co_ci_u32_e32 v11, vcc_lo, s13, v6, vcc_lo
	global_store_b16 v[10:11], v1, off
.LBB139_14:                             ;   in Loop: Header=BB139_3 Depth=1
	s_or_b32 exec_lo, exec_lo, s26
	v_or_b32_e32 v0, 3, v9
	s_mov_b32 s26, exec_lo
	s_delay_alu instid0(VALU_DEP_1)
	v_cmpx_gt_i32_e64 s30, v0
	s_cbranch_execz .LBB139_16
; %bb.15:                               ;   in Loop: Header=BB139_3 Depth=1
	v_add_co_u32 v10, vcc_lo, v5, s14
	v_add_co_ci_u32_e32 v11, vcc_lo, s15, v6, vcc_lo
	global_store_d16_hi_b16 v[10:11], v1, off
.LBB139_16:                             ;   in Loop: Header=BB139_3 Depth=1
	s_or_b32 exec_lo, exec_lo, s26
	v_or_b32_e32 v0, 4, v9
	s_mov_b32 s26, exec_lo
	s_delay_alu instid0(VALU_DEP_1)
	v_cmpx_gt_i32_e64 s30, v0
	s_cbranch_execz .LBB139_18
; %bb.17:                               ;   in Loop: Header=BB139_3 Depth=1
	v_add_co_u32 v0, vcc_lo, v5, s16
	v_add_co_ci_u32_e32 v1, vcc_lo, s17, v6, vcc_lo
	global_store_b16 v[0:1], v2, off
.LBB139_18:                             ;   in Loop: Header=BB139_3 Depth=1
	s_or_b32 exec_lo, exec_lo, s26
	v_or_b32_e32 v0, 5, v9
	s_mov_b32 s26, exec_lo
	s_delay_alu instid0(VALU_DEP_1)
	v_cmpx_gt_i32_e64 s30, v0
	s_cbranch_execz .LBB139_20
; %bb.19:                               ;   in Loop: Header=BB139_3 Depth=1
	v_add_co_u32 v0, vcc_lo, v5, s18
	v_add_co_ci_u32_e32 v1, vcc_lo, s19, v6, vcc_lo
	global_store_d16_hi_b16 v[0:1], v2, off
.LBB139_20:                             ;   in Loop: Header=BB139_3 Depth=1
	s_or_b32 exec_lo, exec_lo, s26
	v_or_b32_e32 v0, 6, v9
	s_mov_b32 s26, exec_lo
	s_delay_alu instid0(VALU_DEP_1)
	v_cmpx_gt_i32_e64 s30, v0
	s_cbranch_execz .LBB139_22
; %bb.21:                               ;   in Loop: Header=BB139_3 Depth=1
	v_add_co_u32 v0, vcc_lo, v5, s20
	v_add_co_ci_u32_e32 v1, vcc_lo, s21, v6, vcc_lo
	global_store_b16 v[0:1], v3, off
.LBB139_22:                             ;   in Loop: Header=BB139_3 Depth=1
	s_or_b32 exec_lo, exec_lo, s26
	v_or_b32_e32 v0, 7, v9
	s_mov_b32 s26, exec_lo
	s_delay_alu instid0(VALU_DEP_1)
	v_cmpx_gt_i32_e64 s30, v0
	s_cbranch_execz .LBB139_1
; %bb.23:                               ;   in Loop: Header=BB139_3 Depth=1
	v_add_co_u32 v0, vcc_lo, v5, s22
	v_add_co_ci_u32_e32 v1, vcc_lo, s23, v6, vcc_lo
	global_store_d16_hi_b16 v[0:1], v3, off
	s_branch .LBB139_1
.LBB139_24:
	s_nop 0
	s_sendmsg sendmsg(MSG_DEALLOC_VGPRS)
	s_endpgm
	.section	.rodata,"a",@progbits
	.p2align	6, 0x0
	.amdhsa_kernel _ZN5aiter24partial_transpose_kernelItLi256ELi8ELi10000EEEvPT_S2_PKii
		.amdhsa_group_segment_fixed_size 0
		.amdhsa_private_segment_fixed_size 0
		.amdhsa_kernarg_size 288
		.amdhsa_user_sgpr_count 15
		.amdhsa_user_sgpr_dispatch_ptr 0
		.amdhsa_user_sgpr_queue_ptr 0
		.amdhsa_user_sgpr_kernarg_segment_ptr 1
		.amdhsa_user_sgpr_dispatch_id 0
		.amdhsa_user_sgpr_private_segment_size 0
		.amdhsa_wavefront_size32 1
		.amdhsa_uses_dynamic_stack 0
		.amdhsa_enable_private_segment 0
		.amdhsa_system_sgpr_workgroup_id_x 1
		.amdhsa_system_sgpr_workgroup_id_y 0
		.amdhsa_system_sgpr_workgroup_id_z 0
		.amdhsa_system_sgpr_workgroup_info 0
		.amdhsa_system_vgpr_workitem_id 0
		.amdhsa_next_free_vgpr 13
		.amdhsa_next_free_sgpr 38
		.amdhsa_reserve_vcc 1
		.amdhsa_float_round_mode_32 0
		.amdhsa_float_round_mode_16_64 0
		.amdhsa_float_denorm_mode_32 3
		.amdhsa_float_denorm_mode_16_64 3
		.amdhsa_dx10_clamp 1
		.amdhsa_ieee_mode 1
		.amdhsa_fp16_overflow 0
		.amdhsa_workgroup_processor_mode 1
		.amdhsa_memory_ordered 1
		.amdhsa_forward_progress 0
		.amdhsa_shared_vgpr_count 0
		.amdhsa_exception_fp_ieee_invalid_op 0
		.amdhsa_exception_fp_denorm_src 0
		.amdhsa_exception_fp_ieee_div_zero 0
		.amdhsa_exception_fp_ieee_overflow 0
		.amdhsa_exception_fp_ieee_underflow 0
		.amdhsa_exception_fp_ieee_inexact 0
		.amdhsa_exception_int_div_zero 0
	.end_amdhsa_kernel
	.section	.text._ZN5aiter24partial_transpose_kernelItLi256ELi8ELi10000EEEvPT_S2_PKii,"axG",@progbits,_ZN5aiter24partial_transpose_kernelItLi256ELi8ELi10000EEEvPT_S2_PKii,comdat
.Lfunc_end139:
	.size	_ZN5aiter24partial_transpose_kernelItLi256ELi8ELi10000EEEvPT_S2_PKii, .Lfunc_end139-_ZN5aiter24partial_transpose_kernelItLi256ELi8ELi10000EEEvPT_S2_PKii
                                        ; -- End function
	.section	.AMDGPU.csdata,"",@progbits
; Kernel info:
; codeLenInByte = 1768
; NumSgprs: 40
; NumVgprs: 13
; ScratchSize: 0
; MemoryBound: 0
; FloatMode: 240
; IeeeMode: 1
; LDSByteSize: 0 bytes/workgroup (compile time only)
; SGPRBlocks: 4
; VGPRBlocks: 1
; NumSGPRsForWavesPerEU: 40
; NumVGPRsForWavesPerEU: 13
; Occupancy: 16
; WaveLimiterHint : 1
; COMPUTE_PGM_RSRC2:SCRATCH_EN: 0
; COMPUTE_PGM_RSRC2:USER_SGPR: 15
; COMPUTE_PGM_RSRC2:TRAP_HANDLER: 0
; COMPUTE_PGM_RSRC2:TGID_X_EN: 1
; COMPUTE_PGM_RSRC2:TGID_Y_EN: 0
; COMPUTE_PGM_RSRC2:TGID_Z_EN: 0
; COMPUTE_PGM_RSRC2:TIDIG_COMP_CNT: 0
	.section	.text._ZN5aiter24partial_transpose_kernelIfLi256ELi16ELi10000EEEvPT_S2_PKii,"axG",@progbits,_ZN5aiter24partial_transpose_kernelIfLi256ELi16ELi10000EEEvPT_S2_PKii,comdat
	.protected	_ZN5aiter24partial_transpose_kernelIfLi256ELi16ELi10000EEEvPT_S2_PKii ; -- Begin function _ZN5aiter24partial_transpose_kernelIfLi256ELi16ELi10000EEEvPT_S2_PKii
	.globl	_ZN5aiter24partial_transpose_kernelIfLi256ELi16ELi10000EEEvPT_S2_PKii
	.p2align	8
	.type	_ZN5aiter24partial_transpose_kernelIfLi256ELi16ELi10000EEEvPT_S2_PKii,@function
_ZN5aiter24partial_transpose_kernelIfLi256ELi16ELi10000EEEvPT_S2_PKii: ; @_ZN5aiter24partial_transpose_kernelIfLi256ELi16ELi10000EEEvPT_S2_PKii
; %bb.0:
	s_clause 0x2
	s_load_b64 s[2:3], s[0:1], 0x10
	s_load_b32 s33, s[0:1], 0x18
	s_load_b128 s[4:7], s[0:1], 0x0
	v_lshl_add_u32 v19, s15, 8, v0
	v_mov_b32_e32 v16, 0
	s_mov_b32 s11, -1
	s_movk_i32 s48, 0x2710
	s_waitcnt lgkmcnt(0)
	s_load_b32 s2, s[2:3], 0x0
	s_load_b32 s0, s[0:1], 0x20
	s_add_i32 s1, s33, 15
	s_and_b32 s7, s7, 0xffff
	s_ashr_i32 s3, s1, 31
	s_mov_b64 s[8:9], s[6:7]
	s_lshr_b32 s3, s3, 28
	s_delay_alu instid0(SALU_CYCLE_1) | instskip(NEXT) | instid1(SALU_CYCLE_1)
	s_add_i32 s1, s1, s3
	s_ashr_i32 s1, s1, 4
	s_delay_alu instid0(SALU_CYCLE_1) | instskip(SKIP_1) | instid1(SALU_CYCLE_1)
	v_cvt_f32_u32_e32 v0, s1
	s_ashr_i32 s46, s1, 31
	s_mov_b32 s7, s46
	s_delay_alu instid0(VALU_DEP_1)
	v_rcp_iflag_f32_e32 v0, v0
	s_waitcnt lgkmcnt(0)
	s_mul_i32 s6, s33, s2
	s_lshl_b32 s12, s2, 1
	s_mul_i32 s16, s2, 3
	s_lshl_b32 s18, s2, 2
	s_mul_i32 s20, s2, 5
	s_mul_i32 s22, s2, 6
	;; [unrolled: 1-line block ×3, first 2 shown]
	s_waitcnt_depctr 0xfff
	v_mul_f32_e32 v0, 0x4f7ffffe, v0
	s_lshl_b32 s26, s2, 3
	s_mul_i32 s28, s2, 9
	s_mul_i32 s30, s2, 10
	;; [unrolled: 1-line block ×7, first 2 shown]
	v_cvt_u32_f32_e32 v20, v0
	s_lshl_b32 s10, s6, 2
	s_ashr_i32 s13, s12, 31
	s_ashr_i32 s17, s16, 31
	;; [unrolled: 1-line block ×14, first 2 shown]
	s_mov_b32 s6, 0
	s_ashr_i32 s3, s2, 31
	s_lshl_b32 s47, s0, 8
	s_lshl_b64 s[12:13], s[12:13], 2
	s_lshl_b64 s[14:15], s[16:17], 2
	;; [unrolled: 1-line block ×14, first 2 shown]
	s_mov_b32 s49, s6
	s_branch .LBB140_3
.LBB140_1:                              ;   in Loop: Header=BB140_3 Depth=1
	s_or_b32 exec_lo, exec_lo, s42
	s_add_i32 s48, s48, -1
	v_add_nc_u32_e32 v19, s47, v19
	s_cmp_eq_u32 s48, 0
	s_cselect_b32 s42, -1, 0
	s_delay_alu instid0(SALU_CYCLE_1)
	s_or_not1_b32 s42, s42, exec_lo
.LBB140_2:                              ;   in Loop: Header=BB140_3 Depth=1
	s_or_b32 exec_lo, exec_lo, s0
	s_delay_alu instid0(SALU_CYCLE_1) | instskip(NEXT) | instid1(SALU_CYCLE_1)
	s_and_b32 s0, exec_lo, s42
	s_or_b32 s49, s0, s49
	s_delay_alu instid0(SALU_CYCLE_1)
	s_and_not1_b32 exec_lo, exec_lo, s49
	s_cbranch_execz .LBB140_40
.LBB140_3:                              ; =>This Inner Loop Header: Depth=1
	s_cmp_lg_u64 s[6:7], 0
                                        ; implicit-def: $vgpr17_vgpr18
	s_cselect_b32 s0, -1, 0
	s_delay_alu instid0(SALU_CYCLE_1) | instskip(NEXT) | instid1(SALU_CYCLE_1)
	s_and_saveexec_b32 s42, s0
	s_xor_b32 s50, exec_lo, s42
	s_cbranch_execz .LBB140_5
; %bb.4:                                ;   in Loop: Header=BB140_3 Depth=1
	s_add_u32 s44, s1, s46
	s_mov_b32 s42, s46
	s_mov_b32 s43, s46
	s_addc_u32 s45, s46, s46
	s_delay_alu instid0(SALU_CYCLE_1) | instskip(NEXT) | instid1(SALU_CYCLE_1)
	s_xor_b64 s[44:45], s[44:45], s[42:43]
	v_cvt_f32_u32_e32 v0, s44
	v_cvt_f32_u32_e32 v1, s45
	s_sub_u32 s0, 0, s44
	s_subb_u32 s51, 0, s45
	s_delay_alu instid0(VALU_DEP_1) | instskip(NEXT) | instid1(VALU_DEP_1)
	v_fmac_f32_e32 v0, 0x4f800000, v1
	v_rcp_f32_e32 v0, v0
	s_waitcnt_depctr 0xfff
	v_mul_f32_e32 v0, 0x5f7ffffc, v0
	s_delay_alu instid0(VALU_DEP_1) | instskip(NEXT) | instid1(VALU_DEP_1)
	v_mul_f32_e32 v1, 0x2f800000, v0
	v_trunc_f32_e32 v1, v1
	s_delay_alu instid0(VALU_DEP_1) | instskip(SKIP_1) | instid1(VALU_DEP_2)
	v_fmac_f32_e32 v0, 0xcf800000, v1
	v_cvt_u32_f32_e32 v1, v1
	v_cvt_u32_f32_e32 v0, v0
	s_delay_alu instid0(VALU_DEP_2) | instskip(NEXT) | instid1(VALU_DEP_2)
	v_mul_lo_u32 v2, s0, v1
	v_mul_hi_u32 v3, s0, v0
	v_mul_lo_u32 v4, s51, v0
	s_delay_alu instid0(VALU_DEP_2) | instskip(SKIP_1) | instid1(VALU_DEP_2)
	v_add_nc_u32_e32 v2, v3, v2
	v_mul_lo_u32 v3, s0, v0
	v_add_nc_u32_e32 v2, v2, v4
	s_delay_alu instid0(VALU_DEP_2) | instskip(NEXT) | instid1(VALU_DEP_2)
	v_mul_hi_u32 v4, v0, v3
	v_mul_lo_u32 v5, v0, v2
	v_mul_hi_u32 v6, v0, v2
	v_mul_hi_u32 v7, v1, v3
	v_mul_lo_u32 v3, v1, v3
	v_mul_hi_u32 v8, v1, v2
	v_mul_lo_u32 v2, v1, v2
	v_add_co_u32 v4, vcc_lo, v4, v5
	v_add_co_ci_u32_e32 v5, vcc_lo, 0, v6, vcc_lo
	s_delay_alu instid0(VALU_DEP_2) | instskip(NEXT) | instid1(VALU_DEP_2)
	v_add_co_u32 v3, vcc_lo, v4, v3
	v_add_co_ci_u32_e32 v3, vcc_lo, v5, v7, vcc_lo
	v_add_co_ci_u32_e32 v4, vcc_lo, 0, v8, vcc_lo
	s_delay_alu instid0(VALU_DEP_2) | instskip(NEXT) | instid1(VALU_DEP_2)
	v_add_co_u32 v2, vcc_lo, v3, v2
	v_add_co_ci_u32_e32 v3, vcc_lo, 0, v4, vcc_lo
	s_delay_alu instid0(VALU_DEP_2) | instskip(NEXT) | instid1(VALU_DEP_2)
	v_add_co_u32 v0, vcc_lo, v0, v2
	v_add_co_ci_u32_e32 v1, vcc_lo, v1, v3, vcc_lo
	s_delay_alu instid0(VALU_DEP_2) | instskip(SKIP_1) | instid1(VALU_DEP_3)
	v_mul_hi_u32 v2, s0, v0
	v_mul_lo_u32 v4, s51, v0
	v_mul_lo_u32 v3, s0, v1
	s_delay_alu instid0(VALU_DEP_1) | instskip(SKIP_1) | instid1(VALU_DEP_2)
	v_add_nc_u32_e32 v2, v2, v3
	v_mul_lo_u32 v3, s0, v0
	v_add_nc_u32_e32 v2, v2, v4
	s_delay_alu instid0(VALU_DEP_2) | instskip(NEXT) | instid1(VALU_DEP_2)
	v_mul_hi_u32 v4, v0, v3
	v_mul_lo_u32 v5, v0, v2
	v_mul_hi_u32 v6, v0, v2
	v_mul_hi_u32 v7, v1, v3
	v_mul_lo_u32 v3, v1, v3
	v_mul_hi_u32 v8, v1, v2
	v_mul_lo_u32 v2, v1, v2
	v_add_co_u32 v4, vcc_lo, v4, v5
	v_add_co_ci_u32_e32 v5, vcc_lo, 0, v6, vcc_lo
	s_delay_alu instid0(VALU_DEP_2) | instskip(NEXT) | instid1(VALU_DEP_2)
	v_add_co_u32 v3, vcc_lo, v4, v3
	v_add_co_ci_u32_e32 v3, vcc_lo, v5, v7, vcc_lo
	v_add_co_ci_u32_e32 v4, vcc_lo, 0, v8, vcc_lo
	s_delay_alu instid0(VALU_DEP_2) | instskip(NEXT) | instid1(VALU_DEP_2)
	v_add_co_u32 v2, vcc_lo, v3, v2
	v_add_co_ci_u32_e32 v3, vcc_lo, 0, v4, vcc_lo
	s_delay_alu instid0(VALU_DEP_2) | instskip(NEXT) | instid1(VALU_DEP_2)
	v_add_co_u32 v4, vcc_lo, v0, v2
	v_add_co_ci_u32_e32 v6, vcc_lo, v1, v3, vcc_lo
	s_delay_alu instid0(VALU_DEP_2) | instskip(SKIP_1) | instid1(VALU_DEP_3)
	v_mul_hi_u32 v7, v19, v4
	v_mad_u64_u32 v[2:3], null, 0, v4, 0
	v_mad_u64_u32 v[0:1], null, v19, v6, 0
	;; [unrolled: 1-line block ×3, first 2 shown]
	s_delay_alu instid0(VALU_DEP_2) | instskip(NEXT) | instid1(VALU_DEP_3)
	v_add_co_u32 v0, vcc_lo, v7, v0
	v_add_co_ci_u32_e32 v1, vcc_lo, 0, v1, vcc_lo
	s_delay_alu instid0(VALU_DEP_2) | instskip(NEXT) | instid1(VALU_DEP_2)
	v_add_co_u32 v0, vcc_lo, v0, v2
	v_add_co_ci_u32_e32 v0, vcc_lo, v1, v3, vcc_lo
	v_add_co_ci_u32_e32 v1, vcc_lo, 0, v5, vcc_lo
	s_delay_alu instid0(VALU_DEP_2) | instskip(NEXT) | instid1(VALU_DEP_2)
	v_add_co_u32 v2, vcc_lo, v0, v4
	v_add_co_ci_u32_e32 v3, vcc_lo, 0, v1, vcc_lo
	s_delay_alu instid0(VALU_DEP_2) | instskip(SKIP_1) | instid1(VALU_DEP_3)
	v_mul_lo_u32 v4, s45, v2
	v_mad_u64_u32 v[0:1], null, s44, v2, 0
	v_mul_lo_u32 v5, s44, v3
	s_delay_alu instid0(VALU_DEP_2) | instskip(NEXT) | instid1(VALU_DEP_2)
	v_sub_co_u32 v0, vcc_lo, v19, v0
	v_add3_u32 v1, v1, v5, v4
	s_delay_alu instid0(VALU_DEP_1) | instskip(NEXT) | instid1(VALU_DEP_1)
	v_sub_nc_u32_e32 v4, 0, v1
	v_subrev_co_ci_u32_e64 v4, s0, s45, v4, vcc_lo
	v_add_co_u32 v5, s0, v2, 2
	s_delay_alu instid0(VALU_DEP_1) | instskip(SKIP_3) | instid1(VALU_DEP_3)
	v_add_co_ci_u32_e64 v6, s0, 0, v3, s0
	v_sub_co_u32 v7, s0, v0, s44
	v_sub_co_ci_u32_e32 v1, vcc_lo, 0, v1, vcc_lo
	v_subrev_co_ci_u32_e64 v4, s0, 0, v4, s0
	v_cmp_le_u32_e32 vcc_lo, s44, v7
	s_delay_alu instid0(VALU_DEP_3) | instskip(SKIP_1) | instid1(VALU_DEP_4)
	v_cmp_eq_u32_e64 s0, s45, v1
	v_cndmask_b32_e64 v7, 0, -1, vcc_lo
	v_cmp_le_u32_e32 vcc_lo, s45, v4
	v_cndmask_b32_e64 v8, 0, -1, vcc_lo
	v_cmp_le_u32_e32 vcc_lo, s44, v0
	;; [unrolled: 2-line block ×3, first 2 shown]
	v_cndmask_b32_e64 v9, 0, -1, vcc_lo
	v_cmp_eq_u32_e32 vcc_lo, s45, v4
	s_delay_alu instid0(VALU_DEP_2) | instskip(SKIP_3) | instid1(VALU_DEP_3)
	v_cndmask_b32_e64 v0, v9, v0, s0
	v_cndmask_b32_e32 v4, v8, v7, vcc_lo
	v_add_co_u32 v7, vcc_lo, v2, 1
	v_add_co_ci_u32_e32 v8, vcc_lo, 0, v3, vcc_lo
	v_cmp_ne_u32_e32 vcc_lo, 0, v4
	s_delay_alu instid0(VALU_DEP_2) | instskip(SKIP_1) | instid1(VALU_DEP_2)
	v_dual_cndmask_b32 v1, v8, v6 :: v_dual_cndmask_b32 v4, v7, v5
	v_cmp_ne_u32_e32 vcc_lo, 0, v0
	v_dual_cndmask_b32 v0, v3, v1 :: v_dual_cndmask_b32 v1, v2, v4
	s_delay_alu instid0(VALU_DEP_1) | instskip(NEXT) | instid1(VALU_DEP_2)
	v_xor_b32_e32 v0, s43, v0
	v_xor_b32_e32 v1, s42, v1
	s_delay_alu instid0(VALU_DEP_1) | instskip(NEXT) | instid1(VALU_DEP_3)
	v_sub_co_u32 v17, vcc_lo, v1, s42
	v_subrev_co_ci_u32_e32 v18, vcc_lo, s43, v0, vcc_lo
.LBB140_5:                              ;   in Loop: Header=BB140_3 Depth=1
	s_and_not1_saveexec_b32 s0, s50
	s_cbranch_execz .LBB140_7
; %bb.6:                                ;   in Loop: Header=BB140_3 Depth=1
	s_sub_i32 s42, 0, s1
	s_delay_alu instid0(SALU_CYCLE_1) | instskip(NEXT) | instid1(VALU_DEP_1)
	v_mul_lo_u32 v0, s42, v20
	v_mul_hi_u32 v0, v20, v0
	s_delay_alu instid0(VALU_DEP_1) | instskip(NEXT) | instid1(VALU_DEP_1)
	v_add_nc_u32_e32 v0, v20, v0
	v_mul_hi_u32 v0, v19, v0
	s_delay_alu instid0(VALU_DEP_1) | instskip(SKIP_1) | instid1(VALU_DEP_2)
	v_mul_lo_u32 v1, v0, s1
	v_add_nc_u32_e32 v2, 1, v0
	v_sub_nc_u32_e32 v1, v19, v1
	s_delay_alu instid0(VALU_DEP_1) | instskip(SKIP_1) | instid1(VALU_DEP_2)
	v_subrev_nc_u32_e32 v3, s1, v1
	v_cmp_le_u32_e32 vcc_lo, s1, v1
	v_dual_cndmask_b32 v1, v1, v3 :: v_dual_cndmask_b32 v0, v0, v2
	s_delay_alu instid0(VALU_DEP_1) | instskip(NEXT) | instid1(VALU_DEP_2)
	v_cmp_le_u32_e32 vcc_lo, s1, v1
	v_add_nc_u32_e32 v2, 1, v0
	s_delay_alu instid0(VALU_DEP_1) | instskip(NEXT) | instid1(VALU_DEP_1)
	v_cndmask_b32_e32 v15, v0, v2, vcc_lo
	v_dual_mov_b32 v18, v16 :: v_dual_mov_b32 v17, v15
.LBB140_7:                              ;   in Loop: Header=BB140_3 Depth=1
	s_or_b32 exec_lo, exec_lo, s0
	s_mov_b32 s42, -1
	s_mov_b32 s0, exec_lo
	s_delay_alu instid0(VALU_DEP_1)
	v_cmpx_gt_i64_e64 s[2:3], v[17:18]
	s_cbranch_execz .LBB140_2
; %bb.8:                                ;   in Loop: Header=BB140_3 Depth=1
	v_mul_lo_u32 v0, v17, s1
	v_mul_lo_u32 v1, v17, s33
	v_lshlrev_b64 v[17:18], 2, v[17:18]
	s_mov_b32 s42, exec_lo
	s_delay_alu instid0(VALU_DEP_1) | instskip(NEXT) | instid1(VALU_DEP_4)
	v_add_co_u32 v17, vcc_lo, s4, v17
	v_sub_nc_u32_e32 v0, v19, v0
	s_delay_alu instid0(VALU_DEP_3) | instskip(NEXT) | instid1(VALU_DEP_2)
	v_add_co_ci_u32_e32 v18, vcc_lo, s5, v18, vcc_lo
	v_lshlrev_b32_e32 v21, 4, v0
	s_delay_alu instid0(VALU_DEP_1)
	v_add_lshl_u32 v0, v1, v21, 2
	v_mul_lo_u32 v22, v21, s2
	s_clause 0x3
	buffer_load_b128 v[12:15], v0, s[8:11], 0 offen
	buffer_load_b128 v[8:11], v0, s[8:11], 16 offen
	;; [unrolled: 1-line block ×4, first 2 shown]
	v_ashrrev_i32_e32 v23, 31, v22
	s_delay_alu instid0(VALU_DEP_1) | instskip(NEXT) | instid1(VALU_DEP_1)
	v_lshlrev_b64 v[22:23], 2, v[22:23]
	v_add_co_u32 v17, vcc_lo, v17, v22
	s_delay_alu instid0(VALU_DEP_2)
	v_add_co_ci_u32_e32 v18, vcc_lo, v18, v23, vcc_lo
	v_cmpx_gt_i32_e64 s33, v21
	s_cbranch_execz .LBB140_10
; %bb.9:                                ;   in Loop: Header=BB140_3 Depth=1
	s_waitcnt vmcnt(3)
	global_store_b32 v[17:18], v12, off
.LBB140_10:                             ;   in Loop: Header=BB140_3 Depth=1
	s_or_b32 exec_lo, exec_lo, s42
	s_waitcnt vmcnt(3)
	v_or_b32_e32 v12, 1, v21
	s_mov_b32 s42, exec_lo
	s_delay_alu instid0(VALU_DEP_1)
	v_cmpx_gt_i32_e64 s33, v12
	s_cbranch_execz .LBB140_12
; %bb.11:                               ;   in Loop: Header=BB140_3 Depth=1
	s_lshl_b64 s[44:45], s[2:3], 2
	s_delay_alu instid0(SALU_CYCLE_1)
	v_add_co_u32 v22, vcc_lo, v17, s44
	v_add_co_ci_u32_e32 v23, vcc_lo, s45, v18, vcc_lo
	global_store_b32 v[22:23], v13, off
.LBB140_12:                             ;   in Loop: Header=BB140_3 Depth=1
	s_or_b32 exec_lo, exec_lo, s42
	v_or_b32_e32 v12, 2, v21
	s_mov_b32 s42, exec_lo
	s_delay_alu instid0(VALU_DEP_1)
	v_cmpx_gt_i32_e64 s33, v12
	s_cbranch_execz .LBB140_14
; %bb.13:                               ;   in Loop: Header=BB140_3 Depth=1
	v_add_co_u32 v12, vcc_lo, v17, s12
	v_add_co_ci_u32_e32 v13, vcc_lo, s13, v18, vcc_lo
	global_store_b32 v[12:13], v14, off
.LBB140_14:                             ;   in Loop: Header=BB140_3 Depth=1
	s_or_b32 exec_lo, exec_lo, s42
	v_or_b32_e32 v12, 3, v21
	s_mov_b32 s42, exec_lo
	s_delay_alu instid0(VALU_DEP_1)
	v_cmpx_gt_i32_e64 s33, v12
	s_cbranch_execz .LBB140_16
; %bb.15:                               ;   in Loop: Header=BB140_3 Depth=1
	v_add_co_u32 v12, vcc_lo, v17, s14
	v_add_co_ci_u32_e32 v13, vcc_lo, s15, v18, vcc_lo
	global_store_b32 v[12:13], v15, off
.LBB140_16:                             ;   in Loop: Header=BB140_3 Depth=1
	s_or_b32 exec_lo, exec_lo, s42
	v_or_b32_e32 v12, 4, v21
	s_mov_b32 s42, exec_lo
	s_delay_alu instid0(VALU_DEP_1)
	v_cmpx_gt_i32_e64 s33, v12
	s_cbranch_execz .LBB140_18
; %bb.17:                               ;   in Loop: Header=BB140_3 Depth=1
	v_add_co_u32 v12, vcc_lo, v17, s16
	v_add_co_ci_u32_e32 v13, vcc_lo, s17, v18, vcc_lo
	s_waitcnt vmcnt(2)
	global_store_b32 v[12:13], v8, off
.LBB140_18:                             ;   in Loop: Header=BB140_3 Depth=1
	s_or_b32 exec_lo, exec_lo, s42
	s_waitcnt vmcnt(2)
	v_or_b32_e32 v8, 5, v21
	s_mov_b32 s42, exec_lo
	s_delay_alu instid0(VALU_DEP_1)
	v_cmpx_gt_i32_e64 s33, v8
	s_cbranch_execz .LBB140_20
; %bb.19:                               ;   in Loop: Header=BB140_3 Depth=1
	v_add_co_u32 v12, vcc_lo, v17, s18
	v_add_co_ci_u32_e32 v13, vcc_lo, s19, v18, vcc_lo
	global_store_b32 v[12:13], v9, off
.LBB140_20:                             ;   in Loop: Header=BB140_3 Depth=1
	s_or_b32 exec_lo, exec_lo, s42
	v_or_b32_e32 v8, 6, v21
	s_mov_b32 s42, exec_lo
	s_delay_alu instid0(VALU_DEP_1)
	v_cmpx_gt_i32_e64 s33, v8
	s_cbranch_execz .LBB140_22
; %bb.21:                               ;   in Loop: Header=BB140_3 Depth=1
	v_add_co_u32 v8, vcc_lo, v17, s20
	v_add_co_ci_u32_e32 v9, vcc_lo, s21, v18, vcc_lo
	global_store_b32 v[8:9], v10, off
.LBB140_22:                             ;   in Loop: Header=BB140_3 Depth=1
	s_or_b32 exec_lo, exec_lo, s42
	v_or_b32_e32 v8, 7, v21
	s_mov_b32 s42, exec_lo
	s_delay_alu instid0(VALU_DEP_1)
	v_cmpx_gt_i32_e64 s33, v8
	s_cbranch_execz .LBB140_24
; %bb.23:                               ;   in Loop: Header=BB140_3 Depth=1
	v_add_co_u32 v8, vcc_lo, v17, s22
	v_add_co_ci_u32_e32 v9, vcc_lo, s23, v18, vcc_lo
	global_store_b32 v[8:9], v11, off
.LBB140_24:                             ;   in Loop: Header=BB140_3 Depth=1
	s_or_b32 exec_lo, exec_lo, s42
	v_or_b32_e32 v8, 8, v21
	s_mov_b32 s42, exec_lo
	s_delay_alu instid0(VALU_DEP_1)
	v_cmpx_gt_i32_e64 s33, v8
	s_cbranch_execz .LBB140_26
; %bb.25:                               ;   in Loop: Header=BB140_3 Depth=1
	v_add_co_u32 v8, vcc_lo, v17, s24
	v_add_co_ci_u32_e32 v9, vcc_lo, s25, v18, vcc_lo
	s_waitcnt vmcnt(1)
	global_store_b32 v[8:9], v4, off
.LBB140_26:                             ;   in Loop: Header=BB140_3 Depth=1
	s_or_b32 exec_lo, exec_lo, s42
	s_waitcnt vmcnt(1)
	v_or_b32_e32 v4, 9, v21
	s_mov_b32 s42, exec_lo
	s_delay_alu instid0(VALU_DEP_1)
	v_cmpx_gt_i32_e64 s33, v4
	s_cbranch_execz .LBB140_28
; %bb.27:                               ;   in Loop: Header=BB140_3 Depth=1
	v_add_co_u32 v8, vcc_lo, v17, s26
	v_add_co_ci_u32_e32 v9, vcc_lo, s27, v18, vcc_lo
	global_store_b32 v[8:9], v5, off
.LBB140_28:                             ;   in Loop: Header=BB140_3 Depth=1
	;; [unrolled: 46-line block ×3, first 2 shown]
	s_or_b32 exec_lo, exec_lo, s42
	v_or_b32_e32 v0, 14, v21
	s_mov_b32 s42, exec_lo
	s_delay_alu instid0(VALU_DEP_1)
	v_cmpx_gt_i32_e64 s33, v0
	s_cbranch_execz .LBB140_38
; %bb.37:                               ;   in Loop: Header=BB140_3 Depth=1
	v_add_co_u32 v0, vcc_lo, v17, s38
	v_add_co_ci_u32_e32 v1, vcc_lo, s39, v18, vcc_lo
	global_store_b32 v[0:1], v2, off
.LBB140_38:                             ;   in Loop: Header=BB140_3 Depth=1
	s_or_b32 exec_lo, exec_lo, s42
	v_or_b32_e32 v0, 15, v21
	s_mov_b32 s42, exec_lo
	s_delay_alu instid0(VALU_DEP_1)
	v_cmpx_gt_i32_e64 s33, v0
	s_cbranch_execz .LBB140_1
; %bb.39:                               ;   in Loop: Header=BB140_3 Depth=1
	v_add_co_u32 v0, vcc_lo, v17, s40
	v_add_co_ci_u32_e32 v1, vcc_lo, s41, v18, vcc_lo
	global_store_b32 v[0:1], v3, off
	s_branch .LBB140_1
.LBB140_40:
	s_nop 0
	s_sendmsg sendmsg(MSG_DEALLOC_VGPRS)
	s_endpgm
	.section	.rodata,"a",@progbits
	.p2align	6, 0x0
	.amdhsa_kernel _ZN5aiter24partial_transpose_kernelIfLi256ELi16ELi10000EEEvPT_S2_PKii
		.amdhsa_group_segment_fixed_size 0
		.amdhsa_private_segment_fixed_size 0
		.amdhsa_kernarg_size 288
		.amdhsa_user_sgpr_count 15
		.amdhsa_user_sgpr_dispatch_ptr 0
		.amdhsa_user_sgpr_queue_ptr 0
		.amdhsa_user_sgpr_kernarg_segment_ptr 1
		.amdhsa_user_sgpr_dispatch_id 0
		.amdhsa_user_sgpr_private_segment_size 0
		.amdhsa_wavefront_size32 1
		.amdhsa_uses_dynamic_stack 0
		.amdhsa_enable_private_segment 0
		.amdhsa_system_sgpr_workgroup_id_x 1
		.amdhsa_system_sgpr_workgroup_id_y 0
		.amdhsa_system_sgpr_workgroup_id_z 0
		.amdhsa_system_sgpr_workgroup_info 0
		.amdhsa_system_vgpr_workitem_id 0
		.amdhsa_next_free_vgpr 24
		.amdhsa_next_free_sgpr 52
		.amdhsa_reserve_vcc 1
		.amdhsa_float_round_mode_32 0
		.amdhsa_float_round_mode_16_64 0
		.amdhsa_float_denorm_mode_32 3
		.amdhsa_float_denorm_mode_16_64 3
		.amdhsa_dx10_clamp 1
		.amdhsa_ieee_mode 1
		.amdhsa_fp16_overflow 0
		.amdhsa_workgroup_processor_mode 1
		.amdhsa_memory_ordered 1
		.amdhsa_forward_progress 0
		.amdhsa_shared_vgpr_count 0
		.amdhsa_exception_fp_ieee_invalid_op 0
		.amdhsa_exception_fp_denorm_src 0
		.amdhsa_exception_fp_ieee_div_zero 0
		.amdhsa_exception_fp_ieee_overflow 0
		.amdhsa_exception_fp_ieee_underflow 0
		.amdhsa_exception_fp_ieee_inexact 0
		.amdhsa_exception_int_div_zero 0
	.end_amdhsa_kernel
	.section	.text._ZN5aiter24partial_transpose_kernelIfLi256ELi16ELi10000EEEvPT_S2_PKii,"axG",@progbits,_ZN5aiter24partial_transpose_kernelIfLi256ELi16ELi10000EEEvPT_S2_PKii,comdat
.Lfunc_end140:
	.size	_ZN5aiter24partial_transpose_kernelIfLi256ELi16ELi10000EEEvPT_S2_PKii, .Lfunc_end140-_ZN5aiter24partial_transpose_kernelIfLi256ELi16ELi10000EEEvPT_S2_PKii
                                        ; -- End function
	.section	.AMDGPU.csdata,"",@progbits
; Kernel info:
; codeLenInByte = 2296
; NumSgprs: 54
; NumVgprs: 24
; ScratchSize: 0
; MemoryBound: 0
; FloatMode: 240
; IeeeMode: 1
; LDSByteSize: 0 bytes/workgroup (compile time only)
; SGPRBlocks: 6
; VGPRBlocks: 2
; NumSGPRsForWavesPerEU: 54
; NumVGPRsForWavesPerEU: 24
; Occupancy: 16
; WaveLimiterHint : 1
; COMPUTE_PGM_RSRC2:SCRATCH_EN: 0
; COMPUTE_PGM_RSRC2:USER_SGPR: 15
; COMPUTE_PGM_RSRC2:TRAP_HANDLER: 0
; COMPUTE_PGM_RSRC2:TGID_X_EN: 1
; COMPUTE_PGM_RSRC2:TGID_Y_EN: 0
; COMPUTE_PGM_RSRC2:TGID_Z_EN: 0
; COMPUTE_PGM_RSRC2:TIDIG_COMP_CNT: 0
	.section	.text._ZN5aiter24partial_transpose_kernelIDF16_Li256ELi16ELi10000EEEvPT_S2_PKii,"axG",@progbits,_ZN5aiter24partial_transpose_kernelIDF16_Li256ELi16ELi10000EEEvPT_S2_PKii,comdat
	.protected	_ZN5aiter24partial_transpose_kernelIDF16_Li256ELi16ELi10000EEEvPT_S2_PKii ; -- Begin function _ZN5aiter24partial_transpose_kernelIDF16_Li256ELi16ELi10000EEEvPT_S2_PKii
	.globl	_ZN5aiter24partial_transpose_kernelIDF16_Li256ELi16ELi10000EEEvPT_S2_PKii
	.p2align	8
	.type	_ZN5aiter24partial_transpose_kernelIDF16_Li256ELi16ELi10000EEEvPT_S2_PKii,@function
_ZN5aiter24partial_transpose_kernelIDF16_Li256ELi16ELi10000EEEvPT_S2_PKii: ; @_ZN5aiter24partial_transpose_kernelIDF16_Li256ELi16ELi10000EEEvPT_S2_PKii
; %bb.0:
	s_clause 0x2
	s_load_b64 s[2:3], s[0:1], 0x10
	s_load_b32 s33, s[0:1], 0x18
	s_load_b128 s[4:7], s[0:1], 0x0
	v_lshl_add_u32 v11, s15, 8, v0
	v_mov_b32_e32 v8, 0
	s_mov_b32 s11, -1
	s_movk_i32 s48, 0x2710
	s_waitcnt lgkmcnt(0)
	s_load_b32 s2, s[2:3], 0x0
	s_load_b32 s0, s[0:1], 0x20
	s_add_i32 s1, s33, 15
	s_and_b32 s7, s7, 0xffff
	s_ashr_i32 s3, s1, 31
	s_mov_b64 s[8:9], s[6:7]
	s_lshr_b32 s3, s3, 28
	s_delay_alu instid0(SALU_CYCLE_1) | instskip(NEXT) | instid1(SALU_CYCLE_1)
	s_add_i32 s1, s1, s3
	s_ashr_i32 s1, s1, 4
	s_delay_alu instid0(SALU_CYCLE_1) | instskip(SKIP_1) | instid1(VALU_DEP_1)
	v_cvt_f32_u32_e32 v0, s1
	s_ashr_i32 s46, s1, 31
	v_rcp_iflag_f32_e32 v0, v0
	s_waitcnt lgkmcnt(0)
	s_mul_i32 s6, s2, s33
	s_lshl_b32 s12, s2, 1
	s_add_i32 s6, s6, 1
	s_mul_i32 s14, s2, 3
	s_lshr_b32 s7, s6, 31
	s_lshl_b32 s16, s2, 2
	s_add_i32 s6, s6, s7
	s_waitcnt_depctr 0xfff
	v_mul_f32_e32 v0, 0x4f7ffffe, v0
	s_mul_i32 s18, s2, 5
	s_mul_i32 s20, s2, 6
	;; [unrolled: 1-line block ×3, first 2 shown]
	s_lshl_b32 s24, s2, 3
	s_mul_i32 s26, s2, 9
	s_mul_i32 s28, s2, 10
	;; [unrolled: 1-line block ×7, first 2 shown]
	s_lshl_b32 s6, s6, 1
	v_cvt_u32_f32_e32 v12, v0
	s_ashr_i32 s13, s12, 31
	s_ashr_i32 s15, s14, 31
	;; [unrolled: 1-line block ×14, first 2 shown]
	s_and_b32 s10, s6, -4
	s_mov_b32 s6, 0
	s_ashr_i32 s3, s2, 31
	s_lshl_b32 s47, s0, 8
	s_mov_b32 s7, s46
	s_lshl_b64 s[12:13], s[12:13], 1
	s_lshl_b64 s[14:15], s[14:15], 1
	;; [unrolled: 1-line block ×14, first 2 shown]
	s_mov_b32 s49, s6
	s_branch .LBB141_3
.LBB141_1:                              ;   in Loop: Header=BB141_3 Depth=1
	s_or_b32 exec_lo, exec_lo, s42
	s_add_i32 s48, s48, -1
	v_add_nc_u32_e32 v11, s47, v11
	s_cmp_eq_u32 s48, 0
	s_cselect_b32 s42, -1, 0
	s_delay_alu instid0(SALU_CYCLE_1)
	s_or_not1_b32 s42, s42, exec_lo
.LBB141_2:                              ;   in Loop: Header=BB141_3 Depth=1
	s_or_b32 exec_lo, exec_lo, s0
	s_delay_alu instid0(SALU_CYCLE_1) | instskip(NEXT) | instid1(SALU_CYCLE_1)
	s_and_b32 s0, exec_lo, s42
	s_or_b32 s49, s0, s49
	s_delay_alu instid0(SALU_CYCLE_1)
	s_and_not1_b32 exec_lo, exec_lo, s49
	s_cbranch_execz .LBB141_40
.LBB141_3:                              ; =>This Inner Loop Header: Depth=1
	s_cmp_lg_u64 s[6:7], 0
                                        ; implicit-def: $vgpr9_vgpr10
	s_cselect_b32 s0, -1, 0
	s_delay_alu instid0(SALU_CYCLE_1) | instskip(NEXT) | instid1(SALU_CYCLE_1)
	s_and_saveexec_b32 s42, s0
	s_xor_b32 s50, exec_lo, s42
	s_cbranch_execz .LBB141_5
; %bb.4:                                ;   in Loop: Header=BB141_3 Depth=1
	s_add_u32 s44, s1, s46
	s_mov_b32 s42, s46
	s_mov_b32 s43, s46
	s_addc_u32 s45, s46, s46
	s_delay_alu instid0(SALU_CYCLE_1) | instskip(NEXT) | instid1(SALU_CYCLE_1)
	s_xor_b64 s[44:45], s[44:45], s[42:43]
	v_cvt_f32_u32_e32 v0, s44
	v_cvt_f32_u32_e32 v1, s45
	s_sub_u32 s0, 0, s44
	s_subb_u32 s51, 0, s45
	s_delay_alu instid0(VALU_DEP_1) | instskip(NEXT) | instid1(VALU_DEP_1)
	v_fmac_f32_e32 v0, 0x4f800000, v1
	v_rcp_f32_e32 v0, v0
	s_waitcnt_depctr 0xfff
	v_mul_f32_e32 v0, 0x5f7ffffc, v0
	s_delay_alu instid0(VALU_DEP_1) | instskip(NEXT) | instid1(VALU_DEP_1)
	v_mul_f32_e32 v1, 0x2f800000, v0
	v_trunc_f32_e32 v1, v1
	s_delay_alu instid0(VALU_DEP_1) | instskip(SKIP_1) | instid1(VALU_DEP_2)
	v_fmac_f32_e32 v0, 0xcf800000, v1
	v_cvt_u32_f32_e32 v1, v1
	v_cvt_u32_f32_e32 v0, v0
	s_delay_alu instid0(VALU_DEP_2) | instskip(NEXT) | instid1(VALU_DEP_2)
	v_mul_lo_u32 v2, s0, v1
	v_mul_hi_u32 v3, s0, v0
	v_mul_lo_u32 v4, s51, v0
	s_delay_alu instid0(VALU_DEP_2) | instskip(SKIP_1) | instid1(VALU_DEP_2)
	v_add_nc_u32_e32 v2, v3, v2
	v_mul_lo_u32 v3, s0, v0
	v_add_nc_u32_e32 v2, v2, v4
	s_delay_alu instid0(VALU_DEP_2) | instskip(NEXT) | instid1(VALU_DEP_2)
	v_mul_hi_u32 v4, v0, v3
	v_mul_lo_u32 v5, v0, v2
	v_mul_hi_u32 v6, v0, v2
	v_mul_hi_u32 v7, v1, v3
	v_mul_lo_u32 v3, v1, v3
	v_mul_hi_u32 v9, v1, v2
	v_mul_lo_u32 v2, v1, v2
	v_add_co_u32 v4, vcc_lo, v4, v5
	v_add_co_ci_u32_e32 v5, vcc_lo, 0, v6, vcc_lo
	s_delay_alu instid0(VALU_DEP_2) | instskip(NEXT) | instid1(VALU_DEP_2)
	v_add_co_u32 v3, vcc_lo, v4, v3
	v_add_co_ci_u32_e32 v3, vcc_lo, v5, v7, vcc_lo
	v_add_co_ci_u32_e32 v4, vcc_lo, 0, v9, vcc_lo
	s_delay_alu instid0(VALU_DEP_2) | instskip(NEXT) | instid1(VALU_DEP_2)
	v_add_co_u32 v2, vcc_lo, v3, v2
	v_add_co_ci_u32_e32 v3, vcc_lo, 0, v4, vcc_lo
	s_delay_alu instid0(VALU_DEP_2) | instskip(NEXT) | instid1(VALU_DEP_2)
	v_add_co_u32 v0, vcc_lo, v0, v2
	v_add_co_ci_u32_e32 v1, vcc_lo, v1, v3, vcc_lo
	s_delay_alu instid0(VALU_DEP_2) | instskip(SKIP_1) | instid1(VALU_DEP_3)
	v_mul_hi_u32 v2, s0, v0
	v_mul_lo_u32 v4, s51, v0
	v_mul_lo_u32 v3, s0, v1
	s_delay_alu instid0(VALU_DEP_1) | instskip(SKIP_1) | instid1(VALU_DEP_2)
	v_add_nc_u32_e32 v2, v2, v3
	v_mul_lo_u32 v3, s0, v0
	v_add_nc_u32_e32 v2, v2, v4
	s_delay_alu instid0(VALU_DEP_2) | instskip(NEXT) | instid1(VALU_DEP_2)
	v_mul_hi_u32 v4, v0, v3
	v_mul_lo_u32 v5, v0, v2
	v_mul_hi_u32 v6, v0, v2
	v_mul_hi_u32 v7, v1, v3
	v_mul_lo_u32 v3, v1, v3
	v_mul_hi_u32 v9, v1, v2
	v_mul_lo_u32 v2, v1, v2
	v_add_co_u32 v4, vcc_lo, v4, v5
	v_add_co_ci_u32_e32 v5, vcc_lo, 0, v6, vcc_lo
	s_delay_alu instid0(VALU_DEP_2) | instskip(NEXT) | instid1(VALU_DEP_2)
	v_add_co_u32 v3, vcc_lo, v4, v3
	v_add_co_ci_u32_e32 v3, vcc_lo, v5, v7, vcc_lo
	v_add_co_ci_u32_e32 v4, vcc_lo, 0, v9, vcc_lo
	s_delay_alu instid0(VALU_DEP_2) | instskip(NEXT) | instid1(VALU_DEP_2)
	v_add_co_u32 v2, vcc_lo, v3, v2
	v_add_co_ci_u32_e32 v3, vcc_lo, 0, v4, vcc_lo
	s_delay_alu instid0(VALU_DEP_2) | instskip(NEXT) | instid1(VALU_DEP_2)
	v_add_co_u32 v4, vcc_lo, v0, v2
	v_add_co_ci_u32_e32 v6, vcc_lo, v1, v3, vcc_lo
	s_delay_alu instid0(VALU_DEP_2) | instskip(SKIP_1) | instid1(VALU_DEP_3)
	v_mul_hi_u32 v7, v11, v4
	v_mad_u64_u32 v[2:3], null, 0, v4, 0
	v_mad_u64_u32 v[0:1], null, v11, v6, 0
	;; [unrolled: 1-line block ×3, first 2 shown]
	s_delay_alu instid0(VALU_DEP_2) | instskip(NEXT) | instid1(VALU_DEP_3)
	v_add_co_u32 v0, vcc_lo, v7, v0
	v_add_co_ci_u32_e32 v1, vcc_lo, 0, v1, vcc_lo
	s_delay_alu instid0(VALU_DEP_2) | instskip(NEXT) | instid1(VALU_DEP_2)
	v_add_co_u32 v0, vcc_lo, v0, v2
	v_add_co_ci_u32_e32 v0, vcc_lo, v1, v3, vcc_lo
	v_add_co_ci_u32_e32 v1, vcc_lo, 0, v5, vcc_lo
	s_delay_alu instid0(VALU_DEP_2) | instskip(NEXT) | instid1(VALU_DEP_2)
	v_add_co_u32 v2, vcc_lo, v0, v4
	v_add_co_ci_u32_e32 v3, vcc_lo, 0, v1, vcc_lo
	s_delay_alu instid0(VALU_DEP_2) | instskip(SKIP_1) | instid1(VALU_DEP_3)
	v_mul_lo_u32 v4, s45, v2
	v_mad_u64_u32 v[0:1], null, s44, v2, 0
	v_mul_lo_u32 v5, s44, v3
	s_delay_alu instid0(VALU_DEP_2) | instskip(NEXT) | instid1(VALU_DEP_2)
	v_sub_co_u32 v0, vcc_lo, v11, v0
	v_add3_u32 v1, v1, v5, v4
	s_delay_alu instid0(VALU_DEP_1) | instskip(NEXT) | instid1(VALU_DEP_1)
	v_sub_nc_u32_e32 v4, 0, v1
	v_subrev_co_ci_u32_e64 v4, s0, s45, v4, vcc_lo
	v_add_co_u32 v5, s0, v2, 2
	s_delay_alu instid0(VALU_DEP_1) | instskip(SKIP_3) | instid1(VALU_DEP_3)
	v_add_co_ci_u32_e64 v6, s0, 0, v3, s0
	v_sub_co_u32 v7, s0, v0, s44
	v_sub_co_ci_u32_e32 v1, vcc_lo, 0, v1, vcc_lo
	v_subrev_co_ci_u32_e64 v4, s0, 0, v4, s0
	v_cmp_le_u32_e32 vcc_lo, s44, v7
	s_delay_alu instid0(VALU_DEP_3) | instskip(SKIP_1) | instid1(VALU_DEP_4)
	v_cmp_eq_u32_e64 s0, s45, v1
	v_cndmask_b32_e64 v7, 0, -1, vcc_lo
	v_cmp_le_u32_e32 vcc_lo, s45, v4
	v_cndmask_b32_e64 v9, 0, -1, vcc_lo
	v_cmp_le_u32_e32 vcc_lo, s44, v0
	;; [unrolled: 2-line block ×3, first 2 shown]
	v_cndmask_b32_e64 v10, 0, -1, vcc_lo
	v_cmp_eq_u32_e32 vcc_lo, s45, v4
	s_delay_alu instid0(VALU_DEP_2) | instskip(SKIP_3) | instid1(VALU_DEP_3)
	v_cndmask_b32_e64 v0, v10, v0, s0
	v_cndmask_b32_e32 v4, v9, v7, vcc_lo
	v_add_co_u32 v7, vcc_lo, v2, 1
	v_add_co_ci_u32_e32 v9, vcc_lo, 0, v3, vcc_lo
	v_cmp_ne_u32_e32 vcc_lo, 0, v4
	s_delay_alu instid0(VALU_DEP_2) | instskip(SKIP_1) | instid1(VALU_DEP_2)
	v_dual_cndmask_b32 v1, v9, v6 :: v_dual_cndmask_b32 v4, v7, v5
	v_cmp_ne_u32_e32 vcc_lo, 0, v0
	v_dual_cndmask_b32 v0, v3, v1 :: v_dual_cndmask_b32 v1, v2, v4
	s_delay_alu instid0(VALU_DEP_1) | instskip(NEXT) | instid1(VALU_DEP_2)
	v_xor_b32_e32 v0, s43, v0
	v_xor_b32_e32 v1, s42, v1
	s_delay_alu instid0(VALU_DEP_1) | instskip(NEXT) | instid1(VALU_DEP_3)
	v_sub_co_u32 v9, vcc_lo, v1, s42
	v_subrev_co_ci_u32_e32 v10, vcc_lo, s43, v0, vcc_lo
.LBB141_5:                              ;   in Loop: Header=BB141_3 Depth=1
	s_and_not1_saveexec_b32 s0, s50
	s_cbranch_execz .LBB141_7
; %bb.6:                                ;   in Loop: Header=BB141_3 Depth=1
	s_sub_i32 s42, 0, s1
	s_delay_alu instid0(SALU_CYCLE_1) | instskip(NEXT) | instid1(VALU_DEP_1)
	v_mul_lo_u32 v0, s42, v12
	v_mul_hi_u32 v0, v12, v0
	s_delay_alu instid0(VALU_DEP_1) | instskip(NEXT) | instid1(VALU_DEP_1)
	v_add_nc_u32_e32 v0, v12, v0
	v_mul_hi_u32 v0, v11, v0
	s_delay_alu instid0(VALU_DEP_1) | instskip(SKIP_1) | instid1(VALU_DEP_2)
	v_mul_lo_u32 v1, v0, s1
	v_add_nc_u32_e32 v2, 1, v0
	v_sub_nc_u32_e32 v1, v11, v1
	s_delay_alu instid0(VALU_DEP_1) | instskip(SKIP_1) | instid1(VALU_DEP_2)
	v_subrev_nc_u32_e32 v3, s1, v1
	v_cmp_le_u32_e32 vcc_lo, s1, v1
	v_dual_cndmask_b32 v1, v1, v3 :: v_dual_cndmask_b32 v0, v0, v2
	s_delay_alu instid0(VALU_DEP_1) | instskip(NEXT) | instid1(VALU_DEP_2)
	v_cmp_le_u32_e32 vcc_lo, s1, v1
	v_add_nc_u32_e32 v2, 1, v0
	s_delay_alu instid0(VALU_DEP_1) | instskip(NEXT) | instid1(VALU_DEP_1)
	v_cndmask_b32_e32 v7, v0, v2, vcc_lo
	v_dual_mov_b32 v10, v8 :: v_dual_mov_b32 v9, v7
.LBB141_7:                              ;   in Loop: Header=BB141_3 Depth=1
	s_or_b32 exec_lo, exec_lo, s0
	s_mov_b32 s42, -1
	s_mov_b32 s0, exec_lo
	s_delay_alu instid0(VALU_DEP_1)
	v_cmpx_gt_i64_e64 s[2:3], v[9:10]
	s_cbranch_execz .LBB141_2
; %bb.8:                                ;   in Loop: Header=BB141_3 Depth=1
	v_mul_lo_u32 v0, v9, s1
	v_mul_lo_u32 v1, v9, s33
	v_lshlrev_b64 v[9:10], 1, v[9:10]
	s_mov_b32 s42, exec_lo
	s_delay_alu instid0(VALU_DEP_1) | instskip(NEXT) | instid1(VALU_DEP_4)
	v_add_co_u32 v9, vcc_lo, s4, v9
	v_sub_nc_u32_e32 v0, v11, v0
	s_delay_alu instid0(VALU_DEP_3) | instskip(NEXT) | instid1(VALU_DEP_2)
	v_add_co_ci_u32_e32 v10, vcc_lo, s5, v10, vcc_lo
	v_lshlrev_b32_e32 v13, 4, v0
	s_delay_alu instid0(VALU_DEP_1)
	v_add_lshl_u32 v0, v1, v13, 1
	v_mul_lo_u32 v14, v13, s2
	s_clause 0x1
	buffer_load_b128 v[4:7], v0, s[8:11], 0 offen
	buffer_load_b128 v[0:3], v0, s[8:11], 16 offen
	v_ashrrev_i32_e32 v15, 31, v14
	s_delay_alu instid0(VALU_DEP_1) | instskip(NEXT) | instid1(VALU_DEP_1)
	v_lshlrev_b64 v[14:15], 1, v[14:15]
	v_add_co_u32 v9, vcc_lo, v9, v14
	s_delay_alu instid0(VALU_DEP_2)
	v_add_co_ci_u32_e32 v10, vcc_lo, v10, v15, vcc_lo
	v_cmpx_gt_i32_e64 s33, v13
	s_cbranch_execz .LBB141_10
; %bb.9:                                ;   in Loop: Header=BB141_3 Depth=1
	s_waitcnt vmcnt(1)
	global_store_b16 v[9:10], v4, off
.LBB141_10:                             ;   in Loop: Header=BB141_3 Depth=1
	s_or_b32 exec_lo, exec_lo, s42
	v_or_b32_e32 v14, 1, v13
	s_mov_b32 s42, exec_lo
	s_delay_alu instid0(VALU_DEP_1)
	v_cmpx_gt_i32_e64 s33, v14
	s_cbranch_execz .LBB141_12
; %bb.11:                               ;   in Loop: Header=BB141_3 Depth=1
	s_lshl_b64 s[44:45], s[2:3], 1
	s_delay_alu instid0(SALU_CYCLE_1)
	v_add_co_u32 v14, vcc_lo, v9, s44
	v_add_co_ci_u32_e32 v15, vcc_lo, s45, v10, vcc_lo
	s_waitcnt vmcnt(1)
	global_store_d16_hi_b16 v[14:15], v4, off
.LBB141_12:                             ;   in Loop: Header=BB141_3 Depth=1
	s_or_b32 exec_lo, exec_lo, s42
	s_waitcnt vmcnt(1)
	v_or_b32_e32 v4, 2, v13
	s_mov_b32 s42, exec_lo
	s_delay_alu instid0(VALU_DEP_1)
	v_cmpx_gt_i32_e64 s33, v4
	s_cbranch_execz .LBB141_14
; %bb.13:                               ;   in Loop: Header=BB141_3 Depth=1
	v_add_co_u32 v14, vcc_lo, v9, s12
	v_add_co_ci_u32_e32 v15, vcc_lo, s13, v10, vcc_lo
	global_store_b16 v[14:15], v5, off
.LBB141_14:                             ;   in Loop: Header=BB141_3 Depth=1
	s_or_b32 exec_lo, exec_lo, s42
	v_or_b32_e32 v4, 3, v13
	s_mov_b32 s42, exec_lo
	s_delay_alu instid0(VALU_DEP_1)
	v_cmpx_gt_i32_e64 s33, v4
	s_cbranch_execz .LBB141_16
; %bb.15:                               ;   in Loop: Header=BB141_3 Depth=1
	v_add_co_u32 v14, vcc_lo, v9, s14
	v_add_co_ci_u32_e32 v15, vcc_lo, s15, v10, vcc_lo
	global_store_d16_hi_b16 v[14:15], v5, off
.LBB141_16:                             ;   in Loop: Header=BB141_3 Depth=1
	s_or_b32 exec_lo, exec_lo, s42
	v_or_b32_e32 v4, 4, v13
	s_mov_b32 s42, exec_lo
	s_delay_alu instid0(VALU_DEP_1)
	v_cmpx_gt_i32_e64 s33, v4
	s_cbranch_execz .LBB141_18
; %bb.17:                               ;   in Loop: Header=BB141_3 Depth=1
	v_add_co_u32 v4, vcc_lo, v9, s16
	v_add_co_ci_u32_e32 v5, vcc_lo, s17, v10, vcc_lo
	global_store_b16 v[4:5], v6, off
.LBB141_18:                             ;   in Loop: Header=BB141_3 Depth=1
	s_or_b32 exec_lo, exec_lo, s42
	v_or_b32_e32 v4, 5, v13
	s_mov_b32 s42, exec_lo
	s_delay_alu instid0(VALU_DEP_1)
	v_cmpx_gt_i32_e64 s33, v4
	s_cbranch_execz .LBB141_20
; %bb.19:                               ;   in Loop: Header=BB141_3 Depth=1
	v_add_co_u32 v4, vcc_lo, v9, s18
	v_add_co_ci_u32_e32 v5, vcc_lo, s19, v10, vcc_lo
	global_store_d16_hi_b16 v[4:5], v6, off
.LBB141_20:                             ;   in Loop: Header=BB141_3 Depth=1
	s_or_b32 exec_lo, exec_lo, s42
	;; [unrolled: 22-line block ×3, first 2 shown]
	v_or_b32_e32 v4, 8, v13
	s_mov_b32 s42, exec_lo
	s_delay_alu instid0(VALU_DEP_1)
	v_cmpx_gt_i32_e64 s33, v4
	s_cbranch_execz .LBB141_26
; %bb.25:                               ;   in Loop: Header=BB141_3 Depth=1
	v_add_co_u32 v4, vcc_lo, v9, s24
	v_add_co_ci_u32_e32 v5, vcc_lo, s25, v10, vcc_lo
	s_waitcnt vmcnt(0)
	global_store_b16 v[4:5], v0, off
.LBB141_26:                             ;   in Loop: Header=BB141_3 Depth=1
	s_or_b32 exec_lo, exec_lo, s42
	v_or_b32_e32 v4, 9, v13
	s_mov_b32 s42, exec_lo
	s_delay_alu instid0(VALU_DEP_1)
	v_cmpx_gt_i32_e64 s33, v4
	s_cbranch_execz .LBB141_28
; %bb.27:                               ;   in Loop: Header=BB141_3 Depth=1
	v_add_co_u32 v4, vcc_lo, v9, s26
	v_add_co_ci_u32_e32 v5, vcc_lo, s27, v10, vcc_lo
	s_waitcnt vmcnt(0)
	global_store_d16_hi_b16 v[4:5], v0, off
.LBB141_28:                             ;   in Loop: Header=BB141_3 Depth=1
	s_or_b32 exec_lo, exec_lo, s42
	s_waitcnt vmcnt(0)
	v_or_b32_e32 v0, 10, v13
	s_mov_b32 s42, exec_lo
	s_delay_alu instid0(VALU_DEP_1)
	v_cmpx_gt_i32_e64 s33, v0
	s_cbranch_execz .LBB141_30
; %bb.29:                               ;   in Loop: Header=BB141_3 Depth=1
	v_add_co_u32 v4, vcc_lo, v9, s28
	v_add_co_ci_u32_e32 v5, vcc_lo, s29, v10, vcc_lo
	global_store_b16 v[4:5], v1, off
.LBB141_30:                             ;   in Loop: Header=BB141_3 Depth=1
	s_or_b32 exec_lo, exec_lo, s42
	v_or_b32_e32 v0, 11, v13
	s_mov_b32 s42, exec_lo
	s_delay_alu instid0(VALU_DEP_1)
	v_cmpx_gt_i32_e64 s33, v0
	s_cbranch_execz .LBB141_32
; %bb.31:                               ;   in Loop: Header=BB141_3 Depth=1
	v_add_co_u32 v4, vcc_lo, v9, s30
	v_add_co_ci_u32_e32 v5, vcc_lo, s31, v10, vcc_lo
	global_store_d16_hi_b16 v[4:5], v1, off
.LBB141_32:                             ;   in Loop: Header=BB141_3 Depth=1
	s_or_b32 exec_lo, exec_lo, s42
	v_or_b32_e32 v0, 12, v13
	s_mov_b32 s42, exec_lo
	s_delay_alu instid0(VALU_DEP_1)
	v_cmpx_gt_i32_e64 s33, v0
	s_cbranch_execz .LBB141_34
; %bb.33:                               ;   in Loop: Header=BB141_3 Depth=1
	v_add_co_u32 v0, vcc_lo, v9, s34
	v_add_co_ci_u32_e32 v1, vcc_lo, s35, v10, vcc_lo
	global_store_b16 v[0:1], v2, off
.LBB141_34:                             ;   in Loop: Header=BB141_3 Depth=1
	s_or_b32 exec_lo, exec_lo, s42
	v_or_b32_e32 v0, 13, v13
	s_mov_b32 s42, exec_lo
	s_delay_alu instid0(VALU_DEP_1)
	v_cmpx_gt_i32_e64 s33, v0
	s_cbranch_execz .LBB141_36
; %bb.35:                               ;   in Loop: Header=BB141_3 Depth=1
	v_add_co_u32 v0, vcc_lo, v9, s36
	v_add_co_ci_u32_e32 v1, vcc_lo, s37, v10, vcc_lo
	global_store_d16_hi_b16 v[0:1], v2, off
.LBB141_36:                             ;   in Loop: Header=BB141_3 Depth=1
	s_or_b32 exec_lo, exec_lo, s42
	v_or_b32_e32 v0, 14, v13
	s_mov_b32 s42, exec_lo
	s_delay_alu instid0(VALU_DEP_1)
	v_cmpx_gt_i32_e64 s33, v0
	s_cbranch_execz .LBB141_38
; %bb.37:                               ;   in Loop: Header=BB141_3 Depth=1
	v_add_co_u32 v0, vcc_lo, v9, s38
	v_add_co_ci_u32_e32 v1, vcc_lo, s39, v10, vcc_lo
	global_store_b16 v[0:1], v3, off
.LBB141_38:                             ;   in Loop: Header=BB141_3 Depth=1
	s_or_b32 exec_lo, exec_lo, s42
	v_or_b32_e32 v0, 15, v13
	s_mov_b32 s42, exec_lo
	s_delay_alu instid0(VALU_DEP_1)
	v_cmpx_gt_i32_e64 s33, v0
	s_cbranch_execz .LBB141_1
; %bb.39:                               ;   in Loop: Header=BB141_3 Depth=1
	v_add_co_u32 v0, vcc_lo, v9, s40
	v_add_co_ci_u32_e32 v1, vcc_lo, s41, v10, vcc_lo
	global_store_d16_hi_b16 v[0:1], v3, off
	s_branch .LBB141_1
.LBB141_40:
	s_nop 0
	s_sendmsg sendmsg(MSG_DEALLOC_VGPRS)
	s_endpgm
	.section	.rodata,"a",@progbits
	.p2align	6, 0x0
	.amdhsa_kernel _ZN5aiter24partial_transpose_kernelIDF16_Li256ELi16ELi10000EEEvPT_S2_PKii
		.amdhsa_group_segment_fixed_size 0
		.amdhsa_private_segment_fixed_size 0
		.amdhsa_kernarg_size 288
		.amdhsa_user_sgpr_count 15
		.amdhsa_user_sgpr_dispatch_ptr 0
		.amdhsa_user_sgpr_queue_ptr 0
		.amdhsa_user_sgpr_kernarg_segment_ptr 1
		.amdhsa_user_sgpr_dispatch_id 0
		.amdhsa_user_sgpr_private_segment_size 0
		.amdhsa_wavefront_size32 1
		.amdhsa_uses_dynamic_stack 0
		.amdhsa_enable_private_segment 0
		.amdhsa_system_sgpr_workgroup_id_x 1
		.amdhsa_system_sgpr_workgroup_id_y 0
		.amdhsa_system_sgpr_workgroup_id_z 0
		.amdhsa_system_sgpr_workgroup_info 0
		.amdhsa_system_vgpr_workitem_id 0
		.amdhsa_next_free_vgpr 16
		.amdhsa_next_free_sgpr 52
		.amdhsa_reserve_vcc 1
		.amdhsa_float_round_mode_32 0
		.amdhsa_float_round_mode_16_64 0
		.amdhsa_float_denorm_mode_32 3
		.amdhsa_float_denorm_mode_16_64 3
		.amdhsa_dx10_clamp 1
		.amdhsa_ieee_mode 1
		.amdhsa_fp16_overflow 0
		.amdhsa_workgroup_processor_mode 1
		.amdhsa_memory_ordered 1
		.amdhsa_forward_progress 0
		.amdhsa_shared_vgpr_count 0
		.amdhsa_exception_fp_ieee_invalid_op 0
		.amdhsa_exception_fp_denorm_src 0
		.amdhsa_exception_fp_ieee_div_zero 0
		.amdhsa_exception_fp_ieee_overflow 0
		.amdhsa_exception_fp_ieee_underflow 0
		.amdhsa_exception_fp_ieee_inexact 0
		.amdhsa_exception_int_div_zero 0
	.end_amdhsa_kernel
	.section	.text._ZN5aiter24partial_transpose_kernelIDF16_Li256ELi16ELi10000EEEvPT_S2_PKii,"axG",@progbits,_ZN5aiter24partial_transpose_kernelIDF16_Li256ELi16ELi10000EEEvPT_S2_PKii,comdat
.Lfunc_end141:
	.size	_ZN5aiter24partial_transpose_kernelIDF16_Li256ELi16ELi10000EEEvPT_S2_PKii, .Lfunc_end141-_ZN5aiter24partial_transpose_kernelIDF16_Li256ELi16ELi10000EEEvPT_S2_PKii
                                        ; -- End function
	.section	.AMDGPU.csdata,"",@progbits
; Kernel info:
; codeLenInByte = 2284
; NumSgprs: 54
; NumVgprs: 16
; ScratchSize: 0
; MemoryBound: 0
; FloatMode: 240
; IeeeMode: 1
; LDSByteSize: 0 bytes/workgroup (compile time only)
; SGPRBlocks: 6
; VGPRBlocks: 1
; NumSGPRsForWavesPerEU: 54
; NumVGPRsForWavesPerEU: 16
; Occupancy: 16
; WaveLimiterHint : 1
; COMPUTE_PGM_RSRC2:SCRATCH_EN: 0
; COMPUTE_PGM_RSRC2:USER_SGPR: 15
; COMPUTE_PGM_RSRC2:TRAP_HANDLER: 0
; COMPUTE_PGM_RSRC2:TGID_X_EN: 1
; COMPUTE_PGM_RSRC2:TGID_Y_EN: 0
; COMPUTE_PGM_RSRC2:TGID_Z_EN: 0
; COMPUTE_PGM_RSRC2:TIDIG_COMP_CNT: 0
	.section	.text._ZN5aiter24partial_transpose_kernelItLi256ELi16ELi10000EEEvPT_S2_PKii,"axG",@progbits,_ZN5aiter24partial_transpose_kernelItLi256ELi16ELi10000EEEvPT_S2_PKii,comdat
	.protected	_ZN5aiter24partial_transpose_kernelItLi256ELi16ELi10000EEEvPT_S2_PKii ; -- Begin function _ZN5aiter24partial_transpose_kernelItLi256ELi16ELi10000EEEvPT_S2_PKii
	.globl	_ZN5aiter24partial_transpose_kernelItLi256ELi16ELi10000EEEvPT_S2_PKii
	.p2align	8
	.type	_ZN5aiter24partial_transpose_kernelItLi256ELi16ELi10000EEEvPT_S2_PKii,@function
_ZN5aiter24partial_transpose_kernelItLi256ELi16ELi10000EEEvPT_S2_PKii: ; @_ZN5aiter24partial_transpose_kernelItLi256ELi16ELi10000EEEvPT_S2_PKii
; %bb.0:
	s_clause 0x2
	s_load_b64 s[2:3], s[0:1], 0x10
	s_load_b32 s33, s[0:1], 0x18
	s_load_b128 s[4:7], s[0:1], 0x0
	v_lshl_add_u32 v11, s15, 8, v0
	v_mov_b32_e32 v8, 0
	s_mov_b32 s11, -1
	s_movk_i32 s48, 0x2710
	s_waitcnt lgkmcnt(0)
	s_load_b32 s2, s[2:3], 0x0
	s_load_b32 s0, s[0:1], 0x20
	s_add_i32 s1, s33, 15
	s_and_b32 s7, s7, 0xffff
	s_ashr_i32 s3, s1, 31
	s_mov_b64 s[8:9], s[6:7]
	s_lshr_b32 s3, s3, 28
	s_delay_alu instid0(SALU_CYCLE_1) | instskip(NEXT) | instid1(SALU_CYCLE_1)
	s_add_i32 s1, s1, s3
	s_ashr_i32 s1, s1, 4
	s_delay_alu instid0(SALU_CYCLE_1) | instskip(SKIP_1) | instid1(VALU_DEP_1)
	v_cvt_f32_u32_e32 v0, s1
	s_ashr_i32 s46, s1, 31
	v_rcp_iflag_f32_e32 v0, v0
	s_waitcnt lgkmcnt(0)
	s_mul_i32 s6, s2, s33
	s_lshl_b32 s12, s2, 1
	s_add_i32 s6, s6, 1
	s_mul_i32 s14, s2, 3
	s_lshr_b32 s7, s6, 31
	s_lshl_b32 s16, s2, 2
	s_add_i32 s6, s6, s7
	s_waitcnt_depctr 0xfff
	v_mul_f32_e32 v0, 0x4f7ffffe, v0
	s_mul_i32 s18, s2, 5
	s_mul_i32 s20, s2, 6
	;; [unrolled: 1-line block ×3, first 2 shown]
	s_lshl_b32 s24, s2, 3
	s_mul_i32 s26, s2, 9
	s_mul_i32 s28, s2, 10
	;; [unrolled: 1-line block ×7, first 2 shown]
	s_lshl_b32 s6, s6, 1
	v_cvt_u32_f32_e32 v12, v0
	s_ashr_i32 s13, s12, 31
	s_ashr_i32 s15, s14, 31
	s_ashr_i32 s17, s16, 31
	s_ashr_i32 s19, s18, 31
	s_ashr_i32 s21, s20, 31
	s_ashr_i32 s23, s22, 31
	s_ashr_i32 s25, s24, 31
	s_ashr_i32 s27, s26, 31
	s_ashr_i32 s29, s28, 31
	s_ashr_i32 s31, s30, 31
	s_ashr_i32 s35, s34, 31
	s_ashr_i32 s37, s36, 31
	s_ashr_i32 s39, s38, 31
	s_ashr_i32 s41, s40, 31
	s_and_b32 s10, s6, -4
	s_mov_b32 s6, 0
	s_ashr_i32 s3, s2, 31
	s_lshl_b32 s47, s0, 8
	s_mov_b32 s7, s46
	s_lshl_b64 s[12:13], s[12:13], 1
	s_lshl_b64 s[14:15], s[14:15], 1
	s_lshl_b64 s[16:17], s[16:17], 1
	s_lshl_b64 s[18:19], s[18:19], 1
	s_lshl_b64 s[20:21], s[20:21], 1
	s_lshl_b64 s[22:23], s[22:23], 1
	s_lshl_b64 s[24:25], s[24:25], 1
	s_lshl_b64 s[26:27], s[26:27], 1
	s_lshl_b64 s[28:29], s[28:29], 1
	s_lshl_b64 s[30:31], s[30:31], 1
	s_lshl_b64 s[34:35], s[34:35], 1
	s_lshl_b64 s[36:37], s[36:37], 1
	s_lshl_b64 s[38:39], s[38:39], 1
	s_lshl_b64 s[40:41], s[40:41], 1
	s_mov_b32 s49, s6
	s_branch .LBB142_3
.LBB142_1:                              ;   in Loop: Header=BB142_3 Depth=1
	s_or_b32 exec_lo, exec_lo, s42
	s_add_i32 s48, s48, -1
	v_add_nc_u32_e32 v11, s47, v11
	s_cmp_eq_u32 s48, 0
	s_cselect_b32 s42, -1, 0
	s_delay_alu instid0(SALU_CYCLE_1)
	s_or_not1_b32 s42, s42, exec_lo
.LBB142_2:                              ;   in Loop: Header=BB142_3 Depth=1
	s_or_b32 exec_lo, exec_lo, s0
	s_delay_alu instid0(SALU_CYCLE_1) | instskip(NEXT) | instid1(SALU_CYCLE_1)
	s_and_b32 s0, exec_lo, s42
	s_or_b32 s49, s0, s49
	s_delay_alu instid0(SALU_CYCLE_1)
	s_and_not1_b32 exec_lo, exec_lo, s49
	s_cbranch_execz .LBB142_40
.LBB142_3:                              ; =>This Inner Loop Header: Depth=1
	s_cmp_lg_u64 s[6:7], 0
                                        ; implicit-def: $vgpr9_vgpr10
	s_cselect_b32 s0, -1, 0
	s_delay_alu instid0(SALU_CYCLE_1) | instskip(NEXT) | instid1(SALU_CYCLE_1)
	s_and_saveexec_b32 s42, s0
	s_xor_b32 s50, exec_lo, s42
	s_cbranch_execz .LBB142_5
; %bb.4:                                ;   in Loop: Header=BB142_3 Depth=1
	s_add_u32 s44, s1, s46
	s_mov_b32 s42, s46
	s_mov_b32 s43, s46
	s_addc_u32 s45, s46, s46
	s_delay_alu instid0(SALU_CYCLE_1) | instskip(NEXT) | instid1(SALU_CYCLE_1)
	s_xor_b64 s[44:45], s[44:45], s[42:43]
	v_cvt_f32_u32_e32 v0, s44
	v_cvt_f32_u32_e32 v1, s45
	s_sub_u32 s0, 0, s44
	s_subb_u32 s51, 0, s45
	s_delay_alu instid0(VALU_DEP_1) | instskip(NEXT) | instid1(VALU_DEP_1)
	v_fmac_f32_e32 v0, 0x4f800000, v1
	v_rcp_f32_e32 v0, v0
	s_waitcnt_depctr 0xfff
	v_mul_f32_e32 v0, 0x5f7ffffc, v0
	s_delay_alu instid0(VALU_DEP_1) | instskip(NEXT) | instid1(VALU_DEP_1)
	v_mul_f32_e32 v1, 0x2f800000, v0
	v_trunc_f32_e32 v1, v1
	s_delay_alu instid0(VALU_DEP_1) | instskip(SKIP_1) | instid1(VALU_DEP_2)
	v_fmac_f32_e32 v0, 0xcf800000, v1
	v_cvt_u32_f32_e32 v1, v1
	v_cvt_u32_f32_e32 v0, v0
	s_delay_alu instid0(VALU_DEP_2) | instskip(NEXT) | instid1(VALU_DEP_2)
	v_mul_lo_u32 v2, s0, v1
	v_mul_hi_u32 v3, s0, v0
	v_mul_lo_u32 v4, s51, v0
	s_delay_alu instid0(VALU_DEP_2) | instskip(SKIP_1) | instid1(VALU_DEP_2)
	v_add_nc_u32_e32 v2, v3, v2
	v_mul_lo_u32 v3, s0, v0
	v_add_nc_u32_e32 v2, v2, v4
	s_delay_alu instid0(VALU_DEP_2) | instskip(NEXT) | instid1(VALU_DEP_2)
	v_mul_hi_u32 v4, v0, v3
	v_mul_lo_u32 v5, v0, v2
	v_mul_hi_u32 v6, v0, v2
	v_mul_hi_u32 v7, v1, v3
	v_mul_lo_u32 v3, v1, v3
	v_mul_hi_u32 v9, v1, v2
	v_mul_lo_u32 v2, v1, v2
	v_add_co_u32 v4, vcc_lo, v4, v5
	v_add_co_ci_u32_e32 v5, vcc_lo, 0, v6, vcc_lo
	s_delay_alu instid0(VALU_DEP_2) | instskip(NEXT) | instid1(VALU_DEP_2)
	v_add_co_u32 v3, vcc_lo, v4, v3
	v_add_co_ci_u32_e32 v3, vcc_lo, v5, v7, vcc_lo
	v_add_co_ci_u32_e32 v4, vcc_lo, 0, v9, vcc_lo
	s_delay_alu instid0(VALU_DEP_2) | instskip(NEXT) | instid1(VALU_DEP_2)
	v_add_co_u32 v2, vcc_lo, v3, v2
	v_add_co_ci_u32_e32 v3, vcc_lo, 0, v4, vcc_lo
	s_delay_alu instid0(VALU_DEP_2) | instskip(NEXT) | instid1(VALU_DEP_2)
	v_add_co_u32 v0, vcc_lo, v0, v2
	v_add_co_ci_u32_e32 v1, vcc_lo, v1, v3, vcc_lo
	s_delay_alu instid0(VALU_DEP_2) | instskip(SKIP_1) | instid1(VALU_DEP_3)
	v_mul_hi_u32 v2, s0, v0
	v_mul_lo_u32 v4, s51, v0
	v_mul_lo_u32 v3, s0, v1
	s_delay_alu instid0(VALU_DEP_1) | instskip(SKIP_1) | instid1(VALU_DEP_2)
	v_add_nc_u32_e32 v2, v2, v3
	v_mul_lo_u32 v3, s0, v0
	v_add_nc_u32_e32 v2, v2, v4
	s_delay_alu instid0(VALU_DEP_2) | instskip(NEXT) | instid1(VALU_DEP_2)
	v_mul_hi_u32 v4, v0, v3
	v_mul_lo_u32 v5, v0, v2
	v_mul_hi_u32 v6, v0, v2
	v_mul_hi_u32 v7, v1, v3
	v_mul_lo_u32 v3, v1, v3
	v_mul_hi_u32 v9, v1, v2
	v_mul_lo_u32 v2, v1, v2
	v_add_co_u32 v4, vcc_lo, v4, v5
	v_add_co_ci_u32_e32 v5, vcc_lo, 0, v6, vcc_lo
	s_delay_alu instid0(VALU_DEP_2) | instskip(NEXT) | instid1(VALU_DEP_2)
	v_add_co_u32 v3, vcc_lo, v4, v3
	v_add_co_ci_u32_e32 v3, vcc_lo, v5, v7, vcc_lo
	v_add_co_ci_u32_e32 v4, vcc_lo, 0, v9, vcc_lo
	s_delay_alu instid0(VALU_DEP_2) | instskip(NEXT) | instid1(VALU_DEP_2)
	v_add_co_u32 v2, vcc_lo, v3, v2
	v_add_co_ci_u32_e32 v3, vcc_lo, 0, v4, vcc_lo
	s_delay_alu instid0(VALU_DEP_2) | instskip(NEXT) | instid1(VALU_DEP_2)
	v_add_co_u32 v4, vcc_lo, v0, v2
	v_add_co_ci_u32_e32 v6, vcc_lo, v1, v3, vcc_lo
	s_delay_alu instid0(VALU_DEP_2) | instskip(SKIP_1) | instid1(VALU_DEP_3)
	v_mul_hi_u32 v7, v11, v4
	v_mad_u64_u32 v[2:3], null, 0, v4, 0
	v_mad_u64_u32 v[0:1], null, v11, v6, 0
	;; [unrolled: 1-line block ×3, first 2 shown]
	s_delay_alu instid0(VALU_DEP_2) | instskip(NEXT) | instid1(VALU_DEP_3)
	v_add_co_u32 v0, vcc_lo, v7, v0
	v_add_co_ci_u32_e32 v1, vcc_lo, 0, v1, vcc_lo
	s_delay_alu instid0(VALU_DEP_2) | instskip(NEXT) | instid1(VALU_DEP_2)
	v_add_co_u32 v0, vcc_lo, v0, v2
	v_add_co_ci_u32_e32 v0, vcc_lo, v1, v3, vcc_lo
	v_add_co_ci_u32_e32 v1, vcc_lo, 0, v5, vcc_lo
	s_delay_alu instid0(VALU_DEP_2) | instskip(NEXT) | instid1(VALU_DEP_2)
	v_add_co_u32 v2, vcc_lo, v0, v4
	v_add_co_ci_u32_e32 v3, vcc_lo, 0, v1, vcc_lo
	s_delay_alu instid0(VALU_DEP_2) | instskip(SKIP_1) | instid1(VALU_DEP_3)
	v_mul_lo_u32 v4, s45, v2
	v_mad_u64_u32 v[0:1], null, s44, v2, 0
	v_mul_lo_u32 v5, s44, v3
	s_delay_alu instid0(VALU_DEP_2) | instskip(NEXT) | instid1(VALU_DEP_2)
	v_sub_co_u32 v0, vcc_lo, v11, v0
	v_add3_u32 v1, v1, v5, v4
	s_delay_alu instid0(VALU_DEP_1) | instskip(NEXT) | instid1(VALU_DEP_1)
	v_sub_nc_u32_e32 v4, 0, v1
	v_subrev_co_ci_u32_e64 v4, s0, s45, v4, vcc_lo
	v_add_co_u32 v5, s0, v2, 2
	s_delay_alu instid0(VALU_DEP_1) | instskip(SKIP_3) | instid1(VALU_DEP_3)
	v_add_co_ci_u32_e64 v6, s0, 0, v3, s0
	v_sub_co_u32 v7, s0, v0, s44
	v_sub_co_ci_u32_e32 v1, vcc_lo, 0, v1, vcc_lo
	v_subrev_co_ci_u32_e64 v4, s0, 0, v4, s0
	v_cmp_le_u32_e32 vcc_lo, s44, v7
	s_delay_alu instid0(VALU_DEP_3) | instskip(SKIP_1) | instid1(VALU_DEP_4)
	v_cmp_eq_u32_e64 s0, s45, v1
	v_cndmask_b32_e64 v7, 0, -1, vcc_lo
	v_cmp_le_u32_e32 vcc_lo, s45, v4
	v_cndmask_b32_e64 v9, 0, -1, vcc_lo
	v_cmp_le_u32_e32 vcc_lo, s44, v0
	;; [unrolled: 2-line block ×3, first 2 shown]
	v_cndmask_b32_e64 v10, 0, -1, vcc_lo
	v_cmp_eq_u32_e32 vcc_lo, s45, v4
	s_delay_alu instid0(VALU_DEP_2) | instskip(SKIP_3) | instid1(VALU_DEP_3)
	v_cndmask_b32_e64 v0, v10, v0, s0
	v_cndmask_b32_e32 v4, v9, v7, vcc_lo
	v_add_co_u32 v7, vcc_lo, v2, 1
	v_add_co_ci_u32_e32 v9, vcc_lo, 0, v3, vcc_lo
	v_cmp_ne_u32_e32 vcc_lo, 0, v4
	s_delay_alu instid0(VALU_DEP_2) | instskip(SKIP_1) | instid1(VALU_DEP_2)
	v_dual_cndmask_b32 v1, v9, v6 :: v_dual_cndmask_b32 v4, v7, v5
	v_cmp_ne_u32_e32 vcc_lo, 0, v0
	v_dual_cndmask_b32 v0, v3, v1 :: v_dual_cndmask_b32 v1, v2, v4
	s_delay_alu instid0(VALU_DEP_1) | instskip(NEXT) | instid1(VALU_DEP_2)
	v_xor_b32_e32 v0, s43, v0
	v_xor_b32_e32 v1, s42, v1
	s_delay_alu instid0(VALU_DEP_1) | instskip(NEXT) | instid1(VALU_DEP_3)
	v_sub_co_u32 v9, vcc_lo, v1, s42
	v_subrev_co_ci_u32_e32 v10, vcc_lo, s43, v0, vcc_lo
.LBB142_5:                              ;   in Loop: Header=BB142_3 Depth=1
	s_and_not1_saveexec_b32 s0, s50
	s_cbranch_execz .LBB142_7
; %bb.6:                                ;   in Loop: Header=BB142_3 Depth=1
	s_sub_i32 s42, 0, s1
	s_delay_alu instid0(SALU_CYCLE_1) | instskip(NEXT) | instid1(VALU_DEP_1)
	v_mul_lo_u32 v0, s42, v12
	v_mul_hi_u32 v0, v12, v0
	s_delay_alu instid0(VALU_DEP_1) | instskip(NEXT) | instid1(VALU_DEP_1)
	v_add_nc_u32_e32 v0, v12, v0
	v_mul_hi_u32 v0, v11, v0
	s_delay_alu instid0(VALU_DEP_1) | instskip(SKIP_1) | instid1(VALU_DEP_2)
	v_mul_lo_u32 v1, v0, s1
	v_add_nc_u32_e32 v2, 1, v0
	v_sub_nc_u32_e32 v1, v11, v1
	s_delay_alu instid0(VALU_DEP_1) | instskip(SKIP_1) | instid1(VALU_DEP_2)
	v_subrev_nc_u32_e32 v3, s1, v1
	v_cmp_le_u32_e32 vcc_lo, s1, v1
	v_dual_cndmask_b32 v1, v1, v3 :: v_dual_cndmask_b32 v0, v0, v2
	s_delay_alu instid0(VALU_DEP_1) | instskip(NEXT) | instid1(VALU_DEP_2)
	v_cmp_le_u32_e32 vcc_lo, s1, v1
	v_add_nc_u32_e32 v2, 1, v0
	s_delay_alu instid0(VALU_DEP_1) | instskip(NEXT) | instid1(VALU_DEP_1)
	v_cndmask_b32_e32 v7, v0, v2, vcc_lo
	v_dual_mov_b32 v10, v8 :: v_dual_mov_b32 v9, v7
.LBB142_7:                              ;   in Loop: Header=BB142_3 Depth=1
	s_or_b32 exec_lo, exec_lo, s0
	s_mov_b32 s42, -1
	s_mov_b32 s0, exec_lo
	s_delay_alu instid0(VALU_DEP_1)
	v_cmpx_gt_i64_e64 s[2:3], v[9:10]
	s_cbranch_execz .LBB142_2
; %bb.8:                                ;   in Loop: Header=BB142_3 Depth=1
	v_mul_lo_u32 v0, v9, s1
	v_mul_lo_u32 v1, v9, s33
	v_lshlrev_b64 v[9:10], 1, v[9:10]
	s_mov_b32 s42, exec_lo
	s_delay_alu instid0(VALU_DEP_1) | instskip(NEXT) | instid1(VALU_DEP_4)
	v_add_co_u32 v9, vcc_lo, s4, v9
	v_sub_nc_u32_e32 v0, v11, v0
	s_delay_alu instid0(VALU_DEP_3) | instskip(NEXT) | instid1(VALU_DEP_2)
	v_add_co_ci_u32_e32 v10, vcc_lo, s5, v10, vcc_lo
	v_lshlrev_b32_e32 v13, 4, v0
	s_delay_alu instid0(VALU_DEP_1)
	v_add_lshl_u32 v0, v1, v13, 1
	v_mul_lo_u32 v14, v13, s2
	s_clause 0x1
	buffer_load_b128 v[4:7], v0, s[8:11], 0 offen
	buffer_load_b128 v[0:3], v0, s[8:11], 16 offen
	v_ashrrev_i32_e32 v15, 31, v14
	s_delay_alu instid0(VALU_DEP_1) | instskip(NEXT) | instid1(VALU_DEP_1)
	v_lshlrev_b64 v[14:15], 1, v[14:15]
	v_add_co_u32 v9, vcc_lo, v9, v14
	s_delay_alu instid0(VALU_DEP_2)
	v_add_co_ci_u32_e32 v10, vcc_lo, v10, v15, vcc_lo
	v_cmpx_gt_i32_e64 s33, v13
	s_cbranch_execz .LBB142_10
; %bb.9:                                ;   in Loop: Header=BB142_3 Depth=1
	s_waitcnt vmcnt(1)
	global_store_b16 v[9:10], v4, off
.LBB142_10:                             ;   in Loop: Header=BB142_3 Depth=1
	s_or_b32 exec_lo, exec_lo, s42
	v_or_b32_e32 v14, 1, v13
	s_mov_b32 s42, exec_lo
	s_delay_alu instid0(VALU_DEP_1)
	v_cmpx_gt_i32_e64 s33, v14
	s_cbranch_execz .LBB142_12
; %bb.11:                               ;   in Loop: Header=BB142_3 Depth=1
	s_lshl_b64 s[44:45], s[2:3], 1
	s_delay_alu instid0(SALU_CYCLE_1)
	v_add_co_u32 v14, vcc_lo, v9, s44
	v_add_co_ci_u32_e32 v15, vcc_lo, s45, v10, vcc_lo
	s_waitcnt vmcnt(1)
	global_store_d16_hi_b16 v[14:15], v4, off
.LBB142_12:                             ;   in Loop: Header=BB142_3 Depth=1
	s_or_b32 exec_lo, exec_lo, s42
	s_waitcnt vmcnt(1)
	v_or_b32_e32 v4, 2, v13
	s_mov_b32 s42, exec_lo
	s_delay_alu instid0(VALU_DEP_1)
	v_cmpx_gt_i32_e64 s33, v4
	s_cbranch_execz .LBB142_14
; %bb.13:                               ;   in Loop: Header=BB142_3 Depth=1
	v_add_co_u32 v14, vcc_lo, v9, s12
	v_add_co_ci_u32_e32 v15, vcc_lo, s13, v10, vcc_lo
	global_store_b16 v[14:15], v5, off
.LBB142_14:                             ;   in Loop: Header=BB142_3 Depth=1
	s_or_b32 exec_lo, exec_lo, s42
	v_or_b32_e32 v4, 3, v13
	s_mov_b32 s42, exec_lo
	s_delay_alu instid0(VALU_DEP_1)
	v_cmpx_gt_i32_e64 s33, v4
	s_cbranch_execz .LBB142_16
; %bb.15:                               ;   in Loop: Header=BB142_3 Depth=1
	v_add_co_u32 v14, vcc_lo, v9, s14
	v_add_co_ci_u32_e32 v15, vcc_lo, s15, v10, vcc_lo
	global_store_d16_hi_b16 v[14:15], v5, off
.LBB142_16:                             ;   in Loop: Header=BB142_3 Depth=1
	s_or_b32 exec_lo, exec_lo, s42
	v_or_b32_e32 v4, 4, v13
	s_mov_b32 s42, exec_lo
	s_delay_alu instid0(VALU_DEP_1)
	v_cmpx_gt_i32_e64 s33, v4
	s_cbranch_execz .LBB142_18
; %bb.17:                               ;   in Loop: Header=BB142_3 Depth=1
	v_add_co_u32 v4, vcc_lo, v9, s16
	v_add_co_ci_u32_e32 v5, vcc_lo, s17, v10, vcc_lo
	global_store_b16 v[4:5], v6, off
.LBB142_18:                             ;   in Loop: Header=BB142_3 Depth=1
	s_or_b32 exec_lo, exec_lo, s42
	v_or_b32_e32 v4, 5, v13
	s_mov_b32 s42, exec_lo
	s_delay_alu instid0(VALU_DEP_1)
	v_cmpx_gt_i32_e64 s33, v4
	s_cbranch_execz .LBB142_20
; %bb.19:                               ;   in Loop: Header=BB142_3 Depth=1
	v_add_co_u32 v4, vcc_lo, v9, s18
	v_add_co_ci_u32_e32 v5, vcc_lo, s19, v10, vcc_lo
	global_store_d16_hi_b16 v[4:5], v6, off
.LBB142_20:                             ;   in Loop: Header=BB142_3 Depth=1
	s_or_b32 exec_lo, exec_lo, s42
	;; [unrolled: 22-line block ×3, first 2 shown]
	v_or_b32_e32 v4, 8, v13
	s_mov_b32 s42, exec_lo
	s_delay_alu instid0(VALU_DEP_1)
	v_cmpx_gt_i32_e64 s33, v4
	s_cbranch_execz .LBB142_26
; %bb.25:                               ;   in Loop: Header=BB142_3 Depth=1
	v_add_co_u32 v4, vcc_lo, v9, s24
	v_add_co_ci_u32_e32 v5, vcc_lo, s25, v10, vcc_lo
	s_waitcnt vmcnt(0)
	global_store_b16 v[4:5], v0, off
.LBB142_26:                             ;   in Loop: Header=BB142_3 Depth=1
	s_or_b32 exec_lo, exec_lo, s42
	v_or_b32_e32 v4, 9, v13
	s_mov_b32 s42, exec_lo
	s_delay_alu instid0(VALU_DEP_1)
	v_cmpx_gt_i32_e64 s33, v4
	s_cbranch_execz .LBB142_28
; %bb.27:                               ;   in Loop: Header=BB142_3 Depth=1
	v_add_co_u32 v4, vcc_lo, v9, s26
	v_add_co_ci_u32_e32 v5, vcc_lo, s27, v10, vcc_lo
	s_waitcnt vmcnt(0)
	global_store_d16_hi_b16 v[4:5], v0, off
.LBB142_28:                             ;   in Loop: Header=BB142_3 Depth=1
	s_or_b32 exec_lo, exec_lo, s42
	s_waitcnt vmcnt(0)
	v_or_b32_e32 v0, 10, v13
	s_mov_b32 s42, exec_lo
	s_delay_alu instid0(VALU_DEP_1)
	v_cmpx_gt_i32_e64 s33, v0
	s_cbranch_execz .LBB142_30
; %bb.29:                               ;   in Loop: Header=BB142_3 Depth=1
	v_add_co_u32 v4, vcc_lo, v9, s28
	v_add_co_ci_u32_e32 v5, vcc_lo, s29, v10, vcc_lo
	global_store_b16 v[4:5], v1, off
.LBB142_30:                             ;   in Loop: Header=BB142_3 Depth=1
	s_or_b32 exec_lo, exec_lo, s42
	v_or_b32_e32 v0, 11, v13
	s_mov_b32 s42, exec_lo
	s_delay_alu instid0(VALU_DEP_1)
	v_cmpx_gt_i32_e64 s33, v0
	s_cbranch_execz .LBB142_32
; %bb.31:                               ;   in Loop: Header=BB142_3 Depth=1
	v_add_co_u32 v4, vcc_lo, v9, s30
	v_add_co_ci_u32_e32 v5, vcc_lo, s31, v10, vcc_lo
	global_store_d16_hi_b16 v[4:5], v1, off
.LBB142_32:                             ;   in Loop: Header=BB142_3 Depth=1
	s_or_b32 exec_lo, exec_lo, s42
	v_or_b32_e32 v0, 12, v13
	s_mov_b32 s42, exec_lo
	s_delay_alu instid0(VALU_DEP_1)
	v_cmpx_gt_i32_e64 s33, v0
	s_cbranch_execz .LBB142_34
; %bb.33:                               ;   in Loop: Header=BB142_3 Depth=1
	v_add_co_u32 v0, vcc_lo, v9, s34
	v_add_co_ci_u32_e32 v1, vcc_lo, s35, v10, vcc_lo
	global_store_b16 v[0:1], v2, off
.LBB142_34:                             ;   in Loop: Header=BB142_3 Depth=1
	s_or_b32 exec_lo, exec_lo, s42
	v_or_b32_e32 v0, 13, v13
	s_mov_b32 s42, exec_lo
	s_delay_alu instid0(VALU_DEP_1)
	v_cmpx_gt_i32_e64 s33, v0
	s_cbranch_execz .LBB142_36
; %bb.35:                               ;   in Loop: Header=BB142_3 Depth=1
	v_add_co_u32 v0, vcc_lo, v9, s36
	v_add_co_ci_u32_e32 v1, vcc_lo, s37, v10, vcc_lo
	global_store_d16_hi_b16 v[0:1], v2, off
.LBB142_36:                             ;   in Loop: Header=BB142_3 Depth=1
	s_or_b32 exec_lo, exec_lo, s42
	v_or_b32_e32 v0, 14, v13
	s_mov_b32 s42, exec_lo
	s_delay_alu instid0(VALU_DEP_1)
	v_cmpx_gt_i32_e64 s33, v0
	s_cbranch_execz .LBB142_38
; %bb.37:                               ;   in Loop: Header=BB142_3 Depth=1
	v_add_co_u32 v0, vcc_lo, v9, s38
	v_add_co_ci_u32_e32 v1, vcc_lo, s39, v10, vcc_lo
	global_store_b16 v[0:1], v3, off
.LBB142_38:                             ;   in Loop: Header=BB142_3 Depth=1
	s_or_b32 exec_lo, exec_lo, s42
	v_or_b32_e32 v0, 15, v13
	s_mov_b32 s42, exec_lo
	s_delay_alu instid0(VALU_DEP_1)
	v_cmpx_gt_i32_e64 s33, v0
	s_cbranch_execz .LBB142_1
; %bb.39:                               ;   in Loop: Header=BB142_3 Depth=1
	v_add_co_u32 v0, vcc_lo, v9, s40
	v_add_co_ci_u32_e32 v1, vcc_lo, s41, v10, vcc_lo
	global_store_d16_hi_b16 v[0:1], v3, off
	s_branch .LBB142_1
.LBB142_40:
	s_nop 0
	s_sendmsg sendmsg(MSG_DEALLOC_VGPRS)
	s_endpgm
	.section	.rodata,"a",@progbits
	.p2align	6, 0x0
	.amdhsa_kernel _ZN5aiter24partial_transpose_kernelItLi256ELi16ELi10000EEEvPT_S2_PKii
		.amdhsa_group_segment_fixed_size 0
		.amdhsa_private_segment_fixed_size 0
		.amdhsa_kernarg_size 288
		.amdhsa_user_sgpr_count 15
		.amdhsa_user_sgpr_dispatch_ptr 0
		.amdhsa_user_sgpr_queue_ptr 0
		.amdhsa_user_sgpr_kernarg_segment_ptr 1
		.amdhsa_user_sgpr_dispatch_id 0
		.amdhsa_user_sgpr_private_segment_size 0
		.amdhsa_wavefront_size32 1
		.amdhsa_uses_dynamic_stack 0
		.amdhsa_enable_private_segment 0
		.amdhsa_system_sgpr_workgroup_id_x 1
		.amdhsa_system_sgpr_workgroup_id_y 0
		.amdhsa_system_sgpr_workgroup_id_z 0
		.amdhsa_system_sgpr_workgroup_info 0
		.amdhsa_system_vgpr_workitem_id 0
		.amdhsa_next_free_vgpr 16
		.amdhsa_next_free_sgpr 52
		.amdhsa_reserve_vcc 1
		.amdhsa_float_round_mode_32 0
		.amdhsa_float_round_mode_16_64 0
		.amdhsa_float_denorm_mode_32 3
		.amdhsa_float_denorm_mode_16_64 3
		.amdhsa_dx10_clamp 1
		.amdhsa_ieee_mode 1
		.amdhsa_fp16_overflow 0
		.amdhsa_workgroup_processor_mode 1
		.amdhsa_memory_ordered 1
		.amdhsa_forward_progress 0
		.amdhsa_shared_vgpr_count 0
		.amdhsa_exception_fp_ieee_invalid_op 0
		.amdhsa_exception_fp_denorm_src 0
		.amdhsa_exception_fp_ieee_div_zero 0
		.amdhsa_exception_fp_ieee_overflow 0
		.amdhsa_exception_fp_ieee_underflow 0
		.amdhsa_exception_fp_ieee_inexact 0
		.amdhsa_exception_int_div_zero 0
	.end_amdhsa_kernel
	.section	.text._ZN5aiter24partial_transpose_kernelItLi256ELi16ELi10000EEEvPT_S2_PKii,"axG",@progbits,_ZN5aiter24partial_transpose_kernelItLi256ELi16ELi10000EEEvPT_S2_PKii,comdat
.Lfunc_end142:
	.size	_ZN5aiter24partial_transpose_kernelItLi256ELi16ELi10000EEEvPT_S2_PKii, .Lfunc_end142-_ZN5aiter24partial_transpose_kernelItLi256ELi16ELi10000EEEvPT_S2_PKii
                                        ; -- End function
	.section	.AMDGPU.csdata,"",@progbits
; Kernel info:
; codeLenInByte = 2284
; NumSgprs: 54
; NumVgprs: 16
; ScratchSize: 0
; MemoryBound: 0
; FloatMode: 240
; IeeeMode: 1
; LDSByteSize: 0 bytes/workgroup (compile time only)
; SGPRBlocks: 6
; VGPRBlocks: 1
; NumSGPRsForWavesPerEU: 54
; NumVGPRsForWavesPerEU: 16
; Occupancy: 16
; WaveLimiterHint : 1
; COMPUTE_PGM_RSRC2:SCRATCH_EN: 0
; COMPUTE_PGM_RSRC2:USER_SGPR: 15
; COMPUTE_PGM_RSRC2:TRAP_HANDLER: 0
; COMPUTE_PGM_RSRC2:TGID_X_EN: 1
; COMPUTE_PGM_RSRC2:TGID_Y_EN: 0
; COMPUTE_PGM_RSRC2:TGID_Z_EN: 0
; COMPUTE_PGM_RSRC2:TIDIG_COMP_CNT: 0
	.section	.text._ZN5aiter24partial_transpose_kernelIfLi512ELi16ELi10000EEEvPT_S2_PKii,"axG",@progbits,_ZN5aiter24partial_transpose_kernelIfLi512ELi16ELi10000EEEvPT_S2_PKii,comdat
	.protected	_ZN5aiter24partial_transpose_kernelIfLi512ELi16ELi10000EEEvPT_S2_PKii ; -- Begin function _ZN5aiter24partial_transpose_kernelIfLi512ELi16ELi10000EEEvPT_S2_PKii
	.globl	_ZN5aiter24partial_transpose_kernelIfLi512ELi16ELi10000EEEvPT_S2_PKii
	.p2align	8
	.type	_ZN5aiter24partial_transpose_kernelIfLi512ELi16ELi10000EEEvPT_S2_PKii,@function
_ZN5aiter24partial_transpose_kernelIfLi512ELi16ELi10000EEEvPT_S2_PKii: ; @_ZN5aiter24partial_transpose_kernelIfLi512ELi16ELi10000EEEvPT_S2_PKii
; %bb.0:
	s_clause 0x2
	s_load_b64 s[2:3], s[0:1], 0x10
	s_load_b32 s33, s[0:1], 0x18
	s_load_b128 s[4:7], s[0:1], 0x0
	v_lshl_add_u32 v19, s15, 9, v0
	v_mov_b32_e32 v16, 0
	s_mov_b32 s11, -1
	s_movk_i32 s48, 0x2710
	s_waitcnt lgkmcnt(0)
	s_load_b32 s2, s[2:3], 0x0
	s_load_b32 s0, s[0:1], 0x20
	s_add_i32 s1, s33, 15
	s_and_b32 s7, s7, 0xffff
	s_ashr_i32 s3, s1, 31
	s_mov_b64 s[8:9], s[6:7]
	s_lshr_b32 s3, s3, 28
	s_delay_alu instid0(SALU_CYCLE_1) | instskip(NEXT) | instid1(SALU_CYCLE_1)
	s_add_i32 s1, s1, s3
	s_ashr_i32 s1, s1, 4
	s_delay_alu instid0(SALU_CYCLE_1) | instskip(SKIP_1) | instid1(SALU_CYCLE_1)
	v_cvt_f32_u32_e32 v0, s1
	s_ashr_i32 s46, s1, 31
	s_mov_b32 s7, s46
	s_delay_alu instid0(VALU_DEP_1)
	v_rcp_iflag_f32_e32 v0, v0
	s_waitcnt lgkmcnt(0)
	s_mul_i32 s6, s33, s2
	s_lshl_b32 s12, s2, 1
	s_mul_i32 s16, s2, 3
	s_lshl_b32 s18, s2, 2
	s_mul_i32 s20, s2, 5
	s_mul_i32 s22, s2, 6
	;; [unrolled: 1-line block ×3, first 2 shown]
	s_waitcnt_depctr 0xfff
	v_mul_f32_e32 v0, 0x4f7ffffe, v0
	s_lshl_b32 s26, s2, 3
	s_mul_i32 s28, s2, 9
	s_mul_i32 s30, s2, 10
	;; [unrolled: 1-line block ×7, first 2 shown]
	v_cvt_u32_f32_e32 v20, v0
	s_lshl_b32 s10, s6, 2
	s_ashr_i32 s13, s12, 31
	s_ashr_i32 s17, s16, 31
	;; [unrolled: 1-line block ×14, first 2 shown]
	s_mov_b32 s6, 0
	s_ashr_i32 s3, s2, 31
	s_lshl_b32 s47, s0, 9
	s_lshl_b64 s[12:13], s[12:13], 2
	s_lshl_b64 s[14:15], s[16:17], 2
	;; [unrolled: 1-line block ×14, first 2 shown]
	s_mov_b32 s49, s6
	s_branch .LBB143_3
.LBB143_1:                              ;   in Loop: Header=BB143_3 Depth=1
	s_or_b32 exec_lo, exec_lo, s42
	s_add_i32 s48, s48, -1
	v_add_nc_u32_e32 v19, s47, v19
	s_cmp_eq_u32 s48, 0
	s_cselect_b32 s42, -1, 0
	s_delay_alu instid0(SALU_CYCLE_1)
	s_or_not1_b32 s42, s42, exec_lo
.LBB143_2:                              ;   in Loop: Header=BB143_3 Depth=1
	s_or_b32 exec_lo, exec_lo, s0
	s_delay_alu instid0(SALU_CYCLE_1) | instskip(NEXT) | instid1(SALU_CYCLE_1)
	s_and_b32 s0, exec_lo, s42
	s_or_b32 s49, s0, s49
	s_delay_alu instid0(SALU_CYCLE_1)
	s_and_not1_b32 exec_lo, exec_lo, s49
	s_cbranch_execz .LBB143_40
.LBB143_3:                              ; =>This Inner Loop Header: Depth=1
	s_cmp_lg_u64 s[6:7], 0
                                        ; implicit-def: $vgpr17_vgpr18
	s_cselect_b32 s0, -1, 0
	s_delay_alu instid0(SALU_CYCLE_1) | instskip(NEXT) | instid1(SALU_CYCLE_1)
	s_and_saveexec_b32 s42, s0
	s_xor_b32 s50, exec_lo, s42
	s_cbranch_execz .LBB143_5
; %bb.4:                                ;   in Loop: Header=BB143_3 Depth=1
	s_add_u32 s44, s1, s46
	s_mov_b32 s42, s46
	s_mov_b32 s43, s46
	s_addc_u32 s45, s46, s46
	s_delay_alu instid0(SALU_CYCLE_1) | instskip(NEXT) | instid1(SALU_CYCLE_1)
	s_xor_b64 s[44:45], s[44:45], s[42:43]
	v_cvt_f32_u32_e32 v0, s44
	v_cvt_f32_u32_e32 v1, s45
	s_sub_u32 s0, 0, s44
	s_subb_u32 s51, 0, s45
	s_delay_alu instid0(VALU_DEP_1) | instskip(NEXT) | instid1(VALU_DEP_1)
	v_fmac_f32_e32 v0, 0x4f800000, v1
	v_rcp_f32_e32 v0, v0
	s_waitcnt_depctr 0xfff
	v_mul_f32_e32 v0, 0x5f7ffffc, v0
	s_delay_alu instid0(VALU_DEP_1) | instskip(NEXT) | instid1(VALU_DEP_1)
	v_mul_f32_e32 v1, 0x2f800000, v0
	v_trunc_f32_e32 v1, v1
	s_delay_alu instid0(VALU_DEP_1) | instskip(SKIP_1) | instid1(VALU_DEP_2)
	v_fmac_f32_e32 v0, 0xcf800000, v1
	v_cvt_u32_f32_e32 v1, v1
	v_cvt_u32_f32_e32 v0, v0
	s_delay_alu instid0(VALU_DEP_2) | instskip(NEXT) | instid1(VALU_DEP_2)
	v_mul_lo_u32 v2, s0, v1
	v_mul_hi_u32 v3, s0, v0
	v_mul_lo_u32 v4, s51, v0
	s_delay_alu instid0(VALU_DEP_2) | instskip(SKIP_1) | instid1(VALU_DEP_2)
	v_add_nc_u32_e32 v2, v3, v2
	v_mul_lo_u32 v3, s0, v0
	v_add_nc_u32_e32 v2, v2, v4
	s_delay_alu instid0(VALU_DEP_2) | instskip(NEXT) | instid1(VALU_DEP_2)
	v_mul_hi_u32 v4, v0, v3
	v_mul_lo_u32 v5, v0, v2
	v_mul_hi_u32 v6, v0, v2
	v_mul_hi_u32 v7, v1, v3
	v_mul_lo_u32 v3, v1, v3
	v_mul_hi_u32 v8, v1, v2
	v_mul_lo_u32 v2, v1, v2
	v_add_co_u32 v4, vcc_lo, v4, v5
	v_add_co_ci_u32_e32 v5, vcc_lo, 0, v6, vcc_lo
	s_delay_alu instid0(VALU_DEP_2) | instskip(NEXT) | instid1(VALU_DEP_2)
	v_add_co_u32 v3, vcc_lo, v4, v3
	v_add_co_ci_u32_e32 v3, vcc_lo, v5, v7, vcc_lo
	v_add_co_ci_u32_e32 v4, vcc_lo, 0, v8, vcc_lo
	s_delay_alu instid0(VALU_DEP_2) | instskip(NEXT) | instid1(VALU_DEP_2)
	v_add_co_u32 v2, vcc_lo, v3, v2
	v_add_co_ci_u32_e32 v3, vcc_lo, 0, v4, vcc_lo
	s_delay_alu instid0(VALU_DEP_2) | instskip(NEXT) | instid1(VALU_DEP_2)
	v_add_co_u32 v0, vcc_lo, v0, v2
	v_add_co_ci_u32_e32 v1, vcc_lo, v1, v3, vcc_lo
	s_delay_alu instid0(VALU_DEP_2) | instskip(SKIP_1) | instid1(VALU_DEP_3)
	v_mul_hi_u32 v2, s0, v0
	v_mul_lo_u32 v4, s51, v0
	v_mul_lo_u32 v3, s0, v1
	s_delay_alu instid0(VALU_DEP_1) | instskip(SKIP_1) | instid1(VALU_DEP_2)
	v_add_nc_u32_e32 v2, v2, v3
	v_mul_lo_u32 v3, s0, v0
	v_add_nc_u32_e32 v2, v2, v4
	s_delay_alu instid0(VALU_DEP_2) | instskip(NEXT) | instid1(VALU_DEP_2)
	v_mul_hi_u32 v4, v0, v3
	v_mul_lo_u32 v5, v0, v2
	v_mul_hi_u32 v6, v0, v2
	v_mul_hi_u32 v7, v1, v3
	v_mul_lo_u32 v3, v1, v3
	v_mul_hi_u32 v8, v1, v2
	v_mul_lo_u32 v2, v1, v2
	v_add_co_u32 v4, vcc_lo, v4, v5
	v_add_co_ci_u32_e32 v5, vcc_lo, 0, v6, vcc_lo
	s_delay_alu instid0(VALU_DEP_2) | instskip(NEXT) | instid1(VALU_DEP_2)
	v_add_co_u32 v3, vcc_lo, v4, v3
	v_add_co_ci_u32_e32 v3, vcc_lo, v5, v7, vcc_lo
	v_add_co_ci_u32_e32 v4, vcc_lo, 0, v8, vcc_lo
	s_delay_alu instid0(VALU_DEP_2) | instskip(NEXT) | instid1(VALU_DEP_2)
	v_add_co_u32 v2, vcc_lo, v3, v2
	v_add_co_ci_u32_e32 v3, vcc_lo, 0, v4, vcc_lo
	s_delay_alu instid0(VALU_DEP_2) | instskip(NEXT) | instid1(VALU_DEP_2)
	v_add_co_u32 v4, vcc_lo, v0, v2
	v_add_co_ci_u32_e32 v6, vcc_lo, v1, v3, vcc_lo
	s_delay_alu instid0(VALU_DEP_2) | instskip(SKIP_1) | instid1(VALU_DEP_3)
	v_mul_hi_u32 v7, v19, v4
	v_mad_u64_u32 v[2:3], null, 0, v4, 0
	v_mad_u64_u32 v[0:1], null, v19, v6, 0
	;; [unrolled: 1-line block ×3, first 2 shown]
	s_delay_alu instid0(VALU_DEP_2) | instskip(NEXT) | instid1(VALU_DEP_3)
	v_add_co_u32 v0, vcc_lo, v7, v0
	v_add_co_ci_u32_e32 v1, vcc_lo, 0, v1, vcc_lo
	s_delay_alu instid0(VALU_DEP_2) | instskip(NEXT) | instid1(VALU_DEP_2)
	v_add_co_u32 v0, vcc_lo, v0, v2
	v_add_co_ci_u32_e32 v0, vcc_lo, v1, v3, vcc_lo
	v_add_co_ci_u32_e32 v1, vcc_lo, 0, v5, vcc_lo
	s_delay_alu instid0(VALU_DEP_2) | instskip(NEXT) | instid1(VALU_DEP_2)
	v_add_co_u32 v2, vcc_lo, v0, v4
	v_add_co_ci_u32_e32 v3, vcc_lo, 0, v1, vcc_lo
	s_delay_alu instid0(VALU_DEP_2) | instskip(SKIP_1) | instid1(VALU_DEP_3)
	v_mul_lo_u32 v4, s45, v2
	v_mad_u64_u32 v[0:1], null, s44, v2, 0
	v_mul_lo_u32 v5, s44, v3
	s_delay_alu instid0(VALU_DEP_2) | instskip(NEXT) | instid1(VALU_DEP_2)
	v_sub_co_u32 v0, vcc_lo, v19, v0
	v_add3_u32 v1, v1, v5, v4
	s_delay_alu instid0(VALU_DEP_1) | instskip(NEXT) | instid1(VALU_DEP_1)
	v_sub_nc_u32_e32 v4, 0, v1
	v_subrev_co_ci_u32_e64 v4, s0, s45, v4, vcc_lo
	v_add_co_u32 v5, s0, v2, 2
	s_delay_alu instid0(VALU_DEP_1) | instskip(SKIP_3) | instid1(VALU_DEP_3)
	v_add_co_ci_u32_e64 v6, s0, 0, v3, s0
	v_sub_co_u32 v7, s0, v0, s44
	v_sub_co_ci_u32_e32 v1, vcc_lo, 0, v1, vcc_lo
	v_subrev_co_ci_u32_e64 v4, s0, 0, v4, s0
	v_cmp_le_u32_e32 vcc_lo, s44, v7
	s_delay_alu instid0(VALU_DEP_3) | instskip(SKIP_1) | instid1(VALU_DEP_4)
	v_cmp_eq_u32_e64 s0, s45, v1
	v_cndmask_b32_e64 v7, 0, -1, vcc_lo
	v_cmp_le_u32_e32 vcc_lo, s45, v4
	v_cndmask_b32_e64 v8, 0, -1, vcc_lo
	v_cmp_le_u32_e32 vcc_lo, s44, v0
	;; [unrolled: 2-line block ×3, first 2 shown]
	v_cndmask_b32_e64 v9, 0, -1, vcc_lo
	v_cmp_eq_u32_e32 vcc_lo, s45, v4
	s_delay_alu instid0(VALU_DEP_2) | instskip(SKIP_3) | instid1(VALU_DEP_3)
	v_cndmask_b32_e64 v0, v9, v0, s0
	v_cndmask_b32_e32 v4, v8, v7, vcc_lo
	v_add_co_u32 v7, vcc_lo, v2, 1
	v_add_co_ci_u32_e32 v8, vcc_lo, 0, v3, vcc_lo
	v_cmp_ne_u32_e32 vcc_lo, 0, v4
	s_delay_alu instid0(VALU_DEP_2) | instskip(SKIP_1) | instid1(VALU_DEP_2)
	v_dual_cndmask_b32 v1, v8, v6 :: v_dual_cndmask_b32 v4, v7, v5
	v_cmp_ne_u32_e32 vcc_lo, 0, v0
	v_dual_cndmask_b32 v0, v3, v1 :: v_dual_cndmask_b32 v1, v2, v4
	s_delay_alu instid0(VALU_DEP_1) | instskip(NEXT) | instid1(VALU_DEP_2)
	v_xor_b32_e32 v0, s43, v0
	v_xor_b32_e32 v1, s42, v1
	s_delay_alu instid0(VALU_DEP_1) | instskip(NEXT) | instid1(VALU_DEP_3)
	v_sub_co_u32 v17, vcc_lo, v1, s42
	v_subrev_co_ci_u32_e32 v18, vcc_lo, s43, v0, vcc_lo
.LBB143_5:                              ;   in Loop: Header=BB143_3 Depth=1
	s_and_not1_saveexec_b32 s0, s50
	s_cbranch_execz .LBB143_7
; %bb.6:                                ;   in Loop: Header=BB143_3 Depth=1
	s_sub_i32 s42, 0, s1
	s_delay_alu instid0(SALU_CYCLE_1) | instskip(NEXT) | instid1(VALU_DEP_1)
	v_mul_lo_u32 v0, s42, v20
	v_mul_hi_u32 v0, v20, v0
	s_delay_alu instid0(VALU_DEP_1) | instskip(NEXT) | instid1(VALU_DEP_1)
	v_add_nc_u32_e32 v0, v20, v0
	v_mul_hi_u32 v0, v19, v0
	s_delay_alu instid0(VALU_DEP_1) | instskip(SKIP_1) | instid1(VALU_DEP_2)
	v_mul_lo_u32 v1, v0, s1
	v_add_nc_u32_e32 v2, 1, v0
	v_sub_nc_u32_e32 v1, v19, v1
	s_delay_alu instid0(VALU_DEP_1) | instskip(SKIP_1) | instid1(VALU_DEP_2)
	v_subrev_nc_u32_e32 v3, s1, v1
	v_cmp_le_u32_e32 vcc_lo, s1, v1
	v_dual_cndmask_b32 v1, v1, v3 :: v_dual_cndmask_b32 v0, v0, v2
	s_delay_alu instid0(VALU_DEP_1) | instskip(NEXT) | instid1(VALU_DEP_2)
	v_cmp_le_u32_e32 vcc_lo, s1, v1
	v_add_nc_u32_e32 v2, 1, v0
	s_delay_alu instid0(VALU_DEP_1) | instskip(NEXT) | instid1(VALU_DEP_1)
	v_cndmask_b32_e32 v15, v0, v2, vcc_lo
	v_dual_mov_b32 v18, v16 :: v_dual_mov_b32 v17, v15
.LBB143_7:                              ;   in Loop: Header=BB143_3 Depth=1
	s_or_b32 exec_lo, exec_lo, s0
	s_mov_b32 s42, -1
	s_mov_b32 s0, exec_lo
	s_delay_alu instid0(VALU_DEP_1)
	v_cmpx_gt_i64_e64 s[2:3], v[17:18]
	s_cbranch_execz .LBB143_2
; %bb.8:                                ;   in Loop: Header=BB143_3 Depth=1
	v_mul_lo_u32 v0, v17, s1
	v_mul_lo_u32 v1, v17, s33
	v_lshlrev_b64 v[17:18], 2, v[17:18]
	s_mov_b32 s42, exec_lo
	s_delay_alu instid0(VALU_DEP_1) | instskip(NEXT) | instid1(VALU_DEP_4)
	v_add_co_u32 v17, vcc_lo, s4, v17
	v_sub_nc_u32_e32 v0, v19, v0
	s_delay_alu instid0(VALU_DEP_3) | instskip(NEXT) | instid1(VALU_DEP_2)
	v_add_co_ci_u32_e32 v18, vcc_lo, s5, v18, vcc_lo
	v_lshlrev_b32_e32 v21, 4, v0
	s_delay_alu instid0(VALU_DEP_1)
	v_add_lshl_u32 v0, v1, v21, 2
	v_mul_lo_u32 v22, v21, s2
	s_clause 0x3
	buffer_load_b128 v[12:15], v0, s[8:11], 0 offen
	buffer_load_b128 v[8:11], v0, s[8:11], 16 offen
	;; [unrolled: 1-line block ×4, first 2 shown]
	v_ashrrev_i32_e32 v23, 31, v22
	s_delay_alu instid0(VALU_DEP_1) | instskip(NEXT) | instid1(VALU_DEP_1)
	v_lshlrev_b64 v[22:23], 2, v[22:23]
	v_add_co_u32 v17, vcc_lo, v17, v22
	s_delay_alu instid0(VALU_DEP_2)
	v_add_co_ci_u32_e32 v18, vcc_lo, v18, v23, vcc_lo
	v_cmpx_gt_i32_e64 s33, v21
	s_cbranch_execz .LBB143_10
; %bb.9:                                ;   in Loop: Header=BB143_3 Depth=1
	s_waitcnt vmcnt(3)
	global_store_b32 v[17:18], v12, off
.LBB143_10:                             ;   in Loop: Header=BB143_3 Depth=1
	s_or_b32 exec_lo, exec_lo, s42
	s_waitcnt vmcnt(3)
	v_or_b32_e32 v12, 1, v21
	s_mov_b32 s42, exec_lo
	s_delay_alu instid0(VALU_DEP_1)
	v_cmpx_gt_i32_e64 s33, v12
	s_cbranch_execz .LBB143_12
; %bb.11:                               ;   in Loop: Header=BB143_3 Depth=1
	s_lshl_b64 s[44:45], s[2:3], 2
	s_delay_alu instid0(SALU_CYCLE_1)
	v_add_co_u32 v22, vcc_lo, v17, s44
	v_add_co_ci_u32_e32 v23, vcc_lo, s45, v18, vcc_lo
	global_store_b32 v[22:23], v13, off
.LBB143_12:                             ;   in Loop: Header=BB143_3 Depth=1
	s_or_b32 exec_lo, exec_lo, s42
	v_or_b32_e32 v12, 2, v21
	s_mov_b32 s42, exec_lo
	s_delay_alu instid0(VALU_DEP_1)
	v_cmpx_gt_i32_e64 s33, v12
	s_cbranch_execz .LBB143_14
; %bb.13:                               ;   in Loop: Header=BB143_3 Depth=1
	v_add_co_u32 v12, vcc_lo, v17, s12
	v_add_co_ci_u32_e32 v13, vcc_lo, s13, v18, vcc_lo
	global_store_b32 v[12:13], v14, off
.LBB143_14:                             ;   in Loop: Header=BB143_3 Depth=1
	s_or_b32 exec_lo, exec_lo, s42
	v_or_b32_e32 v12, 3, v21
	s_mov_b32 s42, exec_lo
	s_delay_alu instid0(VALU_DEP_1)
	v_cmpx_gt_i32_e64 s33, v12
	s_cbranch_execz .LBB143_16
; %bb.15:                               ;   in Loop: Header=BB143_3 Depth=1
	v_add_co_u32 v12, vcc_lo, v17, s14
	v_add_co_ci_u32_e32 v13, vcc_lo, s15, v18, vcc_lo
	global_store_b32 v[12:13], v15, off
.LBB143_16:                             ;   in Loop: Header=BB143_3 Depth=1
	s_or_b32 exec_lo, exec_lo, s42
	v_or_b32_e32 v12, 4, v21
	s_mov_b32 s42, exec_lo
	s_delay_alu instid0(VALU_DEP_1)
	v_cmpx_gt_i32_e64 s33, v12
	s_cbranch_execz .LBB143_18
; %bb.17:                               ;   in Loop: Header=BB143_3 Depth=1
	v_add_co_u32 v12, vcc_lo, v17, s16
	v_add_co_ci_u32_e32 v13, vcc_lo, s17, v18, vcc_lo
	s_waitcnt vmcnt(2)
	global_store_b32 v[12:13], v8, off
.LBB143_18:                             ;   in Loop: Header=BB143_3 Depth=1
	s_or_b32 exec_lo, exec_lo, s42
	s_waitcnt vmcnt(2)
	v_or_b32_e32 v8, 5, v21
	s_mov_b32 s42, exec_lo
	s_delay_alu instid0(VALU_DEP_1)
	v_cmpx_gt_i32_e64 s33, v8
	s_cbranch_execz .LBB143_20
; %bb.19:                               ;   in Loop: Header=BB143_3 Depth=1
	v_add_co_u32 v12, vcc_lo, v17, s18
	v_add_co_ci_u32_e32 v13, vcc_lo, s19, v18, vcc_lo
	global_store_b32 v[12:13], v9, off
.LBB143_20:                             ;   in Loop: Header=BB143_3 Depth=1
	s_or_b32 exec_lo, exec_lo, s42
	v_or_b32_e32 v8, 6, v21
	s_mov_b32 s42, exec_lo
	s_delay_alu instid0(VALU_DEP_1)
	v_cmpx_gt_i32_e64 s33, v8
	s_cbranch_execz .LBB143_22
; %bb.21:                               ;   in Loop: Header=BB143_3 Depth=1
	v_add_co_u32 v8, vcc_lo, v17, s20
	v_add_co_ci_u32_e32 v9, vcc_lo, s21, v18, vcc_lo
	global_store_b32 v[8:9], v10, off
.LBB143_22:                             ;   in Loop: Header=BB143_3 Depth=1
	s_or_b32 exec_lo, exec_lo, s42
	v_or_b32_e32 v8, 7, v21
	s_mov_b32 s42, exec_lo
	s_delay_alu instid0(VALU_DEP_1)
	v_cmpx_gt_i32_e64 s33, v8
	s_cbranch_execz .LBB143_24
; %bb.23:                               ;   in Loop: Header=BB143_3 Depth=1
	v_add_co_u32 v8, vcc_lo, v17, s22
	v_add_co_ci_u32_e32 v9, vcc_lo, s23, v18, vcc_lo
	global_store_b32 v[8:9], v11, off
.LBB143_24:                             ;   in Loop: Header=BB143_3 Depth=1
	s_or_b32 exec_lo, exec_lo, s42
	v_or_b32_e32 v8, 8, v21
	s_mov_b32 s42, exec_lo
	s_delay_alu instid0(VALU_DEP_1)
	v_cmpx_gt_i32_e64 s33, v8
	s_cbranch_execz .LBB143_26
; %bb.25:                               ;   in Loop: Header=BB143_3 Depth=1
	v_add_co_u32 v8, vcc_lo, v17, s24
	v_add_co_ci_u32_e32 v9, vcc_lo, s25, v18, vcc_lo
	s_waitcnt vmcnt(1)
	global_store_b32 v[8:9], v4, off
.LBB143_26:                             ;   in Loop: Header=BB143_3 Depth=1
	s_or_b32 exec_lo, exec_lo, s42
	s_waitcnt vmcnt(1)
	v_or_b32_e32 v4, 9, v21
	s_mov_b32 s42, exec_lo
	s_delay_alu instid0(VALU_DEP_1)
	v_cmpx_gt_i32_e64 s33, v4
	s_cbranch_execz .LBB143_28
; %bb.27:                               ;   in Loop: Header=BB143_3 Depth=1
	v_add_co_u32 v8, vcc_lo, v17, s26
	v_add_co_ci_u32_e32 v9, vcc_lo, s27, v18, vcc_lo
	global_store_b32 v[8:9], v5, off
.LBB143_28:                             ;   in Loop: Header=BB143_3 Depth=1
	;; [unrolled: 46-line block ×3, first 2 shown]
	s_or_b32 exec_lo, exec_lo, s42
	v_or_b32_e32 v0, 14, v21
	s_mov_b32 s42, exec_lo
	s_delay_alu instid0(VALU_DEP_1)
	v_cmpx_gt_i32_e64 s33, v0
	s_cbranch_execz .LBB143_38
; %bb.37:                               ;   in Loop: Header=BB143_3 Depth=1
	v_add_co_u32 v0, vcc_lo, v17, s38
	v_add_co_ci_u32_e32 v1, vcc_lo, s39, v18, vcc_lo
	global_store_b32 v[0:1], v2, off
.LBB143_38:                             ;   in Loop: Header=BB143_3 Depth=1
	s_or_b32 exec_lo, exec_lo, s42
	v_or_b32_e32 v0, 15, v21
	s_mov_b32 s42, exec_lo
	s_delay_alu instid0(VALU_DEP_1)
	v_cmpx_gt_i32_e64 s33, v0
	s_cbranch_execz .LBB143_1
; %bb.39:                               ;   in Loop: Header=BB143_3 Depth=1
	v_add_co_u32 v0, vcc_lo, v17, s40
	v_add_co_ci_u32_e32 v1, vcc_lo, s41, v18, vcc_lo
	global_store_b32 v[0:1], v3, off
	s_branch .LBB143_1
.LBB143_40:
	s_nop 0
	s_sendmsg sendmsg(MSG_DEALLOC_VGPRS)
	s_endpgm
	.section	.rodata,"a",@progbits
	.p2align	6, 0x0
	.amdhsa_kernel _ZN5aiter24partial_transpose_kernelIfLi512ELi16ELi10000EEEvPT_S2_PKii
		.amdhsa_group_segment_fixed_size 0
		.amdhsa_private_segment_fixed_size 0
		.amdhsa_kernarg_size 288
		.amdhsa_user_sgpr_count 15
		.amdhsa_user_sgpr_dispatch_ptr 0
		.amdhsa_user_sgpr_queue_ptr 0
		.amdhsa_user_sgpr_kernarg_segment_ptr 1
		.amdhsa_user_sgpr_dispatch_id 0
		.amdhsa_user_sgpr_private_segment_size 0
		.amdhsa_wavefront_size32 1
		.amdhsa_uses_dynamic_stack 0
		.amdhsa_enable_private_segment 0
		.amdhsa_system_sgpr_workgroup_id_x 1
		.amdhsa_system_sgpr_workgroup_id_y 0
		.amdhsa_system_sgpr_workgroup_id_z 0
		.amdhsa_system_sgpr_workgroup_info 0
		.amdhsa_system_vgpr_workitem_id 0
		.amdhsa_next_free_vgpr 24
		.amdhsa_next_free_sgpr 52
		.amdhsa_reserve_vcc 1
		.amdhsa_float_round_mode_32 0
		.amdhsa_float_round_mode_16_64 0
		.amdhsa_float_denorm_mode_32 3
		.amdhsa_float_denorm_mode_16_64 3
		.amdhsa_dx10_clamp 1
		.amdhsa_ieee_mode 1
		.amdhsa_fp16_overflow 0
		.amdhsa_workgroup_processor_mode 1
		.amdhsa_memory_ordered 1
		.amdhsa_forward_progress 0
		.amdhsa_shared_vgpr_count 0
		.amdhsa_exception_fp_ieee_invalid_op 0
		.amdhsa_exception_fp_denorm_src 0
		.amdhsa_exception_fp_ieee_div_zero 0
		.amdhsa_exception_fp_ieee_overflow 0
		.amdhsa_exception_fp_ieee_underflow 0
		.amdhsa_exception_fp_ieee_inexact 0
		.amdhsa_exception_int_div_zero 0
	.end_amdhsa_kernel
	.section	.text._ZN5aiter24partial_transpose_kernelIfLi512ELi16ELi10000EEEvPT_S2_PKii,"axG",@progbits,_ZN5aiter24partial_transpose_kernelIfLi512ELi16ELi10000EEEvPT_S2_PKii,comdat
.Lfunc_end143:
	.size	_ZN5aiter24partial_transpose_kernelIfLi512ELi16ELi10000EEEvPT_S2_PKii, .Lfunc_end143-_ZN5aiter24partial_transpose_kernelIfLi512ELi16ELi10000EEEvPT_S2_PKii
                                        ; -- End function
	.section	.AMDGPU.csdata,"",@progbits
; Kernel info:
; codeLenInByte = 2296
; NumSgprs: 54
; NumVgprs: 24
; ScratchSize: 0
; MemoryBound: 0
; FloatMode: 240
; IeeeMode: 1
; LDSByteSize: 0 bytes/workgroup (compile time only)
; SGPRBlocks: 6
; VGPRBlocks: 2
; NumSGPRsForWavesPerEU: 54
; NumVGPRsForWavesPerEU: 24
; Occupancy: 16
; WaveLimiterHint : 1
; COMPUTE_PGM_RSRC2:SCRATCH_EN: 0
; COMPUTE_PGM_RSRC2:USER_SGPR: 15
; COMPUTE_PGM_RSRC2:TRAP_HANDLER: 0
; COMPUTE_PGM_RSRC2:TGID_X_EN: 1
; COMPUTE_PGM_RSRC2:TGID_Y_EN: 0
; COMPUTE_PGM_RSRC2:TGID_Z_EN: 0
; COMPUTE_PGM_RSRC2:TIDIG_COMP_CNT: 0
	.section	.text._ZN5aiter24partial_transpose_kernelIDF16_Li512ELi16ELi10000EEEvPT_S2_PKii,"axG",@progbits,_ZN5aiter24partial_transpose_kernelIDF16_Li512ELi16ELi10000EEEvPT_S2_PKii,comdat
	.protected	_ZN5aiter24partial_transpose_kernelIDF16_Li512ELi16ELi10000EEEvPT_S2_PKii ; -- Begin function _ZN5aiter24partial_transpose_kernelIDF16_Li512ELi16ELi10000EEEvPT_S2_PKii
	.globl	_ZN5aiter24partial_transpose_kernelIDF16_Li512ELi16ELi10000EEEvPT_S2_PKii
	.p2align	8
	.type	_ZN5aiter24partial_transpose_kernelIDF16_Li512ELi16ELi10000EEEvPT_S2_PKii,@function
_ZN5aiter24partial_transpose_kernelIDF16_Li512ELi16ELi10000EEEvPT_S2_PKii: ; @_ZN5aiter24partial_transpose_kernelIDF16_Li512ELi16ELi10000EEEvPT_S2_PKii
; %bb.0:
	s_clause 0x2
	s_load_b64 s[2:3], s[0:1], 0x10
	s_load_b32 s33, s[0:1], 0x18
	s_load_b128 s[4:7], s[0:1], 0x0
	v_lshl_add_u32 v11, s15, 9, v0
	v_mov_b32_e32 v8, 0
	s_mov_b32 s11, -1
	s_movk_i32 s48, 0x2710
	s_waitcnt lgkmcnt(0)
	s_load_b32 s2, s[2:3], 0x0
	s_load_b32 s0, s[0:1], 0x20
	s_add_i32 s1, s33, 15
	s_and_b32 s7, s7, 0xffff
	s_ashr_i32 s3, s1, 31
	s_mov_b64 s[8:9], s[6:7]
	s_lshr_b32 s3, s3, 28
	s_delay_alu instid0(SALU_CYCLE_1) | instskip(NEXT) | instid1(SALU_CYCLE_1)
	s_add_i32 s1, s1, s3
	s_ashr_i32 s1, s1, 4
	s_delay_alu instid0(SALU_CYCLE_1) | instskip(SKIP_1) | instid1(VALU_DEP_1)
	v_cvt_f32_u32_e32 v0, s1
	s_ashr_i32 s46, s1, 31
	v_rcp_iflag_f32_e32 v0, v0
	s_waitcnt lgkmcnt(0)
	s_mul_i32 s6, s2, s33
	s_lshl_b32 s12, s2, 1
	s_add_i32 s6, s6, 1
	s_mul_i32 s14, s2, 3
	s_lshr_b32 s7, s6, 31
	s_lshl_b32 s16, s2, 2
	s_add_i32 s6, s6, s7
	s_waitcnt_depctr 0xfff
	v_mul_f32_e32 v0, 0x4f7ffffe, v0
	s_mul_i32 s18, s2, 5
	s_mul_i32 s20, s2, 6
	;; [unrolled: 1-line block ×3, first 2 shown]
	s_lshl_b32 s24, s2, 3
	s_mul_i32 s26, s2, 9
	s_mul_i32 s28, s2, 10
	;; [unrolled: 1-line block ×7, first 2 shown]
	s_lshl_b32 s6, s6, 1
	v_cvt_u32_f32_e32 v12, v0
	s_ashr_i32 s13, s12, 31
	s_ashr_i32 s15, s14, 31
	;; [unrolled: 1-line block ×14, first 2 shown]
	s_and_b32 s10, s6, -4
	s_mov_b32 s6, 0
	s_ashr_i32 s3, s2, 31
	s_lshl_b32 s47, s0, 9
	s_mov_b32 s7, s46
	s_lshl_b64 s[12:13], s[12:13], 1
	s_lshl_b64 s[14:15], s[14:15], 1
	;; [unrolled: 1-line block ×14, first 2 shown]
	s_mov_b32 s49, s6
	s_branch .LBB144_3
.LBB144_1:                              ;   in Loop: Header=BB144_3 Depth=1
	s_or_b32 exec_lo, exec_lo, s42
	s_add_i32 s48, s48, -1
	v_add_nc_u32_e32 v11, s47, v11
	s_cmp_eq_u32 s48, 0
	s_cselect_b32 s42, -1, 0
	s_delay_alu instid0(SALU_CYCLE_1)
	s_or_not1_b32 s42, s42, exec_lo
.LBB144_2:                              ;   in Loop: Header=BB144_3 Depth=1
	s_or_b32 exec_lo, exec_lo, s0
	s_delay_alu instid0(SALU_CYCLE_1) | instskip(NEXT) | instid1(SALU_CYCLE_1)
	s_and_b32 s0, exec_lo, s42
	s_or_b32 s49, s0, s49
	s_delay_alu instid0(SALU_CYCLE_1)
	s_and_not1_b32 exec_lo, exec_lo, s49
	s_cbranch_execz .LBB144_40
.LBB144_3:                              ; =>This Inner Loop Header: Depth=1
	s_cmp_lg_u64 s[6:7], 0
                                        ; implicit-def: $vgpr9_vgpr10
	s_cselect_b32 s0, -1, 0
	s_delay_alu instid0(SALU_CYCLE_1) | instskip(NEXT) | instid1(SALU_CYCLE_1)
	s_and_saveexec_b32 s42, s0
	s_xor_b32 s50, exec_lo, s42
	s_cbranch_execz .LBB144_5
; %bb.4:                                ;   in Loop: Header=BB144_3 Depth=1
	s_add_u32 s44, s1, s46
	s_mov_b32 s42, s46
	s_mov_b32 s43, s46
	s_addc_u32 s45, s46, s46
	s_delay_alu instid0(SALU_CYCLE_1) | instskip(NEXT) | instid1(SALU_CYCLE_1)
	s_xor_b64 s[44:45], s[44:45], s[42:43]
	v_cvt_f32_u32_e32 v0, s44
	v_cvt_f32_u32_e32 v1, s45
	s_sub_u32 s0, 0, s44
	s_subb_u32 s51, 0, s45
	s_delay_alu instid0(VALU_DEP_1) | instskip(NEXT) | instid1(VALU_DEP_1)
	v_fmac_f32_e32 v0, 0x4f800000, v1
	v_rcp_f32_e32 v0, v0
	s_waitcnt_depctr 0xfff
	v_mul_f32_e32 v0, 0x5f7ffffc, v0
	s_delay_alu instid0(VALU_DEP_1) | instskip(NEXT) | instid1(VALU_DEP_1)
	v_mul_f32_e32 v1, 0x2f800000, v0
	v_trunc_f32_e32 v1, v1
	s_delay_alu instid0(VALU_DEP_1) | instskip(SKIP_1) | instid1(VALU_DEP_2)
	v_fmac_f32_e32 v0, 0xcf800000, v1
	v_cvt_u32_f32_e32 v1, v1
	v_cvt_u32_f32_e32 v0, v0
	s_delay_alu instid0(VALU_DEP_2) | instskip(NEXT) | instid1(VALU_DEP_2)
	v_mul_lo_u32 v2, s0, v1
	v_mul_hi_u32 v3, s0, v0
	v_mul_lo_u32 v4, s51, v0
	s_delay_alu instid0(VALU_DEP_2) | instskip(SKIP_1) | instid1(VALU_DEP_2)
	v_add_nc_u32_e32 v2, v3, v2
	v_mul_lo_u32 v3, s0, v0
	v_add_nc_u32_e32 v2, v2, v4
	s_delay_alu instid0(VALU_DEP_2) | instskip(NEXT) | instid1(VALU_DEP_2)
	v_mul_hi_u32 v4, v0, v3
	v_mul_lo_u32 v5, v0, v2
	v_mul_hi_u32 v6, v0, v2
	v_mul_hi_u32 v7, v1, v3
	v_mul_lo_u32 v3, v1, v3
	v_mul_hi_u32 v9, v1, v2
	v_mul_lo_u32 v2, v1, v2
	v_add_co_u32 v4, vcc_lo, v4, v5
	v_add_co_ci_u32_e32 v5, vcc_lo, 0, v6, vcc_lo
	s_delay_alu instid0(VALU_DEP_2) | instskip(NEXT) | instid1(VALU_DEP_2)
	v_add_co_u32 v3, vcc_lo, v4, v3
	v_add_co_ci_u32_e32 v3, vcc_lo, v5, v7, vcc_lo
	v_add_co_ci_u32_e32 v4, vcc_lo, 0, v9, vcc_lo
	s_delay_alu instid0(VALU_DEP_2) | instskip(NEXT) | instid1(VALU_DEP_2)
	v_add_co_u32 v2, vcc_lo, v3, v2
	v_add_co_ci_u32_e32 v3, vcc_lo, 0, v4, vcc_lo
	s_delay_alu instid0(VALU_DEP_2) | instskip(NEXT) | instid1(VALU_DEP_2)
	v_add_co_u32 v0, vcc_lo, v0, v2
	v_add_co_ci_u32_e32 v1, vcc_lo, v1, v3, vcc_lo
	s_delay_alu instid0(VALU_DEP_2) | instskip(SKIP_1) | instid1(VALU_DEP_3)
	v_mul_hi_u32 v2, s0, v0
	v_mul_lo_u32 v4, s51, v0
	v_mul_lo_u32 v3, s0, v1
	s_delay_alu instid0(VALU_DEP_1) | instskip(SKIP_1) | instid1(VALU_DEP_2)
	v_add_nc_u32_e32 v2, v2, v3
	v_mul_lo_u32 v3, s0, v0
	v_add_nc_u32_e32 v2, v2, v4
	s_delay_alu instid0(VALU_DEP_2) | instskip(NEXT) | instid1(VALU_DEP_2)
	v_mul_hi_u32 v4, v0, v3
	v_mul_lo_u32 v5, v0, v2
	v_mul_hi_u32 v6, v0, v2
	v_mul_hi_u32 v7, v1, v3
	v_mul_lo_u32 v3, v1, v3
	v_mul_hi_u32 v9, v1, v2
	v_mul_lo_u32 v2, v1, v2
	v_add_co_u32 v4, vcc_lo, v4, v5
	v_add_co_ci_u32_e32 v5, vcc_lo, 0, v6, vcc_lo
	s_delay_alu instid0(VALU_DEP_2) | instskip(NEXT) | instid1(VALU_DEP_2)
	v_add_co_u32 v3, vcc_lo, v4, v3
	v_add_co_ci_u32_e32 v3, vcc_lo, v5, v7, vcc_lo
	v_add_co_ci_u32_e32 v4, vcc_lo, 0, v9, vcc_lo
	s_delay_alu instid0(VALU_DEP_2) | instskip(NEXT) | instid1(VALU_DEP_2)
	v_add_co_u32 v2, vcc_lo, v3, v2
	v_add_co_ci_u32_e32 v3, vcc_lo, 0, v4, vcc_lo
	s_delay_alu instid0(VALU_DEP_2) | instskip(NEXT) | instid1(VALU_DEP_2)
	v_add_co_u32 v4, vcc_lo, v0, v2
	v_add_co_ci_u32_e32 v6, vcc_lo, v1, v3, vcc_lo
	s_delay_alu instid0(VALU_DEP_2) | instskip(SKIP_1) | instid1(VALU_DEP_3)
	v_mul_hi_u32 v7, v11, v4
	v_mad_u64_u32 v[2:3], null, 0, v4, 0
	v_mad_u64_u32 v[0:1], null, v11, v6, 0
	;; [unrolled: 1-line block ×3, first 2 shown]
	s_delay_alu instid0(VALU_DEP_2) | instskip(NEXT) | instid1(VALU_DEP_3)
	v_add_co_u32 v0, vcc_lo, v7, v0
	v_add_co_ci_u32_e32 v1, vcc_lo, 0, v1, vcc_lo
	s_delay_alu instid0(VALU_DEP_2) | instskip(NEXT) | instid1(VALU_DEP_2)
	v_add_co_u32 v0, vcc_lo, v0, v2
	v_add_co_ci_u32_e32 v0, vcc_lo, v1, v3, vcc_lo
	v_add_co_ci_u32_e32 v1, vcc_lo, 0, v5, vcc_lo
	s_delay_alu instid0(VALU_DEP_2) | instskip(NEXT) | instid1(VALU_DEP_2)
	v_add_co_u32 v2, vcc_lo, v0, v4
	v_add_co_ci_u32_e32 v3, vcc_lo, 0, v1, vcc_lo
	s_delay_alu instid0(VALU_DEP_2) | instskip(SKIP_1) | instid1(VALU_DEP_3)
	v_mul_lo_u32 v4, s45, v2
	v_mad_u64_u32 v[0:1], null, s44, v2, 0
	v_mul_lo_u32 v5, s44, v3
	s_delay_alu instid0(VALU_DEP_2) | instskip(NEXT) | instid1(VALU_DEP_2)
	v_sub_co_u32 v0, vcc_lo, v11, v0
	v_add3_u32 v1, v1, v5, v4
	s_delay_alu instid0(VALU_DEP_1) | instskip(NEXT) | instid1(VALU_DEP_1)
	v_sub_nc_u32_e32 v4, 0, v1
	v_subrev_co_ci_u32_e64 v4, s0, s45, v4, vcc_lo
	v_add_co_u32 v5, s0, v2, 2
	s_delay_alu instid0(VALU_DEP_1) | instskip(SKIP_3) | instid1(VALU_DEP_3)
	v_add_co_ci_u32_e64 v6, s0, 0, v3, s0
	v_sub_co_u32 v7, s0, v0, s44
	v_sub_co_ci_u32_e32 v1, vcc_lo, 0, v1, vcc_lo
	v_subrev_co_ci_u32_e64 v4, s0, 0, v4, s0
	v_cmp_le_u32_e32 vcc_lo, s44, v7
	s_delay_alu instid0(VALU_DEP_3) | instskip(SKIP_1) | instid1(VALU_DEP_4)
	v_cmp_eq_u32_e64 s0, s45, v1
	v_cndmask_b32_e64 v7, 0, -1, vcc_lo
	v_cmp_le_u32_e32 vcc_lo, s45, v4
	v_cndmask_b32_e64 v9, 0, -1, vcc_lo
	v_cmp_le_u32_e32 vcc_lo, s44, v0
	v_cndmask_b32_e64 v0, 0, -1, vcc_lo
	v_cmp_le_u32_e32 vcc_lo, s45, v1
	v_cndmask_b32_e64 v10, 0, -1, vcc_lo
	v_cmp_eq_u32_e32 vcc_lo, s45, v4
	s_delay_alu instid0(VALU_DEP_2) | instskip(SKIP_3) | instid1(VALU_DEP_3)
	v_cndmask_b32_e64 v0, v10, v0, s0
	v_cndmask_b32_e32 v4, v9, v7, vcc_lo
	v_add_co_u32 v7, vcc_lo, v2, 1
	v_add_co_ci_u32_e32 v9, vcc_lo, 0, v3, vcc_lo
	v_cmp_ne_u32_e32 vcc_lo, 0, v4
	s_delay_alu instid0(VALU_DEP_2) | instskip(SKIP_1) | instid1(VALU_DEP_2)
	v_dual_cndmask_b32 v1, v9, v6 :: v_dual_cndmask_b32 v4, v7, v5
	v_cmp_ne_u32_e32 vcc_lo, 0, v0
	v_dual_cndmask_b32 v0, v3, v1 :: v_dual_cndmask_b32 v1, v2, v4
	s_delay_alu instid0(VALU_DEP_1) | instskip(NEXT) | instid1(VALU_DEP_2)
	v_xor_b32_e32 v0, s43, v0
	v_xor_b32_e32 v1, s42, v1
	s_delay_alu instid0(VALU_DEP_1) | instskip(NEXT) | instid1(VALU_DEP_3)
	v_sub_co_u32 v9, vcc_lo, v1, s42
	v_subrev_co_ci_u32_e32 v10, vcc_lo, s43, v0, vcc_lo
.LBB144_5:                              ;   in Loop: Header=BB144_3 Depth=1
	s_and_not1_saveexec_b32 s0, s50
	s_cbranch_execz .LBB144_7
; %bb.6:                                ;   in Loop: Header=BB144_3 Depth=1
	s_sub_i32 s42, 0, s1
	s_delay_alu instid0(SALU_CYCLE_1) | instskip(NEXT) | instid1(VALU_DEP_1)
	v_mul_lo_u32 v0, s42, v12
	v_mul_hi_u32 v0, v12, v0
	s_delay_alu instid0(VALU_DEP_1) | instskip(NEXT) | instid1(VALU_DEP_1)
	v_add_nc_u32_e32 v0, v12, v0
	v_mul_hi_u32 v0, v11, v0
	s_delay_alu instid0(VALU_DEP_1) | instskip(SKIP_1) | instid1(VALU_DEP_2)
	v_mul_lo_u32 v1, v0, s1
	v_add_nc_u32_e32 v2, 1, v0
	v_sub_nc_u32_e32 v1, v11, v1
	s_delay_alu instid0(VALU_DEP_1) | instskip(SKIP_1) | instid1(VALU_DEP_2)
	v_subrev_nc_u32_e32 v3, s1, v1
	v_cmp_le_u32_e32 vcc_lo, s1, v1
	v_dual_cndmask_b32 v1, v1, v3 :: v_dual_cndmask_b32 v0, v0, v2
	s_delay_alu instid0(VALU_DEP_1) | instskip(NEXT) | instid1(VALU_DEP_2)
	v_cmp_le_u32_e32 vcc_lo, s1, v1
	v_add_nc_u32_e32 v2, 1, v0
	s_delay_alu instid0(VALU_DEP_1) | instskip(NEXT) | instid1(VALU_DEP_1)
	v_cndmask_b32_e32 v7, v0, v2, vcc_lo
	v_dual_mov_b32 v10, v8 :: v_dual_mov_b32 v9, v7
.LBB144_7:                              ;   in Loop: Header=BB144_3 Depth=1
	s_or_b32 exec_lo, exec_lo, s0
	s_mov_b32 s42, -1
	s_mov_b32 s0, exec_lo
	s_delay_alu instid0(VALU_DEP_1)
	v_cmpx_gt_i64_e64 s[2:3], v[9:10]
	s_cbranch_execz .LBB144_2
; %bb.8:                                ;   in Loop: Header=BB144_3 Depth=1
	v_mul_lo_u32 v0, v9, s1
	v_mul_lo_u32 v1, v9, s33
	v_lshlrev_b64 v[9:10], 1, v[9:10]
	s_mov_b32 s42, exec_lo
	s_delay_alu instid0(VALU_DEP_1) | instskip(NEXT) | instid1(VALU_DEP_4)
	v_add_co_u32 v9, vcc_lo, s4, v9
	v_sub_nc_u32_e32 v0, v11, v0
	s_delay_alu instid0(VALU_DEP_3) | instskip(NEXT) | instid1(VALU_DEP_2)
	v_add_co_ci_u32_e32 v10, vcc_lo, s5, v10, vcc_lo
	v_lshlrev_b32_e32 v13, 4, v0
	s_delay_alu instid0(VALU_DEP_1)
	v_add_lshl_u32 v0, v1, v13, 1
	v_mul_lo_u32 v14, v13, s2
	s_clause 0x1
	buffer_load_b128 v[4:7], v0, s[8:11], 0 offen
	buffer_load_b128 v[0:3], v0, s[8:11], 16 offen
	v_ashrrev_i32_e32 v15, 31, v14
	s_delay_alu instid0(VALU_DEP_1) | instskip(NEXT) | instid1(VALU_DEP_1)
	v_lshlrev_b64 v[14:15], 1, v[14:15]
	v_add_co_u32 v9, vcc_lo, v9, v14
	s_delay_alu instid0(VALU_DEP_2)
	v_add_co_ci_u32_e32 v10, vcc_lo, v10, v15, vcc_lo
	v_cmpx_gt_i32_e64 s33, v13
	s_cbranch_execz .LBB144_10
; %bb.9:                                ;   in Loop: Header=BB144_3 Depth=1
	s_waitcnt vmcnt(1)
	global_store_b16 v[9:10], v4, off
.LBB144_10:                             ;   in Loop: Header=BB144_3 Depth=1
	s_or_b32 exec_lo, exec_lo, s42
	v_or_b32_e32 v14, 1, v13
	s_mov_b32 s42, exec_lo
	s_delay_alu instid0(VALU_DEP_1)
	v_cmpx_gt_i32_e64 s33, v14
	s_cbranch_execz .LBB144_12
; %bb.11:                               ;   in Loop: Header=BB144_3 Depth=1
	s_lshl_b64 s[44:45], s[2:3], 1
	s_delay_alu instid0(SALU_CYCLE_1)
	v_add_co_u32 v14, vcc_lo, v9, s44
	v_add_co_ci_u32_e32 v15, vcc_lo, s45, v10, vcc_lo
	s_waitcnt vmcnt(1)
	global_store_d16_hi_b16 v[14:15], v4, off
.LBB144_12:                             ;   in Loop: Header=BB144_3 Depth=1
	s_or_b32 exec_lo, exec_lo, s42
	s_waitcnt vmcnt(1)
	v_or_b32_e32 v4, 2, v13
	s_mov_b32 s42, exec_lo
	s_delay_alu instid0(VALU_DEP_1)
	v_cmpx_gt_i32_e64 s33, v4
	s_cbranch_execz .LBB144_14
; %bb.13:                               ;   in Loop: Header=BB144_3 Depth=1
	v_add_co_u32 v14, vcc_lo, v9, s12
	v_add_co_ci_u32_e32 v15, vcc_lo, s13, v10, vcc_lo
	global_store_b16 v[14:15], v5, off
.LBB144_14:                             ;   in Loop: Header=BB144_3 Depth=1
	s_or_b32 exec_lo, exec_lo, s42
	v_or_b32_e32 v4, 3, v13
	s_mov_b32 s42, exec_lo
	s_delay_alu instid0(VALU_DEP_1)
	v_cmpx_gt_i32_e64 s33, v4
	s_cbranch_execz .LBB144_16
; %bb.15:                               ;   in Loop: Header=BB144_3 Depth=1
	v_add_co_u32 v14, vcc_lo, v9, s14
	v_add_co_ci_u32_e32 v15, vcc_lo, s15, v10, vcc_lo
	global_store_d16_hi_b16 v[14:15], v5, off
.LBB144_16:                             ;   in Loop: Header=BB144_3 Depth=1
	s_or_b32 exec_lo, exec_lo, s42
	v_or_b32_e32 v4, 4, v13
	s_mov_b32 s42, exec_lo
	s_delay_alu instid0(VALU_DEP_1)
	v_cmpx_gt_i32_e64 s33, v4
	s_cbranch_execz .LBB144_18
; %bb.17:                               ;   in Loop: Header=BB144_3 Depth=1
	v_add_co_u32 v4, vcc_lo, v9, s16
	v_add_co_ci_u32_e32 v5, vcc_lo, s17, v10, vcc_lo
	global_store_b16 v[4:5], v6, off
.LBB144_18:                             ;   in Loop: Header=BB144_3 Depth=1
	s_or_b32 exec_lo, exec_lo, s42
	v_or_b32_e32 v4, 5, v13
	s_mov_b32 s42, exec_lo
	s_delay_alu instid0(VALU_DEP_1)
	v_cmpx_gt_i32_e64 s33, v4
	s_cbranch_execz .LBB144_20
; %bb.19:                               ;   in Loop: Header=BB144_3 Depth=1
	v_add_co_u32 v4, vcc_lo, v9, s18
	v_add_co_ci_u32_e32 v5, vcc_lo, s19, v10, vcc_lo
	global_store_d16_hi_b16 v[4:5], v6, off
.LBB144_20:                             ;   in Loop: Header=BB144_3 Depth=1
	s_or_b32 exec_lo, exec_lo, s42
	;; [unrolled: 22-line block ×3, first 2 shown]
	v_or_b32_e32 v4, 8, v13
	s_mov_b32 s42, exec_lo
	s_delay_alu instid0(VALU_DEP_1)
	v_cmpx_gt_i32_e64 s33, v4
	s_cbranch_execz .LBB144_26
; %bb.25:                               ;   in Loop: Header=BB144_3 Depth=1
	v_add_co_u32 v4, vcc_lo, v9, s24
	v_add_co_ci_u32_e32 v5, vcc_lo, s25, v10, vcc_lo
	s_waitcnt vmcnt(0)
	global_store_b16 v[4:5], v0, off
.LBB144_26:                             ;   in Loop: Header=BB144_3 Depth=1
	s_or_b32 exec_lo, exec_lo, s42
	v_or_b32_e32 v4, 9, v13
	s_mov_b32 s42, exec_lo
	s_delay_alu instid0(VALU_DEP_1)
	v_cmpx_gt_i32_e64 s33, v4
	s_cbranch_execz .LBB144_28
; %bb.27:                               ;   in Loop: Header=BB144_3 Depth=1
	v_add_co_u32 v4, vcc_lo, v9, s26
	v_add_co_ci_u32_e32 v5, vcc_lo, s27, v10, vcc_lo
	s_waitcnt vmcnt(0)
	global_store_d16_hi_b16 v[4:5], v0, off
.LBB144_28:                             ;   in Loop: Header=BB144_3 Depth=1
	s_or_b32 exec_lo, exec_lo, s42
	s_waitcnt vmcnt(0)
	v_or_b32_e32 v0, 10, v13
	s_mov_b32 s42, exec_lo
	s_delay_alu instid0(VALU_DEP_1)
	v_cmpx_gt_i32_e64 s33, v0
	s_cbranch_execz .LBB144_30
; %bb.29:                               ;   in Loop: Header=BB144_3 Depth=1
	v_add_co_u32 v4, vcc_lo, v9, s28
	v_add_co_ci_u32_e32 v5, vcc_lo, s29, v10, vcc_lo
	global_store_b16 v[4:5], v1, off
.LBB144_30:                             ;   in Loop: Header=BB144_3 Depth=1
	s_or_b32 exec_lo, exec_lo, s42
	v_or_b32_e32 v0, 11, v13
	s_mov_b32 s42, exec_lo
	s_delay_alu instid0(VALU_DEP_1)
	v_cmpx_gt_i32_e64 s33, v0
	s_cbranch_execz .LBB144_32
; %bb.31:                               ;   in Loop: Header=BB144_3 Depth=1
	v_add_co_u32 v4, vcc_lo, v9, s30
	v_add_co_ci_u32_e32 v5, vcc_lo, s31, v10, vcc_lo
	global_store_d16_hi_b16 v[4:5], v1, off
.LBB144_32:                             ;   in Loop: Header=BB144_3 Depth=1
	s_or_b32 exec_lo, exec_lo, s42
	v_or_b32_e32 v0, 12, v13
	s_mov_b32 s42, exec_lo
	s_delay_alu instid0(VALU_DEP_1)
	v_cmpx_gt_i32_e64 s33, v0
	s_cbranch_execz .LBB144_34
; %bb.33:                               ;   in Loop: Header=BB144_3 Depth=1
	v_add_co_u32 v0, vcc_lo, v9, s34
	v_add_co_ci_u32_e32 v1, vcc_lo, s35, v10, vcc_lo
	global_store_b16 v[0:1], v2, off
.LBB144_34:                             ;   in Loop: Header=BB144_3 Depth=1
	s_or_b32 exec_lo, exec_lo, s42
	v_or_b32_e32 v0, 13, v13
	s_mov_b32 s42, exec_lo
	s_delay_alu instid0(VALU_DEP_1)
	v_cmpx_gt_i32_e64 s33, v0
	s_cbranch_execz .LBB144_36
; %bb.35:                               ;   in Loop: Header=BB144_3 Depth=1
	v_add_co_u32 v0, vcc_lo, v9, s36
	v_add_co_ci_u32_e32 v1, vcc_lo, s37, v10, vcc_lo
	global_store_d16_hi_b16 v[0:1], v2, off
.LBB144_36:                             ;   in Loop: Header=BB144_3 Depth=1
	s_or_b32 exec_lo, exec_lo, s42
	v_or_b32_e32 v0, 14, v13
	s_mov_b32 s42, exec_lo
	s_delay_alu instid0(VALU_DEP_1)
	v_cmpx_gt_i32_e64 s33, v0
	s_cbranch_execz .LBB144_38
; %bb.37:                               ;   in Loop: Header=BB144_3 Depth=1
	v_add_co_u32 v0, vcc_lo, v9, s38
	v_add_co_ci_u32_e32 v1, vcc_lo, s39, v10, vcc_lo
	global_store_b16 v[0:1], v3, off
.LBB144_38:                             ;   in Loop: Header=BB144_3 Depth=1
	s_or_b32 exec_lo, exec_lo, s42
	v_or_b32_e32 v0, 15, v13
	s_mov_b32 s42, exec_lo
	s_delay_alu instid0(VALU_DEP_1)
	v_cmpx_gt_i32_e64 s33, v0
	s_cbranch_execz .LBB144_1
; %bb.39:                               ;   in Loop: Header=BB144_3 Depth=1
	v_add_co_u32 v0, vcc_lo, v9, s40
	v_add_co_ci_u32_e32 v1, vcc_lo, s41, v10, vcc_lo
	global_store_d16_hi_b16 v[0:1], v3, off
	s_branch .LBB144_1
.LBB144_40:
	s_nop 0
	s_sendmsg sendmsg(MSG_DEALLOC_VGPRS)
	s_endpgm
	.section	.rodata,"a",@progbits
	.p2align	6, 0x0
	.amdhsa_kernel _ZN5aiter24partial_transpose_kernelIDF16_Li512ELi16ELi10000EEEvPT_S2_PKii
		.amdhsa_group_segment_fixed_size 0
		.amdhsa_private_segment_fixed_size 0
		.amdhsa_kernarg_size 288
		.amdhsa_user_sgpr_count 15
		.amdhsa_user_sgpr_dispatch_ptr 0
		.amdhsa_user_sgpr_queue_ptr 0
		.amdhsa_user_sgpr_kernarg_segment_ptr 1
		.amdhsa_user_sgpr_dispatch_id 0
		.amdhsa_user_sgpr_private_segment_size 0
		.amdhsa_wavefront_size32 1
		.amdhsa_uses_dynamic_stack 0
		.amdhsa_enable_private_segment 0
		.amdhsa_system_sgpr_workgroup_id_x 1
		.amdhsa_system_sgpr_workgroup_id_y 0
		.amdhsa_system_sgpr_workgroup_id_z 0
		.amdhsa_system_sgpr_workgroup_info 0
		.amdhsa_system_vgpr_workitem_id 0
		.amdhsa_next_free_vgpr 16
		.amdhsa_next_free_sgpr 52
		.amdhsa_reserve_vcc 1
		.amdhsa_float_round_mode_32 0
		.amdhsa_float_round_mode_16_64 0
		.amdhsa_float_denorm_mode_32 3
		.amdhsa_float_denorm_mode_16_64 3
		.amdhsa_dx10_clamp 1
		.amdhsa_ieee_mode 1
		.amdhsa_fp16_overflow 0
		.amdhsa_workgroup_processor_mode 1
		.amdhsa_memory_ordered 1
		.amdhsa_forward_progress 0
		.amdhsa_shared_vgpr_count 0
		.amdhsa_exception_fp_ieee_invalid_op 0
		.amdhsa_exception_fp_denorm_src 0
		.amdhsa_exception_fp_ieee_div_zero 0
		.amdhsa_exception_fp_ieee_overflow 0
		.amdhsa_exception_fp_ieee_underflow 0
		.amdhsa_exception_fp_ieee_inexact 0
		.amdhsa_exception_int_div_zero 0
	.end_amdhsa_kernel
	.section	.text._ZN5aiter24partial_transpose_kernelIDF16_Li512ELi16ELi10000EEEvPT_S2_PKii,"axG",@progbits,_ZN5aiter24partial_transpose_kernelIDF16_Li512ELi16ELi10000EEEvPT_S2_PKii,comdat
.Lfunc_end144:
	.size	_ZN5aiter24partial_transpose_kernelIDF16_Li512ELi16ELi10000EEEvPT_S2_PKii, .Lfunc_end144-_ZN5aiter24partial_transpose_kernelIDF16_Li512ELi16ELi10000EEEvPT_S2_PKii
                                        ; -- End function
	.section	.AMDGPU.csdata,"",@progbits
; Kernel info:
; codeLenInByte = 2284
; NumSgprs: 54
; NumVgprs: 16
; ScratchSize: 0
; MemoryBound: 0
; FloatMode: 240
; IeeeMode: 1
; LDSByteSize: 0 bytes/workgroup (compile time only)
; SGPRBlocks: 6
; VGPRBlocks: 1
; NumSGPRsForWavesPerEU: 54
; NumVGPRsForWavesPerEU: 16
; Occupancy: 16
; WaveLimiterHint : 1
; COMPUTE_PGM_RSRC2:SCRATCH_EN: 0
; COMPUTE_PGM_RSRC2:USER_SGPR: 15
; COMPUTE_PGM_RSRC2:TRAP_HANDLER: 0
; COMPUTE_PGM_RSRC2:TGID_X_EN: 1
; COMPUTE_PGM_RSRC2:TGID_Y_EN: 0
; COMPUTE_PGM_RSRC2:TGID_Z_EN: 0
; COMPUTE_PGM_RSRC2:TIDIG_COMP_CNT: 0
	.section	.text._ZN5aiter24partial_transpose_kernelItLi512ELi16ELi10000EEEvPT_S2_PKii,"axG",@progbits,_ZN5aiter24partial_transpose_kernelItLi512ELi16ELi10000EEEvPT_S2_PKii,comdat
	.protected	_ZN5aiter24partial_transpose_kernelItLi512ELi16ELi10000EEEvPT_S2_PKii ; -- Begin function _ZN5aiter24partial_transpose_kernelItLi512ELi16ELi10000EEEvPT_S2_PKii
	.globl	_ZN5aiter24partial_transpose_kernelItLi512ELi16ELi10000EEEvPT_S2_PKii
	.p2align	8
	.type	_ZN5aiter24partial_transpose_kernelItLi512ELi16ELi10000EEEvPT_S2_PKii,@function
_ZN5aiter24partial_transpose_kernelItLi512ELi16ELi10000EEEvPT_S2_PKii: ; @_ZN5aiter24partial_transpose_kernelItLi512ELi16ELi10000EEEvPT_S2_PKii
; %bb.0:
	s_clause 0x2
	s_load_b64 s[2:3], s[0:1], 0x10
	s_load_b32 s33, s[0:1], 0x18
	s_load_b128 s[4:7], s[0:1], 0x0
	v_lshl_add_u32 v11, s15, 9, v0
	v_mov_b32_e32 v8, 0
	s_mov_b32 s11, -1
	s_movk_i32 s48, 0x2710
	s_waitcnt lgkmcnt(0)
	s_load_b32 s2, s[2:3], 0x0
	s_load_b32 s0, s[0:1], 0x20
	s_add_i32 s1, s33, 15
	s_and_b32 s7, s7, 0xffff
	s_ashr_i32 s3, s1, 31
	s_mov_b64 s[8:9], s[6:7]
	s_lshr_b32 s3, s3, 28
	s_delay_alu instid0(SALU_CYCLE_1) | instskip(NEXT) | instid1(SALU_CYCLE_1)
	s_add_i32 s1, s1, s3
	s_ashr_i32 s1, s1, 4
	s_delay_alu instid0(SALU_CYCLE_1) | instskip(SKIP_1) | instid1(VALU_DEP_1)
	v_cvt_f32_u32_e32 v0, s1
	s_ashr_i32 s46, s1, 31
	v_rcp_iflag_f32_e32 v0, v0
	s_waitcnt lgkmcnt(0)
	s_mul_i32 s6, s2, s33
	s_lshl_b32 s12, s2, 1
	s_add_i32 s6, s6, 1
	s_mul_i32 s14, s2, 3
	s_lshr_b32 s7, s6, 31
	s_lshl_b32 s16, s2, 2
	s_add_i32 s6, s6, s7
	s_waitcnt_depctr 0xfff
	v_mul_f32_e32 v0, 0x4f7ffffe, v0
	s_mul_i32 s18, s2, 5
	s_mul_i32 s20, s2, 6
	s_mul_i32 s22, s2, 7
	s_lshl_b32 s24, s2, 3
	s_mul_i32 s26, s2, 9
	s_mul_i32 s28, s2, 10
	;; [unrolled: 1-line block ×7, first 2 shown]
	s_lshl_b32 s6, s6, 1
	v_cvt_u32_f32_e32 v12, v0
	s_ashr_i32 s13, s12, 31
	s_ashr_i32 s15, s14, 31
	;; [unrolled: 1-line block ×14, first 2 shown]
	s_and_b32 s10, s6, -4
	s_mov_b32 s6, 0
	s_ashr_i32 s3, s2, 31
	s_lshl_b32 s47, s0, 9
	s_mov_b32 s7, s46
	s_lshl_b64 s[12:13], s[12:13], 1
	s_lshl_b64 s[14:15], s[14:15], 1
	;; [unrolled: 1-line block ×14, first 2 shown]
	s_mov_b32 s49, s6
	s_branch .LBB145_3
.LBB145_1:                              ;   in Loop: Header=BB145_3 Depth=1
	s_or_b32 exec_lo, exec_lo, s42
	s_add_i32 s48, s48, -1
	v_add_nc_u32_e32 v11, s47, v11
	s_cmp_eq_u32 s48, 0
	s_cselect_b32 s42, -1, 0
	s_delay_alu instid0(SALU_CYCLE_1)
	s_or_not1_b32 s42, s42, exec_lo
.LBB145_2:                              ;   in Loop: Header=BB145_3 Depth=1
	s_or_b32 exec_lo, exec_lo, s0
	s_delay_alu instid0(SALU_CYCLE_1) | instskip(NEXT) | instid1(SALU_CYCLE_1)
	s_and_b32 s0, exec_lo, s42
	s_or_b32 s49, s0, s49
	s_delay_alu instid0(SALU_CYCLE_1)
	s_and_not1_b32 exec_lo, exec_lo, s49
	s_cbranch_execz .LBB145_40
.LBB145_3:                              ; =>This Inner Loop Header: Depth=1
	s_cmp_lg_u64 s[6:7], 0
                                        ; implicit-def: $vgpr9_vgpr10
	s_cselect_b32 s0, -1, 0
	s_delay_alu instid0(SALU_CYCLE_1) | instskip(NEXT) | instid1(SALU_CYCLE_1)
	s_and_saveexec_b32 s42, s0
	s_xor_b32 s50, exec_lo, s42
	s_cbranch_execz .LBB145_5
; %bb.4:                                ;   in Loop: Header=BB145_3 Depth=1
	s_add_u32 s44, s1, s46
	s_mov_b32 s42, s46
	s_mov_b32 s43, s46
	s_addc_u32 s45, s46, s46
	s_delay_alu instid0(SALU_CYCLE_1) | instskip(NEXT) | instid1(SALU_CYCLE_1)
	s_xor_b64 s[44:45], s[44:45], s[42:43]
	v_cvt_f32_u32_e32 v0, s44
	v_cvt_f32_u32_e32 v1, s45
	s_sub_u32 s0, 0, s44
	s_subb_u32 s51, 0, s45
	s_delay_alu instid0(VALU_DEP_1) | instskip(NEXT) | instid1(VALU_DEP_1)
	v_fmac_f32_e32 v0, 0x4f800000, v1
	v_rcp_f32_e32 v0, v0
	s_waitcnt_depctr 0xfff
	v_mul_f32_e32 v0, 0x5f7ffffc, v0
	s_delay_alu instid0(VALU_DEP_1) | instskip(NEXT) | instid1(VALU_DEP_1)
	v_mul_f32_e32 v1, 0x2f800000, v0
	v_trunc_f32_e32 v1, v1
	s_delay_alu instid0(VALU_DEP_1) | instskip(SKIP_1) | instid1(VALU_DEP_2)
	v_fmac_f32_e32 v0, 0xcf800000, v1
	v_cvt_u32_f32_e32 v1, v1
	v_cvt_u32_f32_e32 v0, v0
	s_delay_alu instid0(VALU_DEP_2) | instskip(NEXT) | instid1(VALU_DEP_2)
	v_mul_lo_u32 v2, s0, v1
	v_mul_hi_u32 v3, s0, v0
	v_mul_lo_u32 v4, s51, v0
	s_delay_alu instid0(VALU_DEP_2) | instskip(SKIP_1) | instid1(VALU_DEP_2)
	v_add_nc_u32_e32 v2, v3, v2
	v_mul_lo_u32 v3, s0, v0
	v_add_nc_u32_e32 v2, v2, v4
	s_delay_alu instid0(VALU_DEP_2) | instskip(NEXT) | instid1(VALU_DEP_2)
	v_mul_hi_u32 v4, v0, v3
	v_mul_lo_u32 v5, v0, v2
	v_mul_hi_u32 v6, v0, v2
	v_mul_hi_u32 v7, v1, v3
	v_mul_lo_u32 v3, v1, v3
	v_mul_hi_u32 v9, v1, v2
	v_mul_lo_u32 v2, v1, v2
	v_add_co_u32 v4, vcc_lo, v4, v5
	v_add_co_ci_u32_e32 v5, vcc_lo, 0, v6, vcc_lo
	s_delay_alu instid0(VALU_DEP_2) | instskip(NEXT) | instid1(VALU_DEP_2)
	v_add_co_u32 v3, vcc_lo, v4, v3
	v_add_co_ci_u32_e32 v3, vcc_lo, v5, v7, vcc_lo
	v_add_co_ci_u32_e32 v4, vcc_lo, 0, v9, vcc_lo
	s_delay_alu instid0(VALU_DEP_2) | instskip(NEXT) | instid1(VALU_DEP_2)
	v_add_co_u32 v2, vcc_lo, v3, v2
	v_add_co_ci_u32_e32 v3, vcc_lo, 0, v4, vcc_lo
	s_delay_alu instid0(VALU_DEP_2) | instskip(NEXT) | instid1(VALU_DEP_2)
	v_add_co_u32 v0, vcc_lo, v0, v2
	v_add_co_ci_u32_e32 v1, vcc_lo, v1, v3, vcc_lo
	s_delay_alu instid0(VALU_DEP_2) | instskip(SKIP_1) | instid1(VALU_DEP_3)
	v_mul_hi_u32 v2, s0, v0
	v_mul_lo_u32 v4, s51, v0
	v_mul_lo_u32 v3, s0, v1
	s_delay_alu instid0(VALU_DEP_1) | instskip(SKIP_1) | instid1(VALU_DEP_2)
	v_add_nc_u32_e32 v2, v2, v3
	v_mul_lo_u32 v3, s0, v0
	v_add_nc_u32_e32 v2, v2, v4
	s_delay_alu instid0(VALU_DEP_2) | instskip(NEXT) | instid1(VALU_DEP_2)
	v_mul_hi_u32 v4, v0, v3
	v_mul_lo_u32 v5, v0, v2
	v_mul_hi_u32 v6, v0, v2
	v_mul_hi_u32 v7, v1, v3
	v_mul_lo_u32 v3, v1, v3
	v_mul_hi_u32 v9, v1, v2
	v_mul_lo_u32 v2, v1, v2
	v_add_co_u32 v4, vcc_lo, v4, v5
	v_add_co_ci_u32_e32 v5, vcc_lo, 0, v6, vcc_lo
	s_delay_alu instid0(VALU_DEP_2) | instskip(NEXT) | instid1(VALU_DEP_2)
	v_add_co_u32 v3, vcc_lo, v4, v3
	v_add_co_ci_u32_e32 v3, vcc_lo, v5, v7, vcc_lo
	v_add_co_ci_u32_e32 v4, vcc_lo, 0, v9, vcc_lo
	s_delay_alu instid0(VALU_DEP_2) | instskip(NEXT) | instid1(VALU_DEP_2)
	v_add_co_u32 v2, vcc_lo, v3, v2
	v_add_co_ci_u32_e32 v3, vcc_lo, 0, v4, vcc_lo
	s_delay_alu instid0(VALU_DEP_2) | instskip(NEXT) | instid1(VALU_DEP_2)
	v_add_co_u32 v4, vcc_lo, v0, v2
	v_add_co_ci_u32_e32 v6, vcc_lo, v1, v3, vcc_lo
	s_delay_alu instid0(VALU_DEP_2) | instskip(SKIP_1) | instid1(VALU_DEP_3)
	v_mul_hi_u32 v7, v11, v4
	v_mad_u64_u32 v[2:3], null, 0, v4, 0
	v_mad_u64_u32 v[0:1], null, v11, v6, 0
	;; [unrolled: 1-line block ×3, first 2 shown]
	s_delay_alu instid0(VALU_DEP_2) | instskip(NEXT) | instid1(VALU_DEP_3)
	v_add_co_u32 v0, vcc_lo, v7, v0
	v_add_co_ci_u32_e32 v1, vcc_lo, 0, v1, vcc_lo
	s_delay_alu instid0(VALU_DEP_2) | instskip(NEXT) | instid1(VALU_DEP_2)
	v_add_co_u32 v0, vcc_lo, v0, v2
	v_add_co_ci_u32_e32 v0, vcc_lo, v1, v3, vcc_lo
	v_add_co_ci_u32_e32 v1, vcc_lo, 0, v5, vcc_lo
	s_delay_alu instid0(VALU_DEP_2) | instskip(NEXT) | instid1(VALU_DEP_2)
	v_add_co_u32 v2, vcc_lo, v0, v4
	v_add_co_ci_u32_e32 v3, vcc_lo, 0, v1, vcc_lo
	s_delay_alu instid0(VALU_DEP_2) | instskip(SKIP_1) | instid1(VALU_DEP_3)
	v_mul_lo_u32 v4, s45, v2
	v_mad_u64_u32 v[0:1], null, s44, v2, 0
	v_mul_lo_u32 v5, s44, v3
	s_delay_alu instid0(VALU_DEP_2) | instskip(NEXT) | instid1(VALU_DEP_2)
	v_sub_co_u32 v0, vcc_lo, v11, v0
	v_add3_u32 v1, v1, v5, v4
	s_delay_alu instid0(VALU_DEP_1) | instskip(NEXT) | instid1(VALU_DEP_1)
	v_sub_nc_u32_e32 v4, 0, v1
	v_subrev_co_ci_u32_e64 v4, s0, s45, v4, vcc_lo
	v_add_co_u32 v5, s0, v2, 2
	s_delay_alu instid0(VALU_DEP_1) | instskip(SKIP_3) | instid1(VALU_DEP_3)
	v_add_co_ci_u32_e64 v6, s0, 0, v3, s0
	v_sub_co_u32 v7, s0, v0, s44
	v_sub_co_ci_u32_e32 v1, vcc_lo, 0, v1, vcc_lo
	v_subrev_co_ci_u32_e64 v4, s0, 0, v4, s0
	v_cmp_le_u32_e32 vcc_lo, s44, v7
	s_delay_alu instid0(VALU_DEP_3) | instskip(SKIP_1) | instid1(VALU_DEP_4)
	v_cmp_eq_u32_e64 s0, s45, v1
	v_cndmask_b32_e64 v7, 0, -1, vcc_lo
	v_cmp_le_u32_e32 vcc_lo, s45, v4
	v_cndmask_b32_e64 v9, 0, -1, vcc_lo
	v_cmp_le_u32_e32 vcc_lo, s44, v0
	;; [unrolled: 2-line block ×3, first 2 shown]
	v_cndmask_b32_e64 v10, 0, -1, vcc_lo
	v_cmp_eq_u32_e32 vcc_lo, s45, v4
	s_delay_alu instid0(VALU_DEP_2) | instskip(SKIP_3) | instid1(VALU_DEP_3)
	v_cndmask_b32_e64 v0, v10, v0, s0
	v_cndmask_b32_e32 v4, v9, v7, vcc_lo
	v_add_co_u32 v7, vcc_lo, v2, 1
	v_add_co_ci_u32_e32 v9, vcc_lo, 0, v3, vcc_lo
	v_cmp_ne_u32_e32 vcc_lo, 0, v4
	s_delay_alu instid0(VALU_DEP_2) | instskip(SKIP_1) | instid1(VALU_DEP_2)
	v_dual_cndmask_b32 v1, v9, v6 :: v_dual_cndmask_b32 v4, v7, v5
	v_cmp_ne_u32_e32 vcc_lo, 0, v0
	v_dual_cndmask_b32 v0, v3, v1 :: v_dual_cndmask_b32 v1, v2, v4
	s_delay_alu instid0(VALU_DEP_1) | instskip(NEXT) | instid1(VALU_DEP_2)
	v_xor_b32_e32 v0, s43, v0
	v_xor_b32_e32 v1, s42, v1
	s_delay_alu instid0(VALU_DEP_1) | instskip(NEXT) | instid1(VALU_DEP_3)
	v_sub_co_u32 v9, vcc_lo, v1, s42
	v_subrev_co_ci_u32_e32 v10, vcc_lo, s43, v0, vcc_lo
.LBB145_5:                              ;   in Loop: Header=BB145_3 Depth=1
	s_and_not1_saveexec_b32 s0, s50
	s_cbranch_execz .LBB145_7
; %bb.6:                                ;   in Loop: Header=BB145_3 Depth=1
	s_sub_i32 s42, 0, s1
	s_delay_alu instid0(SALU_CYCLE_1) | instskip(NEXT) | instid1(VALU_DEP_1)
	v_mul_lo_u32 v0, s42, v12
	v_mul_hi_u32 v0, v12, v0
	s_delay_alu instid0(VALU_DEP_1) | instskip(NEXT) | instid1(VALU_DEP_1)
	v_add_nc_u32_e32 v0, v12, v0
	v_mul_hi_u32 v0, v11, v0
	s_delay_alu instid0(VALU_DEP_1) | instskip(SKIP_1) | instid1(VALU_DEP_2)
	v_mul_lo_u32 v1, v0, s1
	v_add_nc_u32_e32 v2, 1, v0
	v_sub_nc_u32_e32 v1, v11, v1
	s_delay_alu instid0(VALU_DEP_1) | instskip(SKIP_1) | instid1(VALU_DEP_2)
	v_subrev_nc_u32_e32 v3, s1, v1
	v_cmp_le_u32_e32 vcc_lo, s1, v1
	v_dual_cndmask_b32 v1, v1, v3 :: v_dual_cndmask_b32 v0, v0, v2
	s_delay_alu instid0(VALU_DEP_1) | instskip(NEXT) | instid1(VALU_DEP_2)
	v_cmp_le_u32_e32 vcc_lo, s1, v1
	v_add_nc_u32_e32 v2, 1, v0
	s_delay_alu instid0(VALU_DEP_1) | instskip(NEXT) | instid1(VALU_DEP_1)
	v_cndmask_b32_e32 v7, v0, v2, vcc_lo
	v_dual_mov_b32 v10, v8 :: v_dual_mov_b32 v9, v7
.LBB145_7:                              ;   in Loop: Header=BB145_3 Depth=1
	s_or_b32 exec_lo, exec_lo, s0
	s_mov_b32 s42, -1
	s_mov_b32 s0, exec_lo
	s_delay_alu instid0(VALU_DEP_1)
	v_cmpx_gt_i64_e64 s[2:3], v[9:10]
	s_cbranch_execz .LBB145_2
; %bb.8:                                ;   in Loop: Header=BB145_3 Depth=1
	v_mul_lo_u32 v0, v9, s1
	v_mul_lo_u32 v1, v9, s33
	v_lshlrev_b64 v[9:10], 1, v[9:10]
	s_mov_b32 s42, exec_lo
	s_delay_alu instid0(VALU_DEP_1) | instskip(NEXT) | instid1(VALU_DEP_4)
	v_add_co_u32 v9, vcc_lo, s4, v9
	v_sub_nc_u32_e32 v0, v11, v0
	s_delay_alu instid0(VALU_DEP_3) | instskip(NEXT) | instid1(VALU_DEP_2)
	v_add_co_ci_u32_e32 v10, vcc_lo, s5, v10, vcc_lo
	v_lshlrev_b32_e32 v13, 4, v0
	s_delay_alu instid0(VALU_DEP_1)
	v_add_lshl_u32 v0, v1, v13, 1
	v_mul_lo_u32 v14, v13, s2
	s_clause 0x1
	buffer_load_b128 v[4:7], v0, s[8:11], 0 offen
	buffer_load_b128 v[0:3], v0, s[8:11], 16 offen
	v_ashrrev_i32_e32 v15, 31, v14
	s_delay_alu instid0(VALU_DEP_1) | instskip(NEXT) | instid1(VALU_DEP_1)
	v_lshlrev_b64 v[14:15], 1, v[14:15]
	v_add_co_u32 v9, vcc_lo, v9, v14
	s_delay_alu instid0(VALU_DEP_2)
	v_add_co_ci_u32_e32 v10, vcc_lo, v10, v15, vcc_lo
	v_cmpx_gt_i32_e64 s33, v13
	s_cbranch_execz .LBB145_10
; %bb.9:                                ;   in Loop: Header=BB145_3 Depth=1
	s_waitcnt vmcnt(1)
	global_store_b16 v[9:10], v4, off
.LBB145_10:                             ;   in Loop: Header=BB145_3 Depth=1
	s_or_b32 exec_lo, exec_lo, s42
	v_or_b32_e32 v14, 1, v13
	s_mov_b32 s42, exec_lo
	s_delay_alu instid0(VALU_DEP_1)
	v_cmpx_gt_i32_e64 s33, v14
	s_cbranch_execz .LBB145_12
; %bb.11:                               ;   in Loop: Header=BB145_3 Depth=1
	s_lshl_b64 s[44:45], s[2:3], 1
	s_delay_alu instid0(SALU_CYCLE_1)
	v_add_co_u32 v14, vcc_lo, v9, s44
	v_add_co_ci_u32_e32 v15, vcc_lo, s45, v10, vcc_lo
	s_waitcnt vmcnt(1)
	global_store_d16_hi_b16 v[14:15], v4, off
.LBB145_12:                             ;   in Loop: Header=BB145_3 Depth=1
	s_or_b32 exec_lo, exec_lo, s42
	s_waitcnt vmcnt(1)
	v_or_b32_e32 v4, 2, v13
	s_mov_b32 s42, exec_lo
	s_delay_alu instid0(VALU_DEP_1)
	v_cmpx_gt_i32_e64 s33, v4
	s_cbranch_execz .LBB145_14
; %bb.13:                               ;   in Loop: Header=BB145_3 Depth=1
	v_add_co_u32 v14, vcc_lo, v9, s12
	v_add_co_ci_u32_e32 v15, vcc_lo, s13, v10, vcc_lo
	global_store_b16 v[14:15], v5, off
.LBB145_14:                             ;   in Loop: Header=BB145_3 Depth=1
	s_or_b32 exec_lo, exec_lo, s42
	v_or_b32_e32 v4, 3, v13
	s_mov_b32 s42, exec_lo
	s_delay_alu instid0(VALU_DEP_1)
	v_cmpx_gt_i32_e64 s33, v4
	s_cbranch_execz .LBB145_16
; %bb.15:                               ;   in Loop: Header=BB145_3 Depth=1
	v_add_co_u32 v14, vcc_lo, v9, s14
	v_add_co_ci_u32_e32 v15, vcc_lo, s15, v10, vcc_lo
	global_store_d16_hi_b16 v[14:15], v5, off
.LBB145_16:                             ;   in Loop: Header=BB145_3 Depth=1
	s_or_b32 exec_lo, exec_lo, s42
	v_or_b32_e32 v4, 4, v13
	s_mov_b32 s42, exec_lo
	s_delay_alu instid0(VALU_DEP_1)
	v_cmpx_gt_i32_e64 s33, v4
	s_cbranch_execz .LBB145_18
; %bb.17:                               ;   in Loop: Header=BB145_3 Depth=1
	v_add_co_u32 v4, vcc_lo, v9, s16
	v_add_co_ci_u32_e32 v5, vcc_lo, s17, v10, vcc_lo
	global_store_b16 v[4:5], v6, off
.LBB145_18:                             ;   in Loop: Header=BB145_3 Depth=1
	s_or_b32 exec_lo, exec_lo, s42
	v_or_b32_e32 v4, 5, v13
	s_mov_b32 s42, exec_lo
	s_delay_alu instid0(VALU_DEP_1)
	v_cmpx_gt_i32_e64 s33, v4
	s_cbranch_execz .LBB145_20
; %bb.19:                               ;   in Loop: Header=BB145_3 Depth=1
	v_add_co_u32 v4, vcc_lo, v9, s18
	v_add_co_ci_u32_e32 v5, vcc_lo, s19, v10, vcc_lo
	global_store_d16_hi_b16 v[4:5], v6, off
.LBB145_20:                             ;   in Loop: Header=BB145_3 Depth=1
	s_or_b32 exec_lo, exec_lo, s42
	;; [unrolled: 22-line block ×3, first 2 shown]
	v_or_b32_e32 v4, 8, v13
	s_mov_b32 s42, exec_lo
	s_delay_alu instid0(VALU_DEP_1)
	v_cmpx_gt_i32_e64 s33, v4
	s_cbranch_execz .LBB145_26
; %bb.25:                               ;   in Loop: Header=BB145_3 Depth=1
	v_add_co_u32 v4, vcc_lo, v9, s24
	v_add_co_ci_u32_e32 v5, vcc_lo, s25, v10, vcc_lo
	s_waitcnt vmcnt(0)
	global_store_b16 v[4:5], v0, off
.LBB145_26:                             ;   in Loop: Header=BB145_3 Depth=1
	s_or_b32 exec_lo, exec_lo, s42
	v_or_b32_e32 v4, 9, v13
	s_mov_b32 s42, exec_lo
	s_delay_alu instid0(VALU_DEP_1)
	v_cmpx_gt_i32_e64 s33, v4
	s_cbranch_execz .LBB145_28
; %bb.27:                               ;   in Loop: Header=BB145_3 Depth=1
	v_add_co_u32 v4, vcc_lo, v9, s26
	v_add_co_ci_u32_e32 v5, vcc_lo, s27, v10, vcc_lo
	s_waitcnt vmcnt(0)
	global_store_d16_hi_b16 v[4:5], v0, off
.LBB145_28:                             ;   in Loop: Header=BB145_3 Depth=1
	s_or_b32 exec_lo, exec_lo, s42
	s_waitcnt vmcnt(0)
	v_or_b32_e32 v0, 10, v13
	s_mov_b32 s42, exec_lo
	s_delay_alu instid0(VALU_DEP_1)
	v_cmpx_gt_i32_e64 s33, v0
	s_cbranch_execz .LBB145_30
; %bb.29:                               ;   in Loop: Header=BB145_3 Depth=1
	v_add_co_u32 v4, vcc_lo, v9, s28
	v_add_co_ci_u32_e32 v5, vcc_lo, s29, v10, vcc_lo
	global_store_b16 v[4:5], v1, off
.LBB145_30:                             ;   in Loop: Header=BB145_3 Depth=1
	s_or_b32 exec_lo, exec_lo, s42
	v_or_b32_e32 v0, 11, v13
	s_mov_b32 s42, exec_lo
	s_delay_alu instid0(VALU_DEP_1)
	v_cmpx_gt_i32_e64 s33, v0
	s_cbranch_execz .LBB145_32
; %bb.31:                               ;   in Loop: Header=BB145_3 Depth=1
	v_add_co_u32 v4, vcc_lo, v9, s30
	v_add_co_ci_u32_e32 v5, vcc_lo, s31, v10, vcc_lo
	global_store_d16_hi_b16 v[4:5], v1, off
.LBB145_32:                             ;   in Loop: Header=BB145_3 Depth=1
	s_or_b32 exec_lo, exec_lo, s42
	v_or_b32_e32 v0, 12, v13
	s_mov_b32 s42, exec_lo
	s_delay_alu instid0(VALU_DEP_1)
	v_cmpx_gt_i32_e64 s33, v0
	s_cbranch_execz .LBB145_34
; %bb.33:                               ;   in Loop: Header=BB145_3 Depth=1
	v_add_co_u32 v0, vcc_lo, v9, s34
	v_add_co_ci_u32_e32 v1, vcc_lo, s35, v10, vcc_lo
	global_store_b16 v[0:1], v2, off
.LBB145_34:                             ;   in Loop: Header=BB145_3 Depth=1
	s_or_b32 exec_lo, exec_lo, s42
	v_or_b32_e32 v0, 13, v13
	s_mov_b32 s42, exec_lo
	s_delay_alu instid0(VALU_DEP_1)
	v_cmpx_gt_i32_e64 s33, v0
	s_cbranch_execz .LBB145_36
; %bb.35:                               ;   in Loop: Header=BB145_3 Depth=1
	v_add_co_u32 v0, vcc_lo, v9, s36
	v_add_co_ci_u32_e32 v1, vcc_lo, s37, v10, vcc_lo
	global_store_d16_hi_b16 v[0:1], v2, off
.LBB145_36:                             ;   in Loop: Header=BB145_3 Depth=1
	s_or_b32 exec_lo, exec_lo, s42
	v_or_b32_e32 v0, 14, v13
	s_mov_b32 s42, exec_lo
	s_delay_alu instid0(VALU_DEP_1)
	v_cmpx_gt_i32_e64 s33, v0
	s_cbranch_execz .LBB145_38
; %bb.37:                               ;   in Loop: Header=BB145_3 Depth=1
	v_add_co_u32 v0, vcc_lo, v9, s38
	v_add_co_ci_u32_e32 v1, vcc_lo, s39, v10, vcc_lo
	global_store_b16 v[0:1], v3, off
.LBB145_38:                             ;   in Loop: Header=BB145_3 Depth=1
	s_or_b32 exec_lo, exec_lo, s42
	v_or_b32_e32 v0, 15, v13
	s_mov_b32 s42, exec_lo
	s_delay_alu instid0(VALU_DEP_1)
	v_cmpx_gt_i32_e64 s33, v0
	s_cbranch_execz .LBB145_1
; %bb.39:                               ;   in Loop: Header=BB145_3 Depth=1
	v_add_co_u32 v0, vcc_lo, v9, s40
	v_add_co_ci_u32_e32 v1, vcc_lo, s41, v10, vcc_lo
	global_store_d16_hi_b16 v[0:1], v3, off
	s_branch .LBB145_1
.LBB145_40:
	s_nop 0
	s_sendmsg sendmsg(MSG_DEALLOC_VGPRS)
	s_endpgm
	.section	.rodata,"a",@progbits
	.p2align	6, 0x0
	.amdhsa_kernel _ZN5aiter24partial_transpose_kernelItLi512ELi16ELi10000EEEvPT_S2_PKii
		.amdhsa_group_segment_fixed_size 0
		.amdhsa_private_segment_fixed_size 0
		.amdhsa_kernarg_size 288
		.amdhsa_user_sgpr_count 15
		.amdhsa_user_sgpr_dispatch_ptr 0
		.amdhsa_user_sgpr_queue_ptr 0
		.amdhsa_user_sgpr_kernarg_segment_ptr 1
		.amdhsa_user_sgpr_dispatch_id 0
		.amdhsa_user_sgpr_private_segment_size 0
		.amdhsa_wavefront_size32 1
		.amdhsa_uses_dynamic_stack 0
		.amdhsa_enable_private_segment 0
		.amdhsa_system_sgpr_workgroup_id_x 1
		.amdhsa_system_sgpr_workgroup_id_y 0
		.amdhsa_system_sgpr_workgroup_id_z 0
		.amdhsa_system_sgpr_workgroup_info 0
		.amdhsa_system_vgpr_workitem_id 0
		.amdhsa_next_free_vgpr 16
		.amdhsa_next_free_sgpr 52
		.amdhsa_reserve_vcc 1
		.amdhsa_float_round_mode_32 0
		.amdhsa_float_round_mode_16_64 0
		.amdhsa_float_denorm_mode_32 3
		.amdhsa_float_denorm_mode_16_64 3
		.amdhsa_dx10_clamp 1
		.amdhsa_ieee_mode 1
		.amdhsa_fp16_overflow 0
		.amdhsa_workgroup_processor_mode 1
		.amdhsa_memory_ordered 1
		.amdhsa_forward_progress 0
		.amdhsa_shared_vgpr_count 0
		.amdhsa_exception_fp_ieee_invalid_op 0
		.amdhsa_exception_fp_denorm_src 0
		.amdhsa_exception_fp_ieee_div_zero 0
		.amdhsa_exception_fp_ieee_overflow 0
		.amdhsa_exception_fp_ieee_underflow 0
		.amdhsa_exception_fp_ieee_inexact 0
		.amdhsa_exception_int_div_zero 0
	.end_amdhsa_kernel
	.section	.text._ZN5aiter24partial_transpose_kernelItLi512ELi16ELi10000EEEvPT_S2_PKii,"axG",@progbits,_ZN5aiter24partial_transpose_kernelItLi512ELi16ELi10000EEEvPT_S2_PKii,comdat
.Lfunc_end145:
	.size	_ZN5aiter24partial_transpose_kernelItLi512ELi16ELi10000EEEvPT_S2_PKii, .Lfunc_end145-_ZN5aiter24partial_transpose_kernelItLi512ELi16ELi10000EEEvPT_S2_PKii
                                        ; -- End function
	.section	.AMDGPU.csdata,"",@progbits
; Kernel info:
; codeLenInByte = 2284
; NumSgprs: 54
; NumVgprs: 16
; ScratchSize: 0
; MemoryBound: 0
; FloatMode: 240
; IeeeMode: 1
; LDSByteSize: 0 bytes/workgroup (compile time only)
; SGPRBlocks: 6
; VGPRBlocks: 1
; NumSGPRsForWavesPerEU: 54
; NumVGPRsForWavesPerEU: 16
; Occupancy: 16
; WaveLimiterHint : 1
; COMPUTE_PGM_RSRC2:SCRATCH_EN: 0
; COMPUTE_PGM_RSRC2:USER_SGPR: 15
; COMPUTE_PGM_RSRC2:TRAP_HANDLER: 0
; COMPUTE_PGM_RSRC2:TGID_X_EN: 1
; COMPUTE_PGM_RSRC2:TGID_Y_EN: 0
; COMPUTE_PGM_RSRC2:TGID_Z_EN: 0
; COMPUTE_PGM_RSRC2:TIDIG_COMP_CNT: 0
	.section	.text._ZN5aiter43moe_smooth_per_token_scaled_quant_kernel_v1IDF16_DB8_Li128ELi8ELb1ELb1ELi1024EEEvPT0_PfPT_S4_PiS7_iiiii,"axG",@progbits,_ZN5aiter43moe_smooth_per_token_scaled_quant_kernel_v1IDF16_DB8_Li128ELi8ELb1ELb1ELi1024EEEvPT0_PfPT_S4_PiS7_iiiii,comdat
	.protected	_ZN5aiter43moe_smooth_per_token_scaled_quant_kernel_v1IDF16_DB8_Li128ELi8ELb1ELb1ELi1024EEEvPT0_PfPT_S4_PiS7_iiiii ; -- Begin function _ZN5aiter43moe_smooth_per_token_scaled_quant_kernel_v1IDF16_DB8_Li128ELi8ELb1ELb1ELi1024EEEvPT0_PfPT_S4_PiS7_iiiii
	.globl	_ZN5aiter43moe_smooth_per_token_scaled_quant_kernel_v1IDF16_DB8_Li128ELi8ELb1ELb1ELi1024EEEvPT0_PfPT_S4_PiS7_iiiii
	.p2align	8
	.type	_ZN5aiter43moe_smooth_per_token_scaled_quant_kernel_v1IDF16_DB8_Li128ELi8ELb1ELb1ELi1024EEEvPT0_PfPT_S4_PiS7_iiiii,@function
_ZN5aiter43moe_smooth_per_token_scaled_quant_kernel_v1IDF16_DB8_Li128ELi8ELb1ELb1ELi1024EEEvPT0_PfPT_S4_PiS7_iiiii: ; @_ZN5aiter43moe_smooth_per_token_scaled_quant_kernel_v1IDF16_DB8_Li128ELi8ELb1ELb1ELi1024EEEvPT0_PfPT_S4_PiS7_iiiii
; %bb.0:
	s_clause 0x2
	s_load_b32 s18, s[0:1], 0x40
	s_load_b256 s[4:11], s[0:1], 0x20
	s_load_b64 s[2:3], s[0:1], 0x10
	s_mov_b32 s20, s15
	v_and_b32_e32 v12, 31, v0
	v_lshlrev_b32_e32 v6, 2, v0
	s_mov_b32 s15, -1
	s_delay_alu instid0(VALU_DEP_2)
	v_lshlrev_b32_e32 v1, 2, v12
	s_waitcnt lgkmcnt(0)
	s_lshl_b32 s14, s18, 2
	s_mul_i32 s16, s20, s9
	s_and_b32 s13, s7, 0xffff
	s_ashr_i32 s17, s16, 31
	s_mov_b32 s12, s6
	s_lshl_b64 s[6:7], s[16:17], 2
	s_clause 0x7
	buffer_load_b32 v7, v6, s[12:15], 0 offen
	buffer_load_b32 v8, v6, s[12:15], 0 offen offset:512
	buffer_load_b32 v9, v6, s[12:15], 0 offen offset:1024
	;; [unrolled: 1-line block ×7, first 2 shown]
	s_add_u32 s12, s4, s6
	s_addc_u32 s4, s5, s7
	s_lshl_b32 s14, s9, 2
	s_and_b32 s13, s4, 0xffff
	s_mul_hi_i32 s5, s11, s20
	s_mul_i32 s4, s11, s20
	buffer_load_b32 v5, v1, s[12:15], 0 offen
	s_lshl_b64 s[4:5], s[4:5], 1
	v_lshlrev_b32_e32 v1, 4, v0
	s_add_u32 s12, s2, s4
	s_addc_u32 s2, s3, s5
	s_lshl_b32 s14, s10, 1
	s_and_b32 s13, s2, 0xffff
	v_cmp_gt_i32_e32 vcc_lo, s9, v12
	buffer_load_b128 v[1:4], v1, s[12:15], 0 offen
	s_waitcnt vmcnt(8)
	ds_store_2addr_stride64_b32 v6, v7, v8 offset1:2
	s_waitcnt vmcnt(6)
	ds_store_2addr_stride64_b32 v6, v9, v10 offset0:4 offset1:6
	s_waitcnt vmcnt(4)
	ds_store_2addr_stride64_b32 v6, v11, v13 offset0:8 offset1:10
	;; [unrolled: 2-line block ×3, first 2 shown]
	s_waitcnt vmcnt(0) expcnt(1) lgkmcnt(0)
	s_barrier
	buffer_gl0_inv
	v_cmp_gt_i32_e64 s2, s18, v5
	v_cmp_lt_i32_e64 s3, -1, v5
	s_delay_alu instid0(VALU_DEP_2)
	s_and_b32 s2, vcc_lo, s2
	s_delay_alu instid0(VALU_DEP_1) | instid1(SALU_CYCLE_1)
	s_and_b32 s3, s2, s3
	s_delay_alu instid0(SALU_CYCLE_1)
	s_and_saveexec_b32 s2, s3
	s_cbranch_execz .LBB146_2
; %bb.1:
	v_lshlrev_b32_e32 v5, 2, v5
	ds_load_b32 v5, v5
.LBB146_2:
	s_or_b32 exec_lo, exec_lo, s2
	s_cmp_lt_i32 s9, 1
	s_cbranch_scc1 .LBB146_13
; %bb.3:
	s_clause 0x1
	s_load_b128 s[4:7], s[0:1], 0x0
	s_load_b64 s[22:23], s[0:1], 0x18
	s_add_i32 s1, s10, 7
	v_lshrrev_b32_e32 v6, 16, v1
	s_ashr_i32 s2, s1, 31
	v_lshrrev_b32_e32 v7, 16, v2
	s_lshr_b32 s2, s2, 29
	v_lshrrev_b32_e32 v8, 16, v3
	v_lshrrev_b32_e32 v9, 16, v4
	;; [unrolled: 1-line block ×3, first 2 shown]
	v_and_b32_e32 v14, 3, v0
	s_add_i32 s11, s10, 3
	s_add_i32 s1, s1, s2
	s_ashr_i32 s2, s11, 31
	s_movk_i32 s0, 0x7c
	s_ashr_i32 s1, s1, 3
	s_lshr_b32 s2, s2, 30
	v_cvt_f32_f16_e32 v1, v1
	v_cvt_f32_f16_e32 v6, v6
	;; [unrolled: 1-line block ×8, first 2 shown]
	v_dual_mov_b32 v15, 0x43e00000 :: v_dual_lshlrev_b32 v10, 3, v0
	v_lshlrev_b32_e32 v11, 5, v0
	v_cmp_eq_u32_e32 vcc_lo, 31, v12
	v_and_or_b32 v12, v13, s0, 0x1000
	v_lshl_or_b32 v13, v14, 2, 0x1000
	v_cmp_eq_u32_e64 s0, 0, v0
	v_cmp_gt_u32_e64 s1, s1, v0
	v_mov_b32_e32 v0, 0
	v_mov_b32_e32 v14, 0xc3e00000
	s_add_i32 s11, s11, s2
	s_lshl_b32 s14, s10, 2
	s_mov_b32 s3, 0
	s_and_b32 s18, s11, -4
	s_mov_b32 s11, 0x76543210
	s_branch .LBB146_6
.LBB146_4:                              ;   in Loop: Header=BB146_6 Depth=1
	s_or_b32 exec_lo, exec_lo, s2
.LBB146_5:                              ;   in Loop: Header=BB146_6 Depth=1
	s_add_i32 s3, s3, 1
	s_add_i32 s20, s20, s8
	s_cmp_eq_u32 s9, s3
	s_cbranch_scc1 .LBB146_13
.LBB146_6:                              ; =>This Inner Loop Header: Depth=1
	s_waitcnt lgkmcnt(0)
	v_readlane_b32 s2, v5, s3
	s_delay_alu instid0(VALU_DEP_1)
	s_cmp_lt_i32 s2, 0
	s_cbranch_scc1 .LBB146_5
; %bb.7:                                ;   in Loop: Header=BB146_6 Depth=1
	s_mul_i32 s12, s2, s10
	s_delay_alu instid0(SALU_CYCLE_1) | instskip(NEXT) | instid1(SALU_CYCLE_1)
	s_ashr_i32 s13, s12, 31
	s_lshl_b64 s[12:13], s[12:13], 2
	s_delay_alu instid0(SALU_CYCLE_1) | instskip(SKIP_1) | instid1(SALU_CYCLE_1)
	s_add_u32 s12, s22, s12
	s_addc_u32 s2, s23, s13
	s_and_b32 s13, s2, 0xffff
	s_clause 0x1
	buffer_load_b128 v[16:19], v11, s[12:15], 0 offen
	buffer_load_b128 v[24:27], v11, s[12:15], 16 offen
	s_waitcnt vmcnt(1)
	v_dual_mul_f32 v22, v16, v1 :: v_dual_mul_f32 v23, v17, v6
	v_dual_mul_f32 v20, v18, v2 :: v_dual_mul_f32 v21, v19, v7
	s_waitcnt vmcnt(0)
	v_dual_mul_f32 v19, v24, v3 :: v_dual_mul_f32 v18, v25, v8
	s_delay_alu instid0(VALU_DEP_3) | instskip(SKIP_1) | instid1(VALU_DEP_2)
	v_max3_f32 v16, |v22|, 0x2edbe6ff, |v23|
	v_mul_f32_e32 v17, v27, v9
	v_max3_f32 v24, v16, |v20|, |v21|
	v_mul_f32_e32 v16, v26, v4
	s_delay_alu instid0(VALU_DEP_2) | instskip(NEXT) | instid1(VALU_DEP_1)
	v_max3_f32 v24, v24, |v19|, |v18|
	v_max3_f32 v24, v24, |v16|, |v17|
	s_delay_alu instid0(VALU_DEP_1) | instskip(NEXT) | instid1(VALU_DEP_1)
	v_mov_b32_dpp v25, v24 quad_perm:[1,0,3,2] row_mask:0xf bank_mask:0xf
	v_cmp_gt_f32_e64 s2, v24, v25
	s_delay_alu instid0(VALU_DEP_1) | instskip(NEXT) | instid1(VALU_DEP_1)
	v_cndmask_b32_e64 v24, v25, v24, s2
	v_mov_b32_dpp v25, v24 quad_perm:[2,3,0,1] row_mask:0xf bank_mask:0xf
	s_delay_alu instid0(VALU_DEP_1) | instskip(NEXT) | instid1(VALU_DEP_1)
	v_cmp_gt_f32_e64 s2, v24, v25
	v_cndmask_b32_e64 v24, v25, v24, s2
	s_delay_alu instid0(VALU_DEP_1) | instskip(NEXT) | instid1(VALU_DEP_1)
	v_mov_b32_dpp v25, v24 row_xmask:7 row_mask:0xf bank_mask:0xf
	v_cmp_gt_f32_e64 s2, v24, v25
	s_delay_alu instid0(VALU_DEP_1) | instskip(NEXT) | instid1(VALU_DEP_1)
	v_cndmask_b32_e64 v24, v25, v24, s2
	v_mov_b32_dpp v25, v24 row_xmask:15 row_mask:0xf bank_mask:0xf
	s_delay_alu instid0(VALU_DEP_1)
	v_cmp_gt_f32_e64 s2, v24, v25
	s_and_saveexec_b32 s12, vcc_lo
	s_cbranch_execz .LBB146_9
; %bb.8:                                ;   in Loop: Header=BB146_6 Depth=1
	s_delay_alu instid0(VALU_DEP_1) | instskip(NEXT) | instid1(VALU_DEP_1)
	v_cndmask_b32_e64 v24, v25, v24, s2
	v_permlanex16_b32 v25, v24, s11, 0xfedcba98 op_sel:[1,1]
	s_delay_alu instid0(VALU_DEP_1) | instskip(NEXT) | instid1(VALU_DEP_1)
	v_cmp_gt_f32_e64 s2, v24, v25
	v_cndmask_b32_e64 v24, v25, v24, s2
	ds_store_b32 v12, v24
.LBB146_9:                              ;   in Loop: Header=BB146_6 Depth=1
	s_or_b32 exec_lo, exec_lo, s12
	s_waitcnt lgkmcnt(0)
	s_waitcnt_vscnt null, 0x0
	s_barrier
	buffer_gl0_inv
	ds_load_b32 v24, v13
	s_waitcnt lgkmcnt(0)
	v_mov_b32_dpp v25, v24 quad_perm:[1,0,3,2] row_mask:0xf bank_mask:0xf
	s_delay_alu instid0(VALU_DEP_1) | instskip(NEXT) | instid1(VALU_DEP_1)
	v_cmp_gt_f32_e64 s2, v24, v25
	v_cndmask_b32_e64 v24, v25, v24, s2
	s_delay_alu instid0(VALU_DEP_1) | instskip(NEXT) | instid1(VALU_DEP_1)
	v_mov_b32_dpp v25, v24 quad_perm:[2,3,0,1] row_mask:0xf bank_mask:0xf
	v_cmp_gt_f32_e64 s2, v24, v25
	s_delay_alu instid0(VALU_DEP_1) | instskip(NEXT) | instid1(VALU_DEP_1)
	v_cndmask_b32_e64 v24, v25, v24, s2
	v_mul_f32_e32 v24, 0x3b124925, v24
	s_and_saveexec_b32 s2, s0
	s_cbranch_execz .LBB146_11
; %bb.10:                               ;   in Loop: Header=BB146_6 Depth=1
	s_ashr_i32 s21, s20, 31
	s_delay_alu instid0(SALU_CYCLE_1) | instskip(NEXT) | instid1(SALU_CYCLE_1)
	s_lshl_b64 s[12:13], s[20:21], 2
	s_add_u32 s12, s6, s12
	s_addc_u32 s13, s7, s13
	global_store_b32 v0, v24, s[12:13]
.LBB146_11:                             ;   in Loop: Header=BB146_6 Depth=1
	s_or_b32 exec_lo, exec_lo, s2
	s_and_saveexec_b32 s2, s1
	s_cbranch_execz .LBB146_4
; %bb.12:                               ;   in Loop: Header=BB146_6 Depth=1
	v_rcp_f32_e32 v24, v24
	s_mul_i32 s12, s20, s10
	s_mul_hi_i32 s13, s20, s10
	s_add_u32 s16, s4, s12
	s_addc_u32 s12, s5, s13
	s_mov_b32 s19, s15
	s_and_b32 s17, s12, 0xffff
	s_waitcnt_depctr 0xfff
	v_mul_f32_e32 v22, v22, v24
	v_mul_f32_e32 v23, v23, v24
	;; [unrolled: 1-line block ×4, first 2 shown]
	;;#ASMSTART
	v_med3_f32 v22, v22, v14, v15
v_med3_f32 v23, v23, v14, v15
v_cvt_pk_fp8_f32 v25, v22, v23
	;;#ASMEND
	;;#ASMSTART
	v_med3_f32 v20, v20, v14, v15
v_med3_f32 v21, v21, v14, v15
v_cvt_pk_fp8_f32 v22, v20, v21
	;;#ASMEND
	v_perm_b32 v20, v22, v25, 0x5040100
	v_and_b32_e32 v22, 0xffffff00, v22
	v_mul_f32_e32 v18, v18, v24
	v_mul_f32_e32 v16, v16, v24
	;; [unrolled: 1-line block ×3, first 2 shown]
	v_lshrrev_b32_e32 v21, 16, v20
	s_delay_alu instid0(VALU_DEP_1) | instskip(NEXT) | instid1(VALU_DEP_1)
	v_and_b32_e32 v21, 0xff, v21
	v_or_b32_e32 v21, v21, v22
	v_mul_f32_e32 v19, v19, v24
	;;#ASMSTART
	v_med3_f32 v19, v19, v14, v15
v_med3_f32 v18, v18, v14, v15
v_cvt_pk_fp8_f32 v22, v19, v18
	;;#ASMEND
	;;#ASMSTART
	v_med3_f32 v16, v16, v14, v15
v_med3_f32 v17, v17, v14, v15
v_cvt_pk_fp8_f32 v18, v16, v17
	;;#ASMEND
	v_lshlrev_b32_e32 v16, 16, v18
	v_lshlrev_b32_e32 v18, 16, v21
	s_delay_alu instid0(VALU_DEP_2) | instskip(NEXT) | instid1(VALU_DEP_2)
	v_and_or_b32 v17, 0xffff, v22, v16
	v_and_or_b32 v16, 0xffff, v20, v18
	buffer_store_b64 v[16:17], v10, s[16:19], 0 offen
	;;#ASMSTART
	s_nop 0
	;;#ASMEND
	s_branch .LBB146_4
.LBB146_13:
	s_nop 0
	s_sendmsg sendmsg(MSG_DEALLOC_VGPRS)
	s_endpgm
	.section	.rodata,"a",@progbits
	.p2align	6, 0x0
	.amdhsa_kernel _ZN5aiter43moe_smooth_per_token_scaled_quant_kernel_v1IDF16_DB8_Li128ELi8ELb1ELb1ELi1024EEEvPT0_PfPT_S4_PiS7_iiiii
		.amdhsa_group_segment_fixed_size 4112
		.amdhsa_private_segment_fixed_size 0
		.amdhsa_kernarg_size 68
		.amdhsa_user_sgpr_count 15
		.amdhsa_user_sgpr_dispatch_ptr 0
		.amdhsa_user_sgpr_queue_ptr 0
		.amdhsa_user_sgpr_kernarg_segment_ptr 1
		.amdhsa_user_sgpr_dispatch_id 0
		.amdhsa_user_sgpr_private_segment_size 0
		.amdhsa_wavefront_size32 1
		.amdhsa_uses_dynamic_stack 0
		.amdhsa_enable_private_segment 0
		.amdhsa_system_sgpr_workgroup_id_x 1
		.amdhsa_system_sgpr_workgroup_id_y 0
		.amdhsa_system_sgpr_workgroup_id_z 0
		.amdhsa_system_sgpr_workgroup_info 0
		.amdhsa_system_vgpr_workitem_id 0
		.amdhsa_next_free_vgpr 28
		.amdhsa_next_free_sgpr 24
		.amdhsa_reserve_vcc 1
		.amdhsa_float_round_mode_32 0
		.amdhsa_float_round_mode_16_64 0
		.amdhsa_float_denorm_mode_32 3
		.amdhsa_float_denorm_mode_16_64 3
		.amdhsa_dx10_clamp 1
		.amdhsa_ieee_mode 1
		.amdhsa_fp16_overflow 0
		.amdhsa_workgroup_processor_mode 1
		.amdhsa_memory_ordered 1
		.amdhsa_forward_progress 0
		.amdhsa_shared_vgpr_count 0
		.amdhsa_exception_fp_ieee_invalid_op 0
		.amdhsa_exception_fp_denorm_src 0
		.amdhsa_exception_fp_ieee_div_zero 0
		.amdhsa_exception_fp_ieee_overflow 0
		.amdhsa_exception_fp_ieee_underflow 0
		.amdhsa_exception_fp_ieee_inexact 0
		.amdhsa_exception_int_div_zero 0
	.end_amdhsa_kernel
	.section	.text._ZN5aiter43moe_smooth_per_token_scaled_quant_kernel_v1IDF16_DB8_Li128ELi8ELb1ELb1ELi1024EEEvPT0_PfPT_S4_PiS7_iiiii,"axG",@progbits,_ZN5aiter43moe_smooth_per_token_scaled_quant_kernel_v1IDF16_DB8_Li128ELi8ELb1ELb1ELi1024EEEvPT0_PfPT_S4_PiS7_iiiii,comdat
.Lfunc_end146:
	.size	_ZN5aiter43moe_smooth_per_token_scaled_quant_kernel_v1IDF16_DB8_Li128ELi8ELb1ELb1ELi1024EEEvPT0_PfPT_S4_PiS7_iiiii, .Lfunc_end146-_ZN5aiter43moe_smooth_per_token_scaled_quant_kernel_v1IDF16_DB8_Li128ELi8ELb1ELb1ELi1024EEEvPT0_PfPT_S4_PiS7_iiiii
                                        ; -- End function
	.section	.AMDGPU.csdata,"",@progbits
; Kernel info:
; codeLenInByte = 1508
; NumSgprs: 26
; NumVgprs: 28
; ScratchSize: 0
; MemoryBound: 0
; FloatMode: 240
; IeeeMode: 1
; LDSByteSize: 4112 bytes/workgroup (compile time only)
; SGPRBlocks: 3
; VGPRBlocks: 3
; NumSGPRsForWavesPerEU: 26
; NumVGPRsForWavesPerEU: 28
; Occupancy: 16
; WaveLimiterHint : 0
; COMPUTE_PGM_RSRC2:SCRATCH_EN: 0
; COMPUTE_PGM_RSRC2:USER_SGPR: 15
; COMPUTE_PGM_RSRC2:TRAP_HANDLER: 0
; COMPUTE_PGM_RSRC2:TGID_X_EN: 1
; COMPUTE_PGM_RSRC2:TGID_Y_EN: 0
; COMPUTE_PGM_RSRC2:TGID_Z_EN: 0
; COMPUTE_PGM_RSRC2:TIDIG_COMP_CNT: 0
	.section	.text._ZN5aiter43moe_smooth_per_token_scaled_quant_kernel_v1ItDB8_Li128ELi8ELb1ELb1ELi1024EEEvPT0_PfPT_S4_PiS7_iiiii,"axG",@progbits,_ZN5aiter43moe_smooth_per_token_scaled_quant_kernel_v1ItDB8_Li128ELi8ELb1ELb1ELi1024EEEvPT0_PfPT_S4_PiS7_iiiii,comdat
	.protected	_ZN5aiter43moe_smooth_per_token_scaled_quant_kernel_v1ItDB8_Li128ELi8ELb1ELb1ELi1024EEEvPT0_PfPT_S4_PiS7_iiiii ; -- Begin function _ZN5aiter43moe_smooth_per_token_scaled_quant_kernel_v1ItDB8_Li128ELi8ELb1ELb1ELi1024EEEvPT0_PfPT_S4_PiS7_iiiii
	.globl	_ZN5aiter43moe_smooth_per_token_scaled_quant_kernel_v1ItDB8_Li128ELi8ELb1ELb1ELi1024EEEvPT0_PfPT_S4_PiS7_iiiii
	.p2align	8
	.type	_ZN5aiter43moe_smooth_per_token_scaled_quant_kernel_v1ItDB8_Li128ELi8ELb1ELb1ELi1024EEEvPT0_PfPT_S4_PiS7_iiiii,@function
_ZN5aiter43moe_smooth_per_token_scaled_quant_kernel_v1ItDB8_Li128ELi8ELb1ELb1ELi1024EEEvPT0_PfPT_S4_PiS7_iiiii: ; @_ZN5aiter43moe_smooth_per_token_scaled_quant_kernel_v1ItDB8_Li128ELi8ELb1ELb1ELi1024EEEvPT0_PfPT_S4_PiS7_iiiii
; %bb.0:
	s_clause 0x2
	s_load_b32 s18, s[0:1], 0x40
	s_load_b256 s[4:11], s[0:1], 0x20
	s_load_b64 s[2:3], s[0:1], 0x10
	s_mov_b32 s20, s15
	v_and_b32_e32 v12, 31, v0
	v_lshlrev_b32_e32 v6, 2, v0
	s_mov_b32 s15, -1
	s_delay_alu instid0(VALU_DEP_2)
	v_lshlrev_b32_e32 v1, 2, v12
	s_waitcnt lgkmcnt(0)
	s_lshl_b32 s14, s18, 2
	s_mul_i32 s16, s20, s9
	s_and_b32 s13, s7, 0xffff
	s_ashr_i32 s17, s16, 31
	s_mov_b32 s12, s6
	s_lshl_b64 s[6:7], s[16:17], 2
	s_clause 0x7
	buffer_load_b32 v7, v6, s[12:15], 0 offen
	buffer_load_b32 v8, v6, s[12:15], 0 offen offset:512
	buffer_load_b32 v9, v6, s[12:15], 0 offen offset:1024
	;; [unrolled: 1-line block ×7, first 2 shown]
	s_add_u32 s12, s4, s6
	s_addc_u32 s4, s5, s7
	s_lshl_b32 s14, s9, 2
	s_and_b32 s13, s4, 0xffff
	s_mul_hi_i32 s5, s11, s20
	s_mul_i32 s4, s11, s20
	buffer_load_b32 v5, v1, s[12:15], 0 offen
	s_lshl_b64 s[4:5], s[4:5], 1
	v_lshlrev_b32_e32 v1, 4, v0
	s_add_u32 s12, s2, s4
	s_addc_u32 s2, s3, s5
	s_lshl_b32 s14, s10, 1
	s_and_b32 s13, s2, 0xffff
	v_cmp_gt_i32_e32 vcc_lo, s9, v12
	buffer_load_b128 v[1:4], v1, s[12:15], 0 offen
	s_waitcnt vmcnt(8)
	ds_store_2addr_stride64_b32 v6, v7, v8 offset1:2
	s_waitcnt vmcnt(6)
	ds_store_2addr_stride64_b32 v6, v9, v10 offset0:4 offset1:6
	s_waitcnt vmcnt(4)
	ds_store_2addr_stride64_b32 v6, v11, v13 offset0:8 offset1:10
	;; [unrolled: 2-line block ×3, first 2 shown]
	s_waitcnt vmcnt(0) expcnt(1) lgkmcnt(0)
	s_barrier
	buffer_gl0_inv
	v_cmp_gt_i32_e64 s2, s18, v5
	v_cmp_lt_i32_e64 s3, -1, v5
	s_delay_alu instid0(VALU_DEP_2)
	s_and_b32 s2, vcc_lo, s2
	s_delay_alu instid0(VALU_DEP_1) | instid1(SALU_CYCLE_1)
	s_and_b32 s3, s2, s3
	s_delay_alu instid0(SALU_CYCLE_1)
	s_and_saveexec_b32 s2, s3
	s_cbranch_execz .LBB147_2
; %bb.1:
	v_lshlrev_b32_e32 v5, 2, v5
	ds_load_b32 v5, v5
.LBB147_2:
	s_or_b32 exec_lo, exec_lo, s2
	s_cmp_lt_i32 s9, 1
	s_cbranch_scc1 .LBB147_13
; %bb.3:
	s_clause 0x1
	s_load_b128 s[4:7], s[0:1], 0x0
	s_load_b64 s[22:23], s[0:1], 0x18
	v_and_b32_e32 v6, 0xffff, v1
	v_lshrrev_b32_e32 v7, 16, v1
	v_and_b32_e32 v8, 0xffff, v2
	s_add_i32 s1, s10, 7
	v_lshrrev_b32_e32 v2, 16, v2
	s_ashr_i32 s2, s1, 31
	v_cvt_f32_u32_e32 v1, v6
	s_lshr_b32 s2, s2, 29
	v_cvt_f32_u32_e32 v6, v7
	v_cvt_f32_u32_e32 v7, v8
	v_and_b32_e32 v8, 0xffff, v3
	v_lshrrev_b32_e32 v9, 16, v3
	v_and_b32_e32 v10, 0xffff, v4
	v_lshrrev_b32_e32 v11, 16, v4
	v_lshrrev_b32_e32 v13, 3, v0
	v_and_b32_e32 v14, 3, v0
	s_add_i32 s11, s10, 3
	s_add_i32 s1, s1, s2
	s_ashr_i32 s2, s11, 31
	s_movk_i32 s0, 0x7c
	s_ashr_i32 s1, s1, 3
	s_lshr_b32 s2, s2, 30
	v_cvt_f32_u32_e32 v2, v2
	v_cvt_f32_u32_e32 v3, v8
	;; [unrolled: 1-line block ×5, first 2 shown]
	v_dual_mov_b32 v15, 0x43e00000 :: v_dual_lshlrev_b32 v10, 3, v0
	v_lshlrev_b32_e32 v11, 5, v0
	v_cmp_eq_u32_e32 vcc_lo, 31, v12
	v_and_or_b32 v12, v13, s0, 0x1000
	v_lshl_or_b32 v13, v14, 2, 0x1000
	v_cmp_eq_u32_e64 s0, 0, v0
	v_cmp_gt_u32_e64 s1, s1, v0
	v_mov_b32_e32 v0, 0
	v_mov_b32_e32 v14, 0xc3e00000
	s_add_i32 s11, s11, s2
	s_lshl_b32 s14, s10, 2
	s_mov_b32 s3, 0
	s_and_b32 s18, s11, -4
	s_mov_b32 s11, 0x76543210
	s_branch .LBB147_6
.LBB147_4:                              ;   in Loop: Header=BB147_6 Depth=1
	s_or_b32 exec_lo, exec_lo, s2
.LBB147_5:                              ;   in Loop: Header=BB147_6 Depth=1
	s_add_i32 s3, s3, 1
	s_add_i32 s20, s20, s8
	s_cmp_eq_u32 s9, s3
	s_cbranch_scc1 .LBB147_13
.LBB147_6:                              ; =>This Inner Loop Header: Depth=1
	s_waitcnt lgkmcnt(0)
	v_readlane_b32 s2, v5, s3
	s_delay_alu instid0(VALU_DEP_1)
	s_cmp_lt_i32 s2, 0
	s_cbranch_scc1 .LBB147_5
; %bb.7:                                ;   in Loop: Header=BB147_6 Depth=1
	s_mul_i32 s12, s2, s10
	s_delay_alu instid0(SALU_CYCLE_1) | instskip(NEXT) | instid1(SALU_CYCLE_1)
	s_ashr_i32 s13, s12, 31
	s_lshl_b64 s[12:13], s[12:13], 2
	s_delay_alu instid0(SALU_CYCLE_1) | instskip(SKIP_1) | instid1(SALU_CYCLE_1)
	s_add_u32 s12, s22, s12
	s_addc_u32 s2, s23, s13
	s_and_b32 s13, s2, 0xffff
	s_clause 0x1
	buffer_load_b128 v[16:19], v11, s[12:15], 0 offen
	buffer_load_b128 v[24:27], v11, s[12:15], 16 offen
	s_waitcnt vmcnt(1)
	v_dual_mul_f32 v22, v16, v1 :: v_dual_mul_f32 v23, v17, v6
	v_dual_mul_f32 v20, v18, v7 :: v_dual_mul_f32 v21, v19, v2
	s_waitcnt vmcnt(0)
	v_dual_mul_f32 v19, v24, v3 :: v_dual_mul_f32 v18, v25, v4
	s_delay_alu instid0(VALU_DEP_3) | instskip(SKIP_1) | instid1(VALU_DEP_2)
	v_max3_f32 v16, |v22|, 0x2edbe6ff, |v23|
	v_mul_f32_e32 v17, v27, v9
	v_max3_f32 v24, v16, |v20|, |v21|
	v_mul_f32_e32 v16, v26, v8
	s_delay_alu instid0(VALU_DEP_2) | instskip(NEXT) | instid1(VALU_DEP_1)
	v_max3_f32 v24, v24, |v19|, |v18|
	v_max3_f32 v24, v24, |v16|, |v17|
	s_delay_alu instid0(VALU_DEP_1) | instskip(NEXT) | instid1(VALU_DEP_1)
	v_mov_b32_dpp v25, v24 quad_perm:[1,0,3,2] row_mask:0xf bank_mask:0xf
	v_cmp_gt_f32_e64 s2, v24, v25
	s_delay_alu instid0(VALU_DEP_1) | instskip(NEXT) | instid1(VALU_DEP_1)
	v_cndmask_b32_e64 v24, v25, v24, s2
	v_mov_b32_dpp v25, v24 quad_perm:[2,3,0,1] row_mask:0xf bank_mask:0xf
	s_delay_alu instid0(VALU_DEP_1) | instskip(NEXT) | instid1(VALU_DEP_1)
	v_cmp_gt_f32_e64 s2, v24, v25
	v_cndmask_b32_e64 v24, v25, v24, s2
	s_delay_alu instid0(VALU_DEP_1) | instskip(NEXT) | instid1(VALU_DEP_1)
	v_mov_b32_dpp v25, v24 row_xmask:7 row_mask:0xf bank_mask:0xf
	v_cmp_gt_f32_e64 s2, v24, v25
	s_delay_alu instid0(VALU_DEP_1) | instskip(NEXT) | instid1(VALU_DEP_1)
	v_cndmask_b32_e64 v24, v25, v24, s2
	v_mov_b32_dpp v25, v24 row_xmask:15 row_mask:0xf bank_mask:0xf
	s_delay_alu instid0(VALU_DEP_1)
	v_cmp_gt_f32_e64 s2, v24, v25
	s_and_saveexec_b32 s12, vcc_lo
	s_cbranch_execz .LBB147_9
; %bb.8:                                ;   in Loop: Header=BB147_6 Depth=1
	s_delay_alu instid0(VALU_DEP_1) | instskip(NEXT) | instid1(VALU_DEP_1)
	v_cndmask_b32_e64 v24, v25, v24, s2
	v_permlanex16_b32 v25, v24, s11, 0xfedcba98 op_sel:[1,1]
	s_delay_alu instid0(VALU_DEP_1) | instskip(NEXT) | instid1(VALU_DEP_1)
	v_cmp_gt_f32_e64 s2, v24, v25
	v_cndmask_b32_e64 v24, v25, v24, s2
	ds_store_b32 v12, v24
.LBB147_9:                              ;   in Loop: Header=BB147_6 Depth=1
	s_or_b32 exec_lo, exec_lo, s12
	s_waitcnt lgkmcnt(0)
	s_waitcnt_vscnt null, 0x0
	s_barrier
	buffer_gl0_inv
	ds_load_b32 v24, v13
	s_waitcnt lgkmcnt(0)
	v_mov_b32_dpp v25, v24 quad_perm:[1,0,3,2] row_mask:0xf bank_mask:0xf
	s_delay_alu instid0(VALU_DEP_1) | instskip(NEXT) | instid1(VALU_DEP_1)
	v_cmp_gt_f32_e64 s2, v24, v25
	v_cndmask_b32_e64 v24, v25, v24, s2
	s_delay_alu instid0(VALU_DEP_1) | instskip(NEXT) | instid1(VALU_DEP_1)
	v_mov_b32_dpp v25, v24 quad_perm:[2,3,0,1] row_mask:0xf bank_mask:0xf
	v_cmp_gt_f32_e64 s2, v24, v25
	s_delay_alu instid0(VALU_DEP_1) | instskip(NEXT) | instid1(VALU_DEP_1)
	v_cndmask_b32_e64 v24, v25, v24, s2
	v_mul_f32_e32 v24, 0x3b124925, v24
	s_and_saveexec_b32 s2, s0
	s_cbranch_execz .LBB147_11
; %bb.10:                               ;   in Loop: Header=BB147_6 Depth=1
	s_ashr_i32 s21, s20, 31
	s_delay_alu instid0(SALU_CYCLE_1) | instskip(NEXT) | instid1(SALU_CYCLE_1)
	s_lshl_b64 s[12:13], s[20:21], 2
	s_add_u32 s12, s6, s12
	s_addc_u32 s13, s7, s13
	global_store_b32 v0, v24, s[12:13]
.LBB147_11:                             ;   in Loop: Header=BB147_6 Depth=1
	s_or_b32 exec_lo, exec_lo, s2
	s_and_saveexec_b32 s2, s1
	s_cbranch_execz .LBB147_4
; %bb.12:                               ;   in Loop: Header=BB147_6 Depth=1
	v_rcp_f32_e32 v24, v24
	s_mul_i32 s12, s20, s10
	s_mul_hi_i32 s13, s20, s10
	s_add_u32 s16, s4, s12
	s_addc_u32 s12, s5, s13
	s_mov_b32 s19, s15
	s_and_b32 s17, s12, 0xffff
	s_waitcnt_depctr 0xfff
	v_mul_f32_e32 v22, v22, v24
	v_mul_f32_e32 v23, v23, v24
	;; [unrolled: 1-line block ×4, first 2 shown]
	;;#ASMSTART
	v_med3_f32 v22, v22, v14, v15
v_med3_f32 v23, v23, v14, v15
v_cvt_pk_fp8_f32 v25, v22, v23
	;;#ASMEND
	;;#ASMSTART
	v_med3_f32 v20, v20, v14, v15
v_med3_f32 v21, v21, v14, v15
v_cvt_pk_fp8_f32 v22, v20, v21
	;;#ASMEND
	v_perm_b32 v20, v22, v25, 0x5040100
	v_and_b32_e32 v22, 0xffffff00, v22
	v_mul_f32_e32 v18, v18, v24
	v_mul_f32_e32 v16, v16, v24
	;; [unrolled: 1-line block ×3, first 2 shown]
	v_lshrrev_b32_e32 v21, 16, v20
	s_delay_alu instid0(VALU_DEP_1) | instskip(NEXT) | instid1(VALU_DEP_1)
	v_and_b32_e32 v21, 0xff, v21
	v_or_b32_e32 v21, v21, v22
	v_mul_f32_e32 v19, v19, v24
	;;#ASMSTART
	v_med3_f32 v19, v19, v14, v15
v_med3_f32 v18, v18, v14, v15
v_cvt_pk_fp8_f32 v22, v19, v18
	;;#ASMEND
	;;#ASMSTART
	v_med3_f32 v16, v16, v14, v15
v_med3_f32 v17, v17, v14, v15
v_cvt_pk_fp8_f32 v18, v16, v17
	;;#ASMEND
	v_lshlrev_b32_e32 v16, 16, v18
	v_lshlrev_b32_e32 v18, 16, v21
	s_delay_alu instid0(VALU_DEP_2) | instskip(NEXT) | instid1(VALU_DEP_2)
	v_and_or_b32 v17, 0xffff, v22, v16
	v_and_or_b32 v16, 0xffff, v20, v18
	buffer_store_b64 v[16:17], v10, s[16:19], 0 offen
	;;#ASMSTART
	s_nop 0
	;;#ASMEND
	s_branch .LBB147_4
.LBB147_13:
	s_nop 0
	s_sendmsg sendmsg(MSG_DEALLOC_VGPRS)
	s_endpgm
	.section	.rodata,"a",@progbits
	.p2align	6, 0x0
	.amdhsa_kernel _ZN5aiter43moe_smooth_per_token_scaled_quant_kernel_v1ItDB8_Li128ELi8ELb1ELb1ELi1024EEEvPT0_PfPT_S4_PiS7_iiiii
		.amdhsa_group_segment_fixed_size 4112
		.amdhsa_private_segment_fixed_size 0
		.amdhsa_kernarg_size 68
		.amdhsa_user_sgpr_count 15
		.amdhsa_user_sgpr_dispatch_ptr 0
		.amdhsa_user_sgpr_queue_ptr 0
		.amdhsa_user_sgpr_kernarg_segment_ptr 1
		.amdhsa_user_sgpr_dispatch_id 0
		.amdhsa_user_sgpr_private_segment_size 0
		.amdhsa_wavefront_size32 1
		.amdhsa_uses_dynamic_stack 0
		.amdhsa_enable_private_segment 0
		.amdhsa_system_sgpr_workgroup_id_x 1
		.amdhsa_system_sgpr_workgroup_id_y 0
		.amdhsa_system_sgpr_workgroup_id_z 0
		.amdhsa_system_sgpr_workgroup_info 0
		.amdhsa_system_vgpr_workitem_id 0
		.amdhsa_next_free_vgpr 28
		.amdhsa_next_free_sgpr 24
		.amdhsa_reserve_vcc 1
		.amdhsa_float_round_mode_32 0
		.amdhsa_float_round_mode_16_64 0
		.amdhsa_float_denorm_mode_32 3
		.amdhsa_float_denorm_mode_16_64 3
		.amdhsa_dx10_clamp 1
		.amdhsa_ieee_mode 1
		.amdhsa_fp16_overflow 0
		.amdhsa_workgroup_processor_mode 1
		.amdhsa_memory_ordered 1
		.amdhsa_forward_progress 0
		.amdhsa_shared_vgpr_count 0
		.amdhsa_exception_fp_ieee_invalid_op 0
		.amdhsa_exception_fp_denorm_src 0
		.amdhsa_exception_fp_ieee_div_zero 0
		.amdhsa_exception_fp_ieee_overflow 0
		.amdhsa_exception_fp_ieee_underflow 0
		.amdhsa_exception_fp_ieee_inexact 0
		.amdhsa_exception_int_div_zero 0
	.end_amdhsa_kernel
	.section	.text._ZN5aiter43moe_smooth_per_token_scaled_quant_kernel_v1ItDB8_Li128ELi8ELb1ELb1ELi1024EEEvPT0_PfPT_S4_PiS7_iiiii,"axG",@progbits,_ZN5aiter43moe_smooth_per_token_scaled_quant_kernel_v1ItDB8_Li128ELi8ELb1ELb1ELi1024EEEvPT0_PfPT_S4_PiS7_iiiii,comdat
.Lfunc_end147:
	.size	_ZN5aiter43moe_smooth_per_token_scaled_quant_kernel_v1ItDB8_Li128ELi8ELb1ELb1ELi1024EEEvPT0_PfPT_S4_PiS7_iiiii, .Lfunc_end147-_ZN5aiter43moe_smooth_per_token_scaled_quant_kernel_v1ItDB8_Li128ELi8ELb1ELb1ELi1024EEEvPT0_PfPT_S4_PiS7_iiiii
                                        ; -- End function
	.section	.AMDGPU.csdata,"",@progbits
; Kernel info:
; codeLenInByte = 1540
; NumSgprs: 26
; NumVgprs: 28
; ScratchSize: 0
; MemoryBound: 0
; FloatMode: 240
; IeeeMode: 1
; LDSByteSize: 4112 bytes/workgroup (compile time only)
; SGPRBlocks: 3
; VGPRBlocks: 3
; NumSGPRsForWavesPerEU: 26
; NumVGPRsForWavesPerEU: 28
; Occupancy: 16
; WaveLimiterHint : 0
; COMPUTE_PGM_RSRC2:SCRATCH_EN: 0
; COMPUTE_PGM_RSRC2:USER_SGPR: 15
; COMPUTE_PGM_RSRC2:TRAP_HANDLER: 0
; COMPUTE_PGM_RSRC2:TGID_X_EN: 1
; COMPUTE_PGM_RSRC2:TGID_Y_EN: 0
; COMPUTE_PGM_RSRC2:TGID_Z_EN: 0
; COMPUTE_PGM_RSRC2:TIDIG_COMP_CNT: 0
	.section	.text._ZN5aiter43moe_smooth_per_token_scaled_quant_kernel_v1IDF16_DB8_Li128ELi8ELb1ELb0ELi1024EEEvPT0_PfPT_S4_PiS7_iiiii,"axG",@progbits,_ZN5aiter43moe_smooth_per_token_scaled_quant_kernel_v1IDF16_DB8_Li128ELi8ELb1ELb0ELi1024EEEvPT0_PfPT_S4_PiS7_iiiii,comdat
	.protected	_ZN5aiter43moe_smooth_per_token_scaled_quant_kernel_v1IDF16_DB8_Li128ELi8ELb1ELb0ELi1024EEEvPT0_PfPT_S4_PiS7_iiiii ; -- Begin function _ZN5aiter43moe_smooth_per_token_scaled_quant_kernel_v1IDF16_DB8_Li128ELi8ELb1ELb0ELi1024EEEvPT0_PfPT_S4_PiS7_iiiii
	.globl	_ZN5aiter43moe_smooth_per_token_scaled_quant_kernel_v1IDF16_DB8_Li128ELi8ELb1ELb0ELi1024EEEvPT0_PfPT_S4_PiS7_iiiii
	.p2align	8
	.type	_ZN5aiter43moe_smooth_per_token_scaled_quant_kernel_v1IDF16_DB8_Li128ELi8ELb1ELb0ELi1024EEEvPT0_PfPT_S4_PiS7_iiiii,@function
_ZN5aiter43moe_smooth_per_token_scaled_quant_kernel_v1IDF16_DB8_Li128ELi8ELb1ELb0ELi1024EEEvPT0_PfPT_S4_PiS7_iiiii: ; @_ZN5aiter43moe_smooth_per_token_scaled_quant_kernel_v1IDF16_DB8_Li128ELi8ELb1ELb0ELi1024EEEvPT0_PfPT_S4_PiS7_iiiii
; %bb.0:
	s_clause 0x2
	s_load_b128 s[4:7], s[0:1], 0x30
	s_load_b64 s[2:3], s[0:1], 0x20
	s_load_b64 s[12:13], s[0:1], 0x10
	v_and_b32_e32 v12, 31, v0
	s_mov_b32 s20, s15
	s_mov_b32 s11, -1
	s_delay_alu instid0(VALU_DEP_1)
	v_lshlrev_b32_e32 v1, 2, v12
	s_waitcnt lgkmcnt(0)
	s_mul_i32 s8, s15, s5
	s_mul_hi_i32 s15, s7, s15
	s_ashr_i32 s9, s8, 31
	s_mul_i32 s14, s7, s20
	s_lshl_b64 s[8:9], s[8:9], 2
	s_delay_alu instid0(SALU_CYCLE_1)
	s_add_u32 s8, s2, s8
	s_addc_u32 s2, s3, s9
	s_lshl_b32 s10, s5, 2
	s_and_b32 s9, s2, 0xffff
	s_lshl_b64 s[2:3], s[14:15], 1
	buffer_load_b32 v5, v1, s[8:11], 0 offen
	s_add_u32 s8, s12, s2
	v_lshlrev_b32_e32 v1, 4, v0
	s_addc_u32 s2, s13, s3
	s_lshl_b32 s10, s6, 1
	s_and_b32 s9, s2, 0xffff
	s_mov_b32 s3, 0
	buffer_load_b128 v[1:4], v1, s[8:11], 0 offen
	s_cmp_lt_i32 s5, 1
	s_waitcnt vmcnt(0) expcnt(1) lgkmcnt(55)
	s_barrier
	buffer_gl0_inv
	s_cbranch_scc1 .LBB148_11
; %bb.1:
	s_clause 0x1
	s_load_b128 s[12:15], s[0:1], 0x0
	s_load_b64 s[22:23], s[0:1], 0x18
	s_add_i32 s1, s6, 7
	v_lshrrev_b32_e32 v6, 16, v1
	s_ashr_i32 s2, s1, 31
	v_lshrrev_b32_e32 v7, 16, v2
	s_lshr_b32 s2, s2, 29
	v_lshrrev_b32_e32 v8, 16, v3
	v_lshrrev_b32_e32 v9, 16, v4
	;; [unrolled: 1-line block ×3, first 2 shown]
	v_and_b32_e32 v14, 3, v0
	s_add_i32 s7, s6, 3
	s_add_i32 s1, s1, s2
	s_ashr_i32 s2, s7, 31
	s_ashr_i32 s1, s1, 3
	s_lshr_b32 s2, s2, 30
	v_cvt_f32_f16_e32 v1, v1
	v_cvt_f32_f16_e32 v6, v6
	;; [unrolled: 1-line block ×8, first 2 shown]
	v_dual_mov_b32 v15, 0x43e00000 :: v_dual_lshlrev_b32 v10, 3, v0
	v_lshlrev_b32_e32 v11, 5, v0
	v_cmp_eq_u32_e32 vcc_lo, 31, v12
	v_and_b32_e32 v12, 0x7c, v13
	v_dual_mov_b32 v14, 0xc3e00000 :: v_dual_lshlrev_b32 v13, 2, v14
	v_cmp_eq_u32_e64 s0, 0, v0
	v_cmp_gt_u32_e64 s1, s1, v0
	v_mov_b32_e32 v0, 0
	s_add_i32 s7, s7, s2
	s_lshl_b32 s10, s6, 2
	s_and_b32 s18, s7, -4
	s_mov_b32 s7, 0x76543210
	s_branch .LBB148_4
.LBB148_2:                              ;   in Loop: Header=BB148_4 Depth=1
	s_or_b32 exec_lo, exec_lo, s2
.LBB148_3:                              ;   in Loop: Header=BB148_4 Depth=1
	s_add_i32 s3, s3, 1
	s_add_i32 s20, s20, s4
	s_cmp_eq_u32 s5, s3
	s_cbranch_scc1 .LBB148_11
.LBB148_4:                              ; =>This Inner Loop Header: Depth=1
	v_readlane_b32 s2, v5, s3
	s_delay_alu instid0(VALU_DEP_1)
	s_cmp_lt_i32 s2, 0
	s_cbranch_scc1 .LBB148_3
; %bb.5:                                ;   in Loop: Header=BB148_4 Depth=1
	s_mul_i32 s8, s2, s6
	s_delay_alu instid0(SALU_CYCLE_1) | instskip(NEXT) | instid1(SALU_CYCLE_1)
	s_ashr_i32 s9, s8, 31
	s_lshl_b64 s[8:9], s[8:9], 2
	s_waitcnt lgkmcnt(0)
	s_add_u32 s8, s22, s8
	s_addc_u32 s2, s23, s9
	s_delay_alu instid0(SALU_CYCLE_1)
	s_and_b32 s9, s2, 0xffff
	s_clause 0x1
	buffer_load_b128 v[16:19], v11, s[8:11], 0 offen
	buffer_load_b128 v[24:27], v11, s[8:11], 16 offen
	s_waitcnt vmcnt(1)
	v_dual_mul_f32 v22, v16, v1 :: v_dual_mul_f32 v23, v17, v6
	v_dual_mul_f32 v20, v18, v2 :: v_dual_mul_f32 v21, v19, v7
	s_waitcnt vmcnt(0)
	v_dual_mul_f32 v19, v24, v3 :: v_dual_mul_f32 v18, v25, v8
	s_delay_alu instid0(VALU_DEP_3) | instskip(SKIP_1) | instid1(VALU_DEP_2)
	v_max3_f32 v16, |v22|, 0x2edbe6ff, |v23|
	v_mul_f32_e32 v17, v27, v9
	v_max3_f32 v24, v16, |v20|, |v21|
	v_mul_f32_e32 v16, v26, v4
	s_delay_alu instid0(VALU_DEP_2) | instskip(NEXT) | instid1(VALU_DEP_1)
	v_max3_f32 v24, v24, |v19|, |v18|
	v_max3_f32 v24, v24, |v16|, |v17|
	s_delay_alu instid0(VALU_DEP_1) | instskip(NEXT) | instid1(VALU_DEP_1)
	v_mov_b32_dpp v25, v24 quad_perm:[1,0,3,2] row_mask:0xf bank_mask:0xf
	v_cmp_gt_f32_e64 s2, v24, v25
	s_delay_alu instid0(VALU_DEP_1) | instskip(NEXT) | instid1(VALU_DEP_1)
	v_cndmask_b32_e64 v24, v25, v24, s2
	v_mov_b32_dpp v25, v24 quad_perm:[2,3,0,1] row_mask:0xf bank_mask:0xf
	s_delay_alu instid0(VALU_DEP_1) | instskip(NEXT) | instid1(VALU_DEP_1)
	v_cmp_gt_f32_e64 s2, v24, v25
	v_cndmask_b32_e64 v24, v25, v24, s2
	s_delay_alu instid0(VALU_DEP_1) | instskip(NEXT) | instid1(VALU_DEP_1)
	v_mov_b32_dpp v25, v24 row_xmask:7 row_mask:0xf bank_mask:0xf
	v_cmp_gt_f32_e64 s2, v24, v25
	s_delay_alu instid0(VALU_DEP_1) | instskip(NEXT) | instid1(VALU_DEP_1)
	v_cndmask_b32_e64 v24, v25, v24, s2
	v_mov_b32_dpp v25, v24 row_xmask:15 row_mask:0xf bank_mask:0xf
	s_delay_alu instid0(VALU_DEP_1)
	v_cmp_gt_f32_e64 s2, v24, v25
	s_and_saveexec_b32 s8, vcc_lo
	s_cbranch_execz .LBB148_7
; %bb.6:                                ;   in Loop: Header=BB148_4 Depth=1
	s_delay_alu instid0(VALU_DEP_1) | instskip(NEXT) | instid1(VALU_DEP_1)
	v_cndmask_b32_e64 v24, v25, v24, s2
	v_permlanex16_b32 v25, v24, s7, 0xfedcba98 op_sel:[1,1]
	s_delay_alu instid0(VALU_DEP_1) | instskip(NEXT) | instid1(VALU_DEP_1)
	v_cmp_gt_f32_e64 s2, v24, v25
	v_cndmask_b32_e64 v24, v25, v24, s2
	ds_store_b32 v12, v24
.LBB148_7:                              ;   in Loop: Header=BB148_4 Depth=1
	s_or_b32 exec_lo, exec_lo, s8
	s_waitcnt lgkmcnt(0)
	s_waitcnt_vscnt null, 0x0
	s_barrier
	buffer_gl0_inv
	ds_load_b32 v24, v13
	s_waitcnt lgkmcnt(0)
	v_mov_b32_dpp v25, v24 quad_perm:[1,0,3,2] row_mask:0xf bank_mask:0xf
	s_delay_alu instid0(VALU_DEP_1) | instskip(NEXT) | instid1(VALU_DEP_1)
	v_cmp_gt_f32_e64 s2, v24, v25
	v_cndmask_b32_e64 v24, v25, v24, s2
	s_delay_alu instid0(VALU_DEP_1) | instskip(NEXT) | instid1(VALU_DEP_1)
	v_mov_b32_dpp v25, v24 quad_perm:[2,3,0,1] row_mask:0xf bank_mask:0xf
	v_cmp_gt_f32_e64 s2, v24, v25
	s_delay_alu instid0(VALU_DEP_1) | instskip(NEXT) | instid1(VALU_DEP_1)
	v_cndmask_b32_e64 v24, v25, v24, s2
	v_mul_f32_e32 v24, 0x3b124925, v24
	s_and_saveexec_b32 s2, s0
	s_cbranch_execz .LBB148_9
; %bb.8:                                ;   in Loop: Header=BB148_4 Depth=1
	s_ashr_i32 s21, s20, 31
	s_delay_alu instid0(SALU_CYCLE_1) | instskip(NEXT) | instid1(SALU_CYCLE_1)
	s_lshl_b64 s[8:9], s[20:21], 2
	s_add_u32 s8, s14, s8
	s_addc_u32 s9, s15, s9
	global_store_b32 v0, v24, s[8:9]
.LBB148_9:                              ;   in Loop: Header=BB148_4 Depth=1
	s_or_b32 exec_lo, exec_lo, s2
	s_and_saveexec_b32 s2, s1
	s_cbranch_execz .LBB148_2
; %bb.10:                               ;   in Loop: Header=BB148_4 Depth=1
	v_rcp_f32_e32 v24, v24
	s_mul_i32 s8, s20, s6
	s_mul_hi_i32 s9, s20, s6
	s_add_u32 s16, s12, s8
	s_addc_u32 s8, s13, s9
	s_mov_b32 s19, s11
	s_and_b32 s17, s8, 0xffff
	s_waitcnt_depctr 0xfff
	v_mul_f32_e32 v22, v22, v24
	v_mul_f32_e32 v23, v23, v24
	;; [unrolled: 1-line block ×4, first 2 shown]
	;;#ASMSTART
	v_med3_f32 v22, v22, v14, v15
v_med3_f32 v23, v23, v14, v15
v_cvt_pk_fp8_f32 v25, v22, v23
	;;#ASMEND
	;;#ASMSTART
	v_med3_f32 v20, v20, v14, v15
v_med3_f32 v21, v21, v14, v15
v_cvt_pk_fp8_f32 v22, v20, v21
	;;#ASMEND
	v_perm_b32 v20, v22, v25, 0x5040100
	v_and_b32_e32 v22, 0xffffff00, v22
	v_mul_f32_e32 v18, v18, v24
	v_mul_f32_e32 v16, v16, v24
	;; [unrolled: 1-line block ×3, first 2 shown]
	v_lshrrev_b32_e32 v21, 16, v20
	s_delay_alu instid0(VALU_DEP_1) | instskip(NEXT) | instid1(VALU_DEP_1)
	v_and_b32_e32 v21, 0xff, v21
	v_or_b32_e32 v21, v21, v22
	v_mul_f32_e32 v19, v19, v24
	;;#ASMSTART
	v_med3_f32 v19, v19, v14, v15
v_med3_f32 v18, v18, v14, v15
v_cvt_pk_fp8_f32 v22, v19, v18
	;;#ASMEND
	;;#ASMSTART
	v_med3_f32 v16, v16, v14, v15
v_med3_f32 v17, v17, v14, v15
v_cvt_pk_fp8_f32 v18, v16, v17
	;;#ASMEND
	v_lshlrev_b32_e32 v16, 16, v18
	v_lshlrev_b32_e32 v18, 16, v21
	s_delay_alu instid0(VALU_DEP_2) | instskip(NEXT) | instid1(VALU_DEP_2)
	v_and_or_b32 v17, 0xffff, v22, v16
	v_and_or_b32 v16, 0xffff, v20, v18
	buffer_store_b64 v[16:17], v10, s[16:19], 0 offen
	;;#ASMSTART
	s_nop 0
	;;#ASMEND
	s_branch .LBB148_2
.LBB148_11:
	s_nop 0
	s_sendmsg sendmsg(MSG_DEALLOC_VGPRS)
	s_endpgm
	.section	.rodata,"a",@progbits
	.p2align	6, 0x0
	.amdhsa_kernel _ZN5aiter43moe_smooth_per_token_scaled_quant_kernel_v1IDF16_DB8_Li128ELi8ELb1ELb0ELi1024EEEvPT0_PfPT_S4_PiS7_iiiii
		.amdhsa_group_segment_fixed_size 16
		.amdhsa_private_segment_fixed_size 0
		.amdhsa_kernarg_size 68
		.amdhsa_user_sgpr_count 15
		.amdhsa_user_sgpr_dispatch_ptr 0
		.amdhsa_user_sgpr_queue_ptr 0
		.amdhsa_user_sgpr_kernarg_segment_ptr 1
		.amdhsa_user_sgpr_dispatch_id 0
		.amdhsa_user_sgpr_private_segment_size 0
		.amdhsa_wavefront_size32 1
		.amdhsa_uses_dynamic_stack 0
		.amdhsa_enable_private_segment 0
		.amdhsa_system_sgpr_workgroup_id_x 1
		.amdhsa_system_sgpr_workgroup_id_y 0
		.amdhsa_system_sgpr_workgroup_id_z 0
		.amdhsa_system_sgpr_workgroup_info 0
		.amdhsa_system_vgpr_workitem_id 0
		.amdhsa_next_free_vgpr 28
		.amdhsa_next_free_sgpr 24
		.amdhsa_reserve_vcc 1
		.amdhsa_float_round_mode_32 0
		.amdhsa_float_round_mode_16_64 0
		.amdhsa_float_denorm_mode_32 3
		.amdhsa_float_denorm_mode_16_64 3
		.amdhsa_dx10_clamp 1
		.amdhsa_ieee_mode 1
		.amdhsa_fp16_overflow 0
		.amdhsa_workgroup_processor_mode 1
		.amdhsa_memory_ordered 1
		.amdhsa_forward_progress 0
		.amdhsa_shared_vgpr_count 0
		.amdhsa_exception_fp_ieee_invalid_op 0
		.amdhsa_exception_fp_denorm_src 0
		.amdhsa_exception_fp_ieee_div_zero 0
		.amdhsa_exception_fp_ieee_overflow 0
		.amdhsa_exception_fp_ieee_underflow 0
		.amdhsa_exception_fp_ieee_inexact 0
		.amdhsa_exception_int_div_zero 0
	.end_amdhsa_kernel
	.section	.text._ZN5aiter43moe_smooth_per_token_scaled_quant_kernel_v1IDF16_DB8_Li128ELi8ELb1ELb0ELi1024EEEvPT0_PfPT_S4_PiS7_iiiii,"axG",@progbits,_ZN5aiter43moe_smooth_per_token_scaled_quant_kernel_v1IDF16_DB8_Li128ELi8ELb1ELb0ELi1024EEEvPT0_PfPT_S4_PiS7_iiiii,comdat
.Lfunc_end148:
	.size	_ZN5aiter43moe_smooth_per_token_scaled_quant_kernel_v1IDF16_DB8_Li128ELi8ELb1ELb0ELi1024EEEvPT0_PfPT_S4_PiS7_iiiii, .Lfunc_end148-_ZN5aiter43moe_smooth_per_token_scaled_quant_kernel_v1IDF16_DB8_Li128ELi8ELb1ELb0ELi1024EEEvPT0_PfPT_S4_PiS7_iiiii
                                        ; -- End function
	.section	.AMDGPU.csdata,"",@progbits
; Kernel info:
; codeLenInByte = 1296
; NumSgprs: 26
; NumVgprs: 28
; ScratchSize: 0
; MemoryBound: 0
; FloatMode: 240
; IeeeMode: 1
; LDSByteSize: 16 bytes/workgroup (compile time only)
; SGPRBlocks: 3
; VGPRBlocks: 3
; NumSGPRsForWavesPerEU: 26
; NumVGPRsForWavesPerEU: 28
; Occupancy: 16
; WaveLimiterHint : 0
; COMPUTE_PGM_RSRC2:SCRATCH_EN: 0
; COMPUTE_PGM_RSRC2:USER_SGPR: 15
; COMPUTE_PGM_RSRC2:TRAP_HANDLER: 0
; COMPUTE_PGM_RSRC2:TGID_X_EN: 1
; COMPUTE_PGM_RSRC2:TGID_Y_EN: 0
; COMPUTE_PGM_RSRC2:TGID_Z_EN: 0
; COMPUTE_PGM_RSRC2:TIDIG_COMP_CNT: 0
	.section	.text._ZN5aiter43moe_smooth_per_token_scaled_quant_kernel_v1ItDB8_Li128ELi8ELb1ELb0ELi1024EEEvPT0_PfPT_S4_PiS7_iiiii,"axG",@progbits,_ZN5aiter43moe_smooth_per_token_scaled_quant_kernel_v1ItDB8_Li128ELi8ELb1ELb0ELi1024EEEvPT0_PfPT_S4_PiS7_iiiii,comdat
	.protected	_ZN5aiter43moe_smooth_per_token_scaled_quant_kernel_v1ItDB8_Li128ELi8ELb1ELb0ELi1024EEEvPT0_PfPT_S4_PiS7_iiiii ; -- Begin function _ZN5aiter43moe_smooth_per_token_scaled_quant_kernel_v1ItDB8_Li128ELi8ELb1ELb0ELi1024EEEvPT0_PfPT_S4_PiS7_iiiii
	.globl	_ZN5aiter43moe_smooth_per_token_scaled_quant_kernel_v1ItDB8_Li128ELi8ELb1ELb0ELi1024EEEvPT0_PfPT_S4_PiS7_iiiii
	.p2align	8
	.type	_ZN5aiter43moe_smooth_per_token_scaled_quant_kernel_v1ItDB8_Li128ELi8ELb1ELb0ELi1024EEEvPT0_PfPT_S4_PiS7_iiiii,@function
_ZN5aiter43moe_smooth_per_token_scaled_quant_kernel_v1ItDB8_Li128ELi8ELb1ELb0ELi1024EEEvPT0_PfPT_S4_PiS7_iiiii: ; @_ZN5aiter43moe_smooth_per_token_scaled_quant_kernel_v1ItDB8_Li128ELi8ELb1ELb0ELi1024EEEvPT0_PfPT_S4_PiS7_iiiii
; %bb.0:
	s_clause 0x2
	s_load_b128 s[4:7], s[0:1], 0x30
	s_load_b64 s[2:3], s[0:1], 0x20
	s_load_b64 s[12:13], s[0:1], 0x10
	v_and_b32_e32 v12, 31, v0
	s_mov_b32 s20, s15
	s_mov_b32 s11, -1
	s_delay_alu instid0(VALU_DEP_1)
	v_lshlrev_b32_e32 v1, 2, v12
	s_waitcnt lgkmcnt(0)
	s_mul_i32 s8, s15, s5
	s_mul_hi_i32 s15, s7, s15
	s_ashr_i32 s9, s8, 31
	s_mul_i32 s14, s7, s20
	s_lshl_b64 s[8:9], s[8:9], 2
	s_delay_alu instid0(SALU_CYCLE_1)
	s_add_u32 s8, s2, s8
	s_addc_u32 s2, s3, s9
	s_lshl_b32 s10, s5, 2
	s_and_b32 s9, s2, 0xffff
	s_lshl_b64 s[2:3], s[14:15], 1
	buffer_load_b32 v5, v1, s[8:11], 0 offen
	s_add_u32 s8, s12, s2
	v_lshlrev_b32_e32 v1, 4, v0
	s_addc_u32 s2, s13, s3
	s_lshl_b32 s10, s6, 1
	s_and_b32 s9, s2, 0xffff
	s_mov_b32 s3, 0
	buffer_load_b128 v[1:4], v1, s[8:11], 0 offen
	s_cmp_lt_i32 s5, 1
	s_waitcnt vmcnt(0) expcnt(1) lgkmcnt(55)
	s_barrier
	buffer_gl0_inv
	s_cbranch_scc1 .LBB149_11
; %bb.1:
	s_clause 0x1
	s_load_b128 s[12:15], s[0:1], 0x0
	s_load_b64 s[22:23], s[0:1], 0x18
	v_and_b32_e32 v6, 0xffff, v1
	v_lshrrev_b32_e32 v7, 16, v1
	v_and_b32_e32 v8, 0xffff, v2
	s_add_i32 s1, s6, 7
	v_lshrrev_b32_e32 v2, 16, v2
	s_ashr_i32 s2, s1, 31
	v_cvt_f32_u32_e32 v1, v6
	s_lshr_b32 s2, s2, 29
	v_cvt_f32_u32_e32 v6, v7
	v_cvt_f32_u32_e32 v7, v8
	v_and_b32_e32 v8, 0xffff, v3
	v_lshrrev_b32_e32 v9, 16, v3
	v_and_b32_e32 v10, 0xffff, v4
	v_lshrrev_b32_e32 v11, 16, v4
	v_lshrrev_b32_e32 v13, 3, v0
	v_and_b32_e32 v14, 3, v0
	s_add_i32 s7, s6, 3
	s_add_i32 s1, s1, s2
	s_ashr_i32 s2, s7, 31
	s_ashr_i32 s1, s1, 3
	s_lshr_b32 s2, s2, 30
	v_cvt_f32_u32_e32 v2, v2
	v_cvt_f32_u32_e32 v3, v8
	v_cvt_f32_u32_e32 v4, v9
	v_cvt_f32_u32_e32 v8, v10
	v_cvt_f32_u32_e32 v9, v11
	v_dual_mov_b32 v15, 0x43e00000 :: v_dual_lshlrev_b32 v10, 3, v0
	v_lshlrev_b32_e32 v11, 5, v0
	v_cmp_eq_u32_e32 vcc_lo, 31, v12
	v_and_b32_e32 v12, 0x7c, v13
	v_dual_mov_b32 v14, 0xc3e00000 :: v_dual_lshlrev_b32 v13, 2, v14
	v_cmp_eq_u32_e64 s0, 0, v0
	v_cmp_gt_u32_e64 s1, s1, v0
	v_mov_b32_e32 v0, 0
	s_add_i32 s7, s7, s2
	s_lshl_b32 s10, s6, 2
	s_and_b32 s18, s7, -4
	s_mov_b32 s7, 0x76543210
	s_branch .LBB149_4
.LBB149_2:                              ;   in Loop: Header=BB149_4 Depth=1
	s_or_b32 exec_lo, exec_lo, s2
.LBB149_3:                              ;   in Loop: Header=BB149_4 Depth=1
	s_add_i32 s3, s3, 1
	s_add_i32 s20, s20, s4
	s_cmp_eq_u32 s5, s3
	s_cbranch_scc1 .LBB149_11
.LBB149_4:                              ; =>This Inner Loop Header: Depth=1
	v_readlane_b32 s2, v5, s3
	s_delay_alu instid0(VALU_DEP_1)
	s_cmp_lt_i32 s2, 0
	s_cbranch_scc1 .LBB149_3
; %bb.5:                                ;   in Loop: Header=BB149_4 Depth=1
	s_mul_i32 s8, s2, s6
	s_delay_alu instid0(SALU_CYCLE_1) | instskip(NEXT) | instid1(SALU_CYCLE_1)
	s_ashr_i32 s9, s8, 31
	s_lshl_b64 s[8:9], s[8:9], 2
	s_waitcnt lgkmcnt(0)
	s_add_u32 s8, s22, s8
	s_addc_u32 s2, s23, s9
	s_delay_alu instid0(SALU_CYCLE_1)
	s_and_b32 s9, s2, 0xffff
	s_clause 0x1
	buffer_load_b128 v[16:19], v11, s[8:11], 0 offen
	buffer_load_b128 v[24:27], v11, s[8:11], 16 offen
	s_waitcnt vmcnt(1)
	v_dual_mul_f32 v22, v16, v1 :: v_dual_mul_f32 v23, v17, v6
	v_dual_mul_f32 v20, v18, v7 :: v_dual_mul_f32 v21, v19, v2
	s_waitcnt vmcnt(0)
	v_dual_mul_f32 v19, v24, v3 :: v_dual_mul_f32 v18, v25, v4
	s_delay_alu instid0(VALU_DEP_3) | instskip(SKIP_1) | instid1(VALU_DEP_2)
	v_max3_f32 v16, |v22|, 0x2edbe6ff, |v23|
	v_mul_f32_e32 v17, v27, v9
	v_max3_f32 v24, v16, |v20|, |v21|
	v_mul_f32_e32 v16, v26, v8
	s_delay_alu instid0(VALU_DEP_2) | instskip(NEXT) | instid1(VALU_DEP_1)
	v_max3_f32 v24, v24, |v19|, |v18|
	v_max3_f32 v24, v24, |v16|, |v17|
	s_delay_alu instid0(VALU_DEP_1) | instskip(NEXT) | instid1(VALU_DEP_1)
	v_mov_b32_dpp v25, v24 quad_perm:[1,0,3,2] row_mask:0xf bank_mask:0xf
	v_cmp_gt_f32_e64 s2, v24, v25
	s_delay_alu instid0(VALU_DEP_1) | instskip(NEXT) | instid1(VALU_DEP_1)
	v_cndmask_b32_e64 v24, v25, v24, s2
	v_mov_b32_dpp v25, v24 quad_perm:[2,3,0,1] row_mask:0xf bank_mask:0xf
	s_delay_alu instid0(VALU_DEP_1) | instskip(NEXT) | instid1(VALU_DEP_1)
	v_cmp_gt_f32_e64 s2, v24, v25
	v_cndmask_b32_e64 v24, v25, v24, s2
	s_delay_alu instid0(VALU_DEP_1) | instskip(NEXT) | instid1(VALU_DEP_1)
	v_mov_b32_dpp v25, v24 row_xmask:7 row_mask:0xf bank_mask:0xf
	v_cmp_gt_f32_e64 s2, v24, v25
	s_delay_alu instid0(VALU_DEP_1) | instskip(NEXT) | instid1(VALU_DEP_1)
	v_cndmask_b32_e64 v24, v25, v24, s2
	v_mov_b32_dpp v25, v24 row_xmask:15 row_mask:0xf bank_mask:0xf
	s_delay_alu instid0(VALU_DEP_1)
	v_cmp_gt_f32_e64 s2, v24, v25
	s_and_saveexec_b32 s8, vcc_lo
	s_cbranch_execz .LBB149_7
; %bb.6:                                ;   in Loop: Header=BB149_4 Depth=1
	s_delay_alu instid0(VALU_DEP_1) | instskip(NEXT) | instid1(VALU_DEP_1)
	v_cndmask_b32_e64 v24, v25, v24, s2
	v_permlanex16_b32 v25, v24, s7, 0xfedcba98 op_sel:[1,1]
	s_delay_alu instid0(VALU_DEP_1) | instskip(NEXT) | instid1(VALU_DEP_1)
	v_cmp_gt_f32_e64 s2, v24, v25
	v_cndmask_b32_e64 v24, v25, v24, s2
	ds_store_b32 v12, v24
.LBB149_7:                              ;   in Loop: Header=BB149_4 Depth=1
	s_or_b32 exec_lo, exec_lo, s8
	s_waitcnt lgkmcnt(0)
	s_waitcnt_vscnt null, 0x0
	s_barrier
	buffer_gl0_inv
	ds_load_b32 v24, v13
	s_waitcnt lgkmcnt(0)
	v_mov_b32_dpp v25, v24 quad_perm:[1,0,3,2] row_mask:0xf bank_mask:0xf
	s_delay_alu instid0(VALU_DEP_1) | instskip(NEXT) | instid1(VALU_DEP_1)
	v_cmp_gt_f32_e64 s2, v24, v25
	v_cndmask_b32_e64 v24, v25, v24, s2
	s_delay_alu instid0(VALU_DEP_1) | instskip(NEXT) | instid1(VALU_DEP_1)
	v_mov_b32_dpp v25, v24 quad_perm:[2,3,0,1] row_mask:0xf bank_mask:0xf
	v_cmp_gt_f32_e64 s2, v24, v25
	s_delay_alu instid0(VALU_DEP_1) | instskip(NEXT) | instid1(VALU_DEP_1)
	v_cndmask_b32_e64 v24, v25, v24, s2
	v_mul_f32_e32 v24, 0x3b124925, v24
	s_and_saveexec_b32 s2, s0
	s_cbranch_execz .LBB149_9
; %bb.8:                                ;   in Loop: Header=BB149_4 Depth=1
	s_ashr_i32 s21, s20, 31
	s_delay_alu instid0(SALU_CYCLE_1) | instskip(NEXT) | instid1(SALU_CYCLE_1)
	s_lshl_b64 s[8:9], s[20:21], 2
	s_add_u32 s8, s14, s8
	s_addc_u32 s9, s15, s9
	global_store_b32 v0, v24, s[8:9]
.LBB149_9:                              ;   in Loop: Header=BB149_4 Depth=1
	s_or_b32 exec_lo, exec_lo, s2
	s_and_saveexec_b32 s2, s1
	s_cbranch_execz .LBB149_2
; %bb.10:                               ;   in Loop: Header=BB149_4 Depth=1
	v_rcp_f32_e32 v24, v24
	s_mul_i32 s8, s20, s6
	s_mul_hi_i32 s9, s20, s6
	s_add_u32 s16, s12, s8
	s_addc_u32 s8, s13, s9
	s_mov_b32 s19, s11
	s_and_b32 s17, s8, 0xffff
	s_waitcnt_depctr 0xfff
	v_mul_f32_e32 v22, v22, v24
	v_mul_f32_e32 v23, v23, v24
	;; [unrolled: 1-line block ×4, first 2 shown]
	;;#ASMSTART
	v_med3_f32 v22, v22, v14, v15
v_med3_f32 v23, v23, v14, v15
v_cvt_pk_fp8_f32 v25, v22, v23
	;;#ASMEND
	;;#ASMSTART
	v_med3_f32 v20, v20, v14, v15
v_med3_f32 v21, v21, v14, v15
v_cvt_pk_fp8_f32 v22, v20, v21
	;;#ASMEND
	v_perm_b32 v20, v22, v25, 0x5040100
	v_and_b32_e32 v22, 0xffffff00, v22
	v_mul_f32_e32 v18, v18, v24
	v_mul_f32_e32 v16, v16, v24
	;; [unrolled: 1-line block ×3, first 2 shown]
	v_lshrrev_b32_e32 v21, 16, v20
	s_delay_alu instid0(VALU_DEP_1) | instskip(NEXT) | instid1(VALU_DEP_1)
	v_and_b32_e32 v21, 0xff, v21
	v_or_b32_e32 v21, v21, v22
	v_mul_f32_e32 v19, v19, v24
	;;#ASMSTART
	v_med3_f32 v19, v19, v14, v15
v_med3_f32 v18, v18, v14, v15
v_cvt_pk_fp8_f32 v22, v19, v18
	;;#ASMEND
	;;#ASMSTART
	v_med3_f32 v16, v16, v14, v15
v_med3_f32 v17, v17, v14, v15
v_cvt_pk_fp8_f32 v18, v16, v17
	;;#ASMEND
	v_lshlrev_b32_e32 v16, 16, v18
	v_lshlrev_b32_e32 v18, 16, v21
	s_delay_alu instid0(VALU_DEP_2) | instskip(NEXT) | instid1(VALU_DEP_2)
	v_and_or_b32 v17, 0xffff, v22, v16
	v_and_or_b32 v16, 0xffff, v20, v18
	buffer_store_b64 v[16:17], v10, s[16:19], 0 offen
	;;#ASMSTART
	s_nop 0
	;;#ASMEND
	s_branch .LBB149_2
.LBB149_11:
	s_nop 0
	s_sendmsg sendmsg(MSG_DEALLOC_VGPRS)
	s_endpgm
	.section	.rodata,"a",@progbits
	.p2align	6, 0x0
	.amdhsa_kernel _ZN5aiter43moe_smooth_per_token_scaled_quant_kernel_v1ItDB8_Li128ELi8ELb1ELb0ELi1024EEEvPT0_PfPT_S4_PiS7_iiiii
		.amdhsa_group_segment_fixed_size 16
		.amdhsa_private_segment_fixed_size 0
		.amdhsa_kernarg_size 68
		.amdhsa_user_sgpr_count 15
		.amdhsa_user_sgpr_dispatch_ptr 0
		.amdhsa_user_sgpr_queue_ptr 0
		.amdhsa_user_sgpr_kernarg_segment_ptr 1
		.amdhsa_user_sgpr_dispatch_id 0
		.amdhsa_user_sgpr_private_segment_size 0
		.amdhsa_wavefront_size32 1
		.amdhsa_uses_dynamic_stack 0
		.amdhsa_enable_private_segment 0
		.amdhsa_system_sgpr_workgroup_id_x 1
		.amdhsa_system_sgpr_workgroup_id_y 0
		.amdhsa_system_sgpr_workgroup_id_z 0
		.amdhsa_system_sgpr_workgroup_info 0
		.amdhsa_system_vgpr_workitem_id 0
		.amdhsa_next_free_vgpr 28
		.amdhsa_next_free_sgpr 24
		.amdhsa_reserve_vcc 1
		.amdhsa_float_round_mode_32 0
		.amdhsa_float_round_mode_16_64 0
		.amdhsa_float_denorm_mode_32 3
		.amdhsa_float_denorm_mode_16_64 3
		.amdhsa_dx10_clamp 1
		.amdhsa_ieee_mode 1
		.amdhsa_fp16_overflow 0
		.amdhsa_workgroup_processor_mode 1
		.amdhsa_memory_ordered 1
		.amdhsa_forward_progress 0
		.amdhsa_shared_vgpr_count 0
		.amdhsa_exception_fp_ieee_invalid_op 0
		.amdhsa_exception_fp_denorm_src 0
		.amdhsa_exception_fp_ieee_div_zero 0
		.amdhsa_exception_fp_ieee_overflow 0
		.amdhsa_exception_fp_ieee_underflow 0
		.amdhsa_exception_fp_ieee_inexact 0
		.amdhsa_exception_int_div_zero 0
	.end_amdhsa_kernel
	.section	.text._ZN5aiter43moe_smooth_per_token_scaled_quant_kernel_v1ItDB8_Li128ELi8ELb1ELb0ELi1024EEEvPT0_PfPT_S4_PiS7_iiiii,"axG",@progbits,_ZN5aiter43moe_smooth_per_token_scaled_quant_kernel_v1ItDB8_Li128ELi8ELb1ELb0ELi1024EEEvPT0_PfPT_S4_PiS7_iiiii,comdat
.Lfunc_end149:
	.size	_ZN5aiter43moe_smooth_per_token_scaled_quant_kernel_v1ItDB8_Li128ELi8ELb1ELb0ELi1024EEEvPT0_PfPT_S4_PiS7_iiiii, .Lfunc_end149-_ZN5aiter43moe_smooth_per_token_scaled_quant_kernel_v1ItDB8_Li128ELi8ELb1ELb0ELi1024EEEvPT0_PfPT_S4_PiS7_iiiii
                                        ; -- End function
	.section	.AMDGPU.csdata,"",@progbits
; Kernel info:
; codeLenInByte = 1328
; NumSgprs: 26
; NumVgprs: 28
; ScratchSize: 0
; MemoryBound: 0
; FloatMode: 240
; IeeeMode: 1
; LDSByteSize: 16 bytes/workgroup (compile time only)
; SGPRBlocks: 3
; VGPRBlocks: 3
; NumSGPRsForWavesPerEU: 26
; NumVGPRsForWavesPerEU: 28
; Occupancy: 16
; WaveLimiterHint : 0
; COMPUTE_PGM_RSRC2:SCRATCH_EN: 0
; COMPUTE_PGM_RSRC2:USER_SGPR: 15
; COMPUTE_PGM_RSRC2:TRAP_HANDLER: 0
; COMPUTE_PGM_RSRC2:TGID_X_EN: 1
; COMPUTE_PGM_RSRC2:TGID_Y_EN: 0
; COMPUTE_PGM_RSRC2:TGID_Z_EN: 0
; COMPUTE_PGM_RSRC2:TIDIG_COMP_CNT: 0
	.section	.text._ZN5aiter43moe_smooth_per_token_scaled_quant_kernel_v1IDF16_DB8_Li128ELi8ELb0ELb1ELi1024EEEvPT0_PfPT_S4_PiS7_iiiii,"axG",@progbits,_ZN5aiter43moe_smooth_per_token_scaled_quant_kernel_v1IDF16_DB8_Li128ELi8ELb0ELb1ELi1024EEEvPT0_PfPT_S4_PiS7_iiiii,comdat
	.protected	_ZN5aiter43moe_smooth_per_token_scaled_quant_kernel_v1IDF16_DB8_Li128ELi8ELb0ELb1ELi1024EEEvPT0_PfPT_S4_PiS7_iiiii ; -- Begin function _ZN5aiter43moe_smooth_per_token_scaled_quant_kernel_v1IDF16_DB8_Li128ELi8ELb0ELb1ELi1024EEEvPT0_PfPT_S4_PiS7_iiiii
	.globl	_ZN5aiter43moe_smooth_per_token_scaled_quant_kernel_v1IDF16_DB8_Li128ELi8ELb0ELb1ELi1024EEEvPT0_PfPT_S4_PiS7_iiiii
	.p2align	8
	.type	_ZN5aiter43moe_smooth_per_token_scaled_quant_kernel_v1IDF16_DB8_Li128ELi8ELb0ELb1ELi1024EEEvPT0_PfPT_S4_PiS7_iiiii,@function
_ZN5aiter43moe_smooth_per_token_scaled_quant_kernel_v1IDF16_DB8_Li128ELi8ELb0ELb1ELi1024EEEvPT0_PfPT_S4_PiS7_iiiii: ; @_ZN5aiter43moe_smooth_per_token_scaled_quant_kernel_v1IDF16_DB8_Li128ELi8ELb0ELb1ELi1024EEEvPT0_PfPT_S4_PiS7_iiiii
; %bb.0:
	s_clause 0x2
	s_load_b128 s[4:7], s[0:1], 0x34
	s_load_b128 s[8:11], s[0:1], 0x20
	s_load_b64 s[2:3], s[0:1], 0x10
	v_and_b32_e32 v12, 31, v0
	v_lshlrev_b32_e32 v6, 2, v0
	s_mov_b32 s19, -1
	s_delay_alu instid0(VALU_DEP_2)
	v_lshlrev_b32_e32 v1, 2, v12
	s_waitcnt lgkmcnt(0)
	s_mul_i32 s20, s15, s4
	s_lshl_b32 s18, s7, 2
	s_ashr_i32 s21, s20, 31
	s_and_b32 s17, s11, 0xffff
	s_mov_b32 s16, s10
	s_lshl_b64 s[10:11], s[20:21], 2
	s_clause 0x7
	buffer_load_b32 v7, v6, s[16:19], 0 offen
	buffer_load_b32 v8, v6, s[16:19], 0 offen offset:512
	buffer_load_b32 v9, v6, s[16:19], 0 offen offset:1024
	;; [unrolled: 1-line block ×7, first 2 shown]
	s_add_u32 s16, s8, s10
	s_addc_u32 s8, s9, s11
	s_lshl_b32 s18, s4, 2
	s_and_b32 s17, s8, 0xffff
	s_mul_hi_i32 s9, s6, s15
	s_mul_i32 s8, s6, s15
	buffer_load_b32 v5, v1, s[16:19], 0 offen
	s_lshl_b64 s[8:9], s[8:9], 1
	v_lshlrev_b32_e32 v1, 4, v0
	s_add_u32 s16, s2, s8
	s_addc_u32 s2, s3, s9
	s_lshl_b32 s18, s5, 1
	s_and_b32 s17, s2, 0xffff
	v_cmp_gt_i32_e32 vcc_lo, s4, v12
	buffer_load_b128 v[1:4], v1, s[16:19], 0 offen
	s_waitcnt vmcnt(8)
	ds_store_2addr_stride64_b32 v6, v7, v8 offset1:2
	s_waitcnt vmcnt(6)
	ds_store_2addr_stride64_b32 v6, v9, v10 offset0:4 offset1:6
	s_waitcnt vmcnt(4)
	ds_store_2addr_stride64_b32 v6, v11, v13 offset0:8 offset1:10
	;; [unrolled: 2-line block ×3, first 2 shown]
	s_waitcnt vmcnt(0) expcnt(1) lgkmcnt(0)
	s_barrier
	buffer_gl0_inv
	v_cmp_gt_i32_e64 s2, s7, v5
	v_cmp_lt_i32_e64 s3, -1, v5
	s_delay_alu instid0(VALU_DEP_2)
	s_and_b32 s2, vcc_lo, s2
	s_delay_alu instid0(VALU_DEP_1) | instid1(SALU_CYCLE_1)
	s_and_b32 s3, s2, s3
	s_delay_alu instid0(SALU_CYCLE_1)
	s_and_saveexec_b32 s2, s3
	s_cbranch_execz .LBB150_2
; %bb.1:
	v_lshlrev_b32_e32 v5, 2, v5
	ds_load_b32 v5, v5
.LBB150_2:
	s_or_b32 exec_lo, exec_lo, s2
	s_cmp_lt_i32 s4, 1
	s_cbranch_scc1 .LBB150_13
; %bb.3:
	s_clause 0x1
	s_load_b128 s[8:11], s[0:1], 0x0
	s_load_b64 s[6:7], s[0:1], 0x18
	s_add_i32 s1, s5, 7
	v_lshrrev_b32_e32 v6, 16, v1
	s_ashr_i32 s2, s1, 31
	v_lshrrev_b32_e32 v7, 16, v2
	s_lshr_b32 s2, s2, 29
	v_lshrrev_b32_e32 v8, 16, v3
	v_lshrrev_b32_e32 v9, 16, v4
	;; [unrolled: 1-line block ×3, first 2 shown]
	v_and_b32_e32 v14, 3, v0
	s_add_i32 s3, s5, 3
	s_add_i32 s1, s1, s2
	s_ashr_i32 s2, s3, 31
	s_movk_i32 s0, 0x7c
	s_ashr_i32 s1, s1, 3
	s_lshr_b32 s2, s2, 30
	v_cvt_f32_f16_e32 v1, v1
	v_cvt_f32_f16_e32 v6, v6
	;; [unrolled: 1-line block ×8, first 2 shown]
	v_dual_mov_b32 v15, 0x43e00000 :: v_dual_lshlrev_b32 v10, 3, v0
	v_lshlrev_b32_e32 v11, 5, v0
	v_cmp_eq_u32_e32 vcc_lo, 31, v12
	v_and_or_b32 v12, v13, s0, 0x1000
	v_lshl_or_b32 v13, v14, 2, 0x1000
	v_cmp_eq_u32_e64 s0, 0, v0
	v_cmp_gt_u32_e64 s1, s1, v0
	v_mov_b32_e32 v0, 0
	v_mov_b32_e32 v14, 0xc3e00000
	s_add_i32 s3, s3, s2
	s_mov_b32 s21, s5
	s_lshl_b32 s14, s5, 2
	s_mov_b32 s22, 0
	s_and_b32 s18, s3, -4
	s_mov_b32 s15, -1
	s_mov_b32 s5, 0x76543210
	s_branch .LBB150_6
.LBB150_4:                              ;   in Loop: Header=BB150_6 Depth=1
	s_or_b32 exec_lo, exec_lo, s3
.LBB150_5:                              ;   in Loop: Header=BB150_6 Depth=1
	s_add_i32 s22, s22, 1
	s_delay_alu instid0(SALU_CYCLE_1)
	s_cmp_eq_u32 s4, s22
	s_cbranch_scc1 .LBB150_13
.LBB150_6:                              ; =>This Inner Loop Header: Depth=1
	s_waitcnt lgkmcnt(0)
	v_readlane_b32 s2, v5, s22
	s_delay_alu instid0(VALU_DEP_1)
	s_cmp_lt_i32 s2, 0
	s_cbranch_scc1 .LBB150_5
; %bb.7:                                ;   in Loop: Header=BB150_6 Depth=1
	s_mul_i32 s2, s2, s21
	s_delay_alu instid0(SALU_CYCLE_1) | instskip(NEXT) | instid1(SALU_CYCLE_1)
	s_ashr_i32 s3, s2, 31
	s_lshl_b64 s[2:3], s[2:3], 2
	s_delay_alu instid0(SALU_CYCLE_1) | instskip(SKIP_1) | instid1(SALU_CYCLE_1)
	s_add_u32 s12, s6, s2
	s_addc_u32 s2, s7, s3
	s_and_b32 s13, s2, 0xffff
	s_clause 0x1
	buffer_load_b128 v[16:19], v11, s[12:15], 0 offen
	buffer_load_b128 v[24:27], v11, s[12:15], 16 offen
	s_waitcnt vmcnt(1)
	v_dual_mul_f32 v22, v16, v1 :: v_dual_mul_f32 v23, v17, v6
	v_dual_mul_f32 v20, v18, v2 :: v_dual_mul_f32 v21, v19, v7
	s_waitcnt vmcnt(0)
	v_dual_mul_f32 v19, v24, v3 :: v_dual_mul_f32 v18, v25, v8
	s_delay_alu instid0(VALU_DEP_3) | instskip(SKIP_1) | instid1(VALU_DEP_2)
	v_max3_f32 v16, |v22|, 0x2edbe6ff, |v23|
	v_mul_f32_e32 v17, v27, v9
	v_max3_f32 v24, v16, |v20|, |v21|
	v_mul_f32_e32 v16, v26, v4
	s_delay_alu instid0(VALU_DEP_2) | instskip(NEXT) | instid1(VALU_DEP_1)
	v_max3_f32 v24, v24, |v19|, |v18|
	v_max3_f32 v24, v24, |v16|, |v17|
	s_delay_alu instid0(VALU_DEP_1) | instskip(NEXT) | instid1(VALU_DEP_1)
	v_mov_b32_dpp v25, v24 quad_perm:[1,0,3,2] row_mask:0xf bank_mask:0xf
	v_cmp_gt_f32_e64 s2, v24, v25
	s_delay_alu instid0(VALU_DEP_1) | instskip(NEXT) | instid1(VALU_DEP_1)
	v_cndmask_b32_e64 v24, v25, v24, s2
	v_mov_b32_dpp v25, v24 quad_perm:[2,3,0,1] row_mask:0xf bank_mask:0xf
	s_delay_alu instid0(VALU_DEP_1) | instskip(NEXT) | instid1(VALU_DEP_1)
	v_cmp_gt_f32_e64 s2, v24, v25
	v_cndmask_b32_e64 v24, v25, v24, s2
	s_delay_alu instid0(VALU_DEP_1) | instskip(NEXT) | instid1(VALU_DEP_1)
	v_mov_b32_dpp v25, v24 row_xmask:7 row_mask:0xf bank_mask:0xf
	v_cmp_gt_f32_e64 s2, v24, v25
	s_delay_alu instid0(VALU_DEP_1) | instskip(NEXT) | instid1(VALU_DEP_1)
	v_cndmask_b32_e64 v24, v25, v24, s2
	v_mov_b32_dpp v25, v24 row_xmask:15 row_mask:0xf bank_mask:0xf
	s_delay_alu instid0(VALU_DEP_1)
	v_cmp_gt_f32_e64 s2, v24, v25
	s_and_saveexec_b32 s3, vcc_lo
	s_cbranch_execz .LBB150_9
; %bb.8:                                ;   in Loop: Header=BB150_6 Depth=1
	s_delay_alu instid0(VALU_DEP_1) | instskip(NEXT) | instid1(VALU_DEP_1)
	v_cndmask_b32_e64 v24, v25, v24, s2
	v_permlanex16_b32 v25, v24, s5, 0xfedcba98 op_sel:[1,1]
	s_delay_alu instid0(VALU_DEP_1) | instskip(NEXT) | instid1(VALU_DEP_1)
	v_cmp_gt_f32_e64 s2, v24, v25
	v_cndmask_b32_e64 v24, v25, v24, s2
	ds_store_b32 v12, v24
.LBB150_9:                              ;   in Loop: Header=BB150_6 Depth=1
	s_or_b32 exec_lo, exec_lo, s3
	s_waitcnt lgkmcnt(0)
	s_waitcnt_vscnt null, 0x0
	s_barrier
	buffer_gl0_inv
	ds_load_b32 v24, v13
	s_waitcnt lgkmcnt(0)
	v_mov_b32_dpp v25, v24 quad_perm:[1,0,3,2] row_mask:0xf bank_mask:0xf
	s_delay_alu instid0(VALU_DEP_1) | instskip(NEXT) | instid1(VALU_DEP_1)
	v_cmp_gt_f32_e64 s2, v24, v25
	v_cndmask_b32_e64 v24, v25, v24, s2
	s_delay_alu instid0(VALU_DEP_1) | instskip(NEXT) | instid1(VALU_DEP_1)
	v_mov_b32_dpp v25, v24 quad_perm:[2,3,0,1] row_mask:0xf bank_mask:0xf
	v_cmp_gt_f32_e64 s2, v24, v25
	s_delay_alu instid0(VALU_DEP_1) | instskip(SKIP_1) | instid1(VALU_DEP_1)
	v_cndmask_b32_e64 v24, v25, v24, s2
	s_add_i32 s2, s20, s22
	v_mul_f32_e32 v24, 0x3b124925, v24
	s_and_saveexec_b32 s12, s0
	s_cbranch_execz .LBB150_11
; %bb.10:                               ;   in Loop: Header=BB150_6 Depth=1
	s_ashr_i32 s3, s2, 31
	s_delay_alu instid0(SALU_CYCLE_1) | instskip(NEXT) | instid1(SALU_CYCLE_1)
	s_lshl_b64 s[16:17], s[2:3], 2
	s_add_u32 s16, s10, s16
	s_addc_u32 s17, s11, s17
	global_store_b32 v0, v24, s[16:17]
.LBB150_11:                             ;   in Loop: Header=BB150_6 Depth=1
	s_or_b32 exec_lo, exec_lo, s12
	s_and_saveexec_b32 s3, s1
	s_cbranch_execz .LBB150_4
; %bb.12:                               ;   in Loop: Header=BB150_6 Depth=1
	v_rcp_f32_e32 v24, v24
	s_mul_i32 s12, s2, s21
	s_mul_hi_i32 s2, s2, s21
	s_add_u32 s16, s8, s12
	s_addc_u32 s2, s9, s2
	s_mov_b32 s19, s15
	s_and_b32 s17, s2, 0xffff
	s_waitcnt_depctr 0xfff
	v_mul_f32_e32 v22, v22, v24
	v_mul_f32_e32 v23, v23, v24
	;; [unrolled: 1-line block ×4, first 2 shown]
	;;#ASMSTART
	v_med3_f32 v22, v22, v14, v15
v_med3_f32 v23, v23, v14, v15
v_cvt_pk_fp8_f32 v25, v22, v23
	;;#ASMEND
	;;#ASMSTART
	v_med3_f32 v20, v20, v14, v15
v_med3_f32 v21, v21, v14, v15
v_cvt_pk_fp8_f32 v22, v20, v21
	;;#ASMEND
	v_perm_b32 v20, v22, v25, 0x5040100
	v_and_b32_e32 v22, 0xffffff00, v22
	v_mul_f32_e32 v18, v18, v24
	v_mul_f32_e32 v16, v16, v24
	;; [unrolled: 1-line block ×3, first 2 shown]
	v_lshrrev_b32_e32 v21, 16, v20
	s_delay_alu instid0(VALU_DEP_1) | instskip(NEXT) | instid1(VALU_DEP_1)
	v_and_b32_e32 v21, 0xff, v21
	v_or_b32_e32 v21, v21, v22
	v_mul_f32_e32 v19, v19, v24
	;;#ASMSTART
	v_med3_f32 v19, v19, v14, v15
v_med3_f32 v18, v18, v14, v15
v_cvt_pk_fp8_f32 v22, v19, v18
	;;#ASMEND
	;;#ASMSTART
	v_med3_f32 v16, v16, v14, v15
v_med3_f32 v17, v17, v14, v15
v_cvt_pk_fp8_f32 v18, v16, v17
	;;#ASMEND
	v_lshlrev_b32_e32 v16, 16, v18
	v_lshlrev_b32_e32 v18, 16, v21
	s_delay_alu instid0(VALU_DEP_2) | instskip(NEXT) | instid1(VALU_DEP_2)
	v_and_or_b32 v17, 0xffff, v22, v16
	v_and_or_b32 v16, 0xffff, v20, v18
	buffer_store_b64 v[16:17], v10, s[16:19], 0 offen
	;;#ASMSTART
	s_nop 0
	;;#ASMEND
	s_branch .LBB150_4
.LBB150_13:
	s_nop 0
	s_sendmsg sendmsg(MSG_DEALLOC_VGPRS)
	s_endpgm
	.section	.rodata,"a",@progbits
	.p2align	6, 0x0
	.amdhsa_kernel _ZN5aiter43moe_smooth_per_token_scaled_quant_kernel_v1IDF16_DB8_Li128ELi8ELb0ELb1ELi1024EEEvPT0_PfPT_S4_PiS7_iiiii
		.amdhsa_group_segment_fixed_size 4112
		.amdhsa_private_segment_fixed_size 0
		.amdhsa_kernarg_size 68
		.amdhsa_user_sgpr_count 15
		.amdhsa_user_sgpr_dispatch_ptr 0
		.amdhsa_user_sgpr_queue_ptr 0
		.amdhsa_user_sgpr_kernarg_segment_ptr 1
		.amdhsa_user_sgpr_dispatch_id 0
		.amdhsa_user_sgpr_private_segment_size 0
		.amdhsa_wavefront_size32 1
		.amdhsa_uses_dynamic_stack 0
		.amdhsa_enable_private_segment 0
		.amdhsa_system_sgpr_workgroup_id_x 1
		.amdhsa_system_sgpr_workgroup_id_y 0
		.amdhsa_system_sgpr_workgroup_id_z 0
		.amdhsa_system_sgpr_workgroup_info 0
		.amdhsa_system_vgpr_workitem_id 0
		.amdhsa_next_free_vgpr 28
		.amdhsa_next_free_sgpr 23
		.amdhsa_reserve_vcc 1
		.amdhsa_float_round_mode_32 0
		.amdhsa_float_round_mode_16_64 0
		.amdhsa_float_denorm_mode_32 3
		.amdhsa_float_denorm_mode_16_64 3
		.amdhsa_dx10_clamp 1
		.amdhsa_ieee_mode 1
		.amdhsa_fp16_overflow 0
		.amdhsa_workgroup_processor_mode 1
		.amdhsa_memory_ordered 1
		.amdhsa_forward_progress 0
		.amdhsa_shared_vgpr_count 0
		.amdhsa_exception_fp_ieee_invalid_op 0
		.amdhsa_exception_fp_denorm_src 0
		.amdhsa_exception_fp_ieee_div_zero 0
		.amdhsa_exception_fp_ieee_overflow 0
		.amdhsa_exception_fp_ieee_underflow 0
		.amdhsa_exception_fp_ieee_inexact 0
		.amdhsa_exception_int_div_zero 0
	.end_amdhsa_kernel
	.section	.text._ZN5aiter43moe_smooth_per_token_scaled_quant_kernel_v1IDF16_DB8_Li128ELi8ELb0ELb1ELi1024EEEvPT0_PfPT_S4_PiS7_iiiii,"axG",@progbits,_ZN5aiter43moe_smooth_per_token_scaled_quant_kernel_v1IDF16_DB8_Li128ELi8ELb0ELb1ELi1024EEEvPT0_PfPT_S4_PiS7_iiiii,comdat
.Lfunc_end150:
	.size	_ZN5aiter43moe_smooth_per_token_scaled_quant_kernel_v1IDF16_DB8_Li128ELi8ELb0ELb1ELi1024EEEvPT0_PfPT_S4_PiS7_iiiii, .Lfunc_end150-_ZN5aiter43moe_smooth_per_token_scaled_quant_kernel_v1IDF16_DB8_Li128ELi8ELb0ELb1ELi1024EEEvPT0_PfPT_S4_PiS7_iiiii
                                        ; -- End function
	.section	.AMDGPU.csdata,"",@progbits
; Kernel info:
; codeLenInByte = 1516
; NumSgprs: 25
; NumVgprs: 28
; ScratchSize: 0
; MemoryBound: 0
; FloatMode: 240
; IeeeMode: 1
; LDSByteSize: 4112 bytes/workgroup (compile time only)
; SGPRBlocks: 3
; VGPRBlocks: 3
; NumSGPRsForWavesPerEU: 25
; NumVGPRsForWavesPerEU: 28
; Occupancy: 16
; WaveLimiterHint : 0
; COMPUTE_PGM_RSRC2:SCRATCH_EN: 0
; COMPUTE_PGM_RSRC2:USER_SGPR: 15
; COMPUTE_PGM_RSRC2:TRAP_HANDLER: 0
; COMPUTE_PGM_RSRC2:TGID_X_EN: 1
; COMPUTE_PGM_RSRC2:TGID_Y_EN: 0
; COMPUTE_PGM_RSRC2:TGID_Z_EN: 0
; COMPUTE_PGM_RSRC2:TIDIG_COMP_CNT: 0
	.section	.text._ZN5aiter43moe_smooth_per_token_scaled_quant_kernel_v1ItDB8_Li128ELi8ELb0ELb1ELi1024EEEvPT0_PfPT_S4_PiS7_iiiii,"axG",@progbits,_ZN5aiter43moe_smooth_per_token_scaled_quant_kernel_v1ItDB8_Li128ELi8ELb0ELb1ELi1024EEEvPT0_PfPT_S4_PiS7_iiiii,comdat
	.protected	_ZN5aiter43moe_smooth_per_token_scaled_quant_kernel_v1ItDB8_Li128ELi8ELb0ELb1ELi1024EEEvPT0_PfPT_S4_PiS7_iiiii ; -- Begin function _ZN5aiter43moe_smooth_per_token_scaled_quant_kernel_v1ItDB8_Li128ELi8ELb0ELb1ELi1024EEEvPT0_PfPT_S4_PiS7_iiiii
	.globl	_ZN5aiter43moe_smooth_per_token_scaled_quant_kernel_v1ItDB8_Li128ELi8ELb0ELb1ELi1024EEEvPT0_PfPT_S4_PiS7_iiiii
	.p2align	8
	.type	_ZN5aiter43moe_smooth_per_token_scaled_quant_kernel_v1ItDB8_Li128ELi8ELb0ELb1ELi1024EEEvPT0_PfPT_S4_PiS7_iiiii,@function
_ZN5aiter43moe_smooth_per_token_scaled_quant_kernel_v1ItDB8_Li128ELi8ELb0ELb1ELi1024EEEvPT0_PfPT_S4_PiS7_iiiii: ; @_ZN5aiter43moe_smooth_per_token_scaled_quant_kernel_v1ItDB8_Li128ELi8ELb0ELb1ELi1024EEEvPT0_PfPT_S4_PiS7_iiiii
; %bb.0:
	s_clause 0x2
	s_load_b128 s[4:7], s[0:1], 0x34
	s_load_b128 s[8:11], s[0:1], 0x20
	s_load_b64 s[2:3], s[0:1], 0x10
	v_and_b32_e32 v12, 31, v0
	v_lshlrev_b32_e32 v6, 2, v0
	s_mov_b32 s19, -1
	s_delay_alu instid0(VALU_DEP_2)
	v_lshlrev_b32_e32 v1, 2, v12
	s_waitcnt lgkmcnt(0)
	s_mul_i32 s20, s15, s4
	s_lshl_b32 s18, s7, 2
	s_ashr_i32 s21, s20, 31
	s_and_b32 s17, s11, 0xffff
	s_mov_b32 s16, s10
	s_lshl_b64 s[10:11], s[20:21], 2
	s_clause 0x7
	buffer_load_b32 v7, v6, s[16:19], 0 offen
	buffer_load_b32 v8, v6, s[16:19], 0 offen offset:512
	buffer_load_b32 v9, v6, s[16:19], 0 offen offset:1024
	;; [unrolled: 1-line block ×7, first 2 shown]
	s_add_u32 s16, s8, s10
	s_addc_u32 s8, s9, s11
	s_lshl_b32 s18, s4, 2
	s_and_b32 s17, s8, 0xffff
	s_mul_hi_i32 s9, s6, s15
	s_mul_i32 s8, s6, s15
	buffer_load_b32 v5, v1, s[16:19], 0 offen
	s_lshl_b64 s[8:9], s[8:9], 1
	v_lshlrev_b32_e32 v1, 4, v0
	s_add_u32 s16, s2, s8
	s_addc_u32 s2, s3, s9
	s_lshl_b32 s18, s5, 1
	s_and_b32 s17, s2, 0xffff
	v_cmp_gt_i32_e32 vcc_lo, s4, v12
	buffer_load_b128 v[1:4], v1, s[16:19], 0 offen
	s_waitcnt vmcnt(8)
	ds_store_2addr_stride64_b32 v6, v7, v8 offset1:2
	s_waitcnt vmcnt(6)
	ds_store_2addr_stride64_b32 v6, v9, v10 offset0:4 offset1:6
	s_waitcnt vmcnt(4)
	ds_store_2addr_stride64_b32 v6, v11, v13 offset0:8 offset1:10
	;; [unrolled: 2-line block ×3, first 2 shown]
	s_waitcnt vmcnt(0) expcnt(1) lgkmcnt(0)
	s_barrier
	buffer_gl0_inv
	v_cmp_gt_i32_e64 s2, s7, v5
	v_cmp_lt_i32_e64 s3, -1, v5
	s_delay_alu instid0(VALU_DEP_2)
	s_and_b32 s2, vcc_lo, s2
	s_delay_alu instid0(VALU_DEP_1) | instid1(SALU_CYCLE_1)
	s_and_b32 s3, s2, s3
	s_delay_alu instid0(SALU_CYCLE_1)
	s_and_saveexec_b32 s2, s3
	s_cbranch_execz .LBB151_2
; %bb.1:
	v_lshlrev_b32_e32 v5, 2, v5
	ds_load_b32 v5, v5
.LBB151_2:
	s_or_b32 exec_lo, exec_lo, s2
	s_cmp_lt_i32 s4, 1
	s_cbranch_scc1 .LBB151_13
; %bb.3:
	s_clause 0x1
	s_load_b128 s[8:11], s[0:1], 0x0
	s_load_b64 s[6:7], s[0:1], 0x18
	v_and_b32_e32 v6, 0xffff, v1
	v_lshrrev_b32_e32 v7, 16, v1
	v_and_b32_e32 v8, 0xffff, v2
	s_add_i32 s1, s5, 7
	v_lshrrev_b32_e32 v2, 16, v2
	s_ashr_i32 s2, s1, 31
	v_cvt_f32_u32_e32 v1, v6
	s_lshr_b32 s2, s2, 29
	v_cvt_f32_u32_e32 v6, v7
	v_cvt_f32_u32_e32 v7, v8
	v_and_b32_e32 v8, 0xffff, v3
	v_lshrrev_b32_e32 v9, 16, v3
	v_and_b32_e32 v10, 0xffff, v4
	v_lshrrev_b32_e32 v11, 16, v4
	v_lshrrev_b32_e32 v13, 3, v0
	v_and_b32_e32 v14, 3, v0
	s_add_i32 s3, s5, 3
	s_add_i32 s1, s1, s2
	s_ashr_i32 s2, s3, 31
	s_movk_i32 s0, 0x7c
	s_ashr_i32 s1, s1, 3
	s_lshr_b32 s2, s2, 30
	v_cvt_f32_u32_e32 v2, v2
	v_cvt_f32_u32_e32 v3, v8
	;; [unrolled: 1-line block ×5, first 2 shown]
	v_dual_mov_b32 v15, 0x43e00000 :: v_dual_lshlrev_b32 v10, 3, v0
	v_lshlrev_b32_e32 v11, 5, v0
	v_cmp_eq_u32_e32 vcc_lo, 31, v12
	v_and_or_b32 v12, v13, s0, 0x1000
	v_lshl_or_b32 v13, v14, 2, 0x1000
	v_cmp_eq_u32_e64 s0, 0, v0
	v_cmp_gt_u32_e64 s1, s1, v0
	v_mov_b32_e32 v0, 0
	v_mov_b32_e32 v14, 0xc3e00000
	s_add_i32 s3, s3, s2
	s_mov_b32 s21, s5
	s_lshl_b32 s14, s5, 2
	s_mov_b32 s22, 0
	s_and_b32 s18, s3, -4
	s_mov_b32 s15, -1
	s_mov_b32 s5, 0x76543210
	s_branch .LBB151_6
.LBB151_4:                              ;   in Loop: Header=BB151_6 Depth=1
	s_or_b32 exec_lo, exec_lo, s3
.LBB151_5:                              ;   in Loop: Header=BB151_6 Depth=1
	s_add_i32 s22, s22, 1
	s_delay_alu instid0(SALU_CYCLE_1)
	s_cmp_eq_u32 s4, s22
	s_cbranch_scc1 .LBB151_13
.LBB151_6:                              ; =>This Inner Loop Header: Depth=1
	s_waitcnt lgkmcnt(0)
	v_readlane_b32 s2, v5, s22
	s_delay_alu instid0(VALU_DEP_1)
	s_cmp_lt_i32 s2, 0
	s_cbranch_scc1 .LBB151_5
; %bb.7:                                ;   in Loop: Header=BB151_6 Depth=1
	s_mul_i32 s2, s2, s21
	s_delay_alu instid0(SALU_CYCLE_1) | instskip(NEXT) | instid1(SALU_CYCLE_1)
	s_ashr_i32 s3, s2, 31
	s_lshl_b64 s[2:3], s[2:3], 2
	s_delay_alu instid0(SALU_CYCLE_1) | instskip(SKIP_1) | instid1(SALU_CYCLE_1)
	s_add_u32 s12, s6, s2
	s_addc_u32 s2, s7, s3
	s_and_b32 s13, s2, 0xffff
	s_clause 0x1
	buffer_load_b128 v[16:19], v11, s[12:15], 0 offen
	buffer_load_b128 v[24:27], v11, s[12:15], 16 offen
	s_waitcnt vmcnt(1)
	v_dual_mul_f32 v22, v16, v1 :: v_dual_mul_f32 v23, v17, v6
	v_dual_mul_f32 v20, v18, v7 :: v_dual_mul_f32 v21, v19, v2
	s_waitcnt vmcnt(0)
	v_dual_mul_f32 v19, v24, v3 :: v_dual_mul_f32 v18, v25, v4
	s_delay_alu instid0(VALU_DEP_3) | instskip(SKIP_1) | instid1(VALU_DEP_2)
	v_max3_f32 v16, |v22|, 0x2edbe6ff, |v23|
	v_mul_f32_e32 v17, v27, v9
	v_max3_f32 v24, v16, |v20|, |v21|
	v_mul_f32_e32 v16, v26, v8
	s_delay_alu instid0(VALU_DEP_2) | instskip(NEXT) | instid1(VALU_DEP_1)
	v_max3_f32 v24, v24, |v19|, |v18|
	v_max3_f32 v24, v24, |v16|, |v17|
	s_delay_alu instid0(VALU_DEP_1) | instskip(NEXT) | instid1(VALU_DEP_1)
	v_mov_b32_dpp v25, v24 quad_perm:[1,0,3,2] row_mask:0xf bank_mask:0xf
	v_cmp_gt_f32_e64 s2, v24, v25
	s_delay_alu instid0(VALU_DEP_1) | instskip(NEXT) | instid1(VALU_DEP_1)
	v_cndmask_b32_e64 v24, v25, v24, s2
	v_mov_b32_dpp v25, v24 quad_perm:[2,3,0,1] row_mask:0xf bank_mask:0xf
	s_delay_alu instid0(VALU_DEP_1) | instskip(NEXT) | instid1(VALU_DEP_1)
	v_cmp_gt_f32_e64 s2, v24, v25
	v_cndmask_b32_e64 v24, v25, v24, s2
	s_delay_alu instid0(VALU_DEP_1) | instskip(NEXT) | instid1(VALU_DEP_1)
	v_mov_b32_dpp v25, v24 row_xmask:7 row_mask:0xf bank_mask:0xf
	v_cmp_gt_f32_e64 s2, v24, v25
	s_delay_alu instid0(VALU_DEP_1) | instskip(NEXT) | instid1(VALU_DEP_1)
	v_cndmask_b32_e64 v24, v25, v24, s2
	v_mov_b32_dpp v25, v24 row_xmask:15 row_mask:0xf bank_mask:0xf
	s_delay_alu instid0(VALU_DEP_1)
	v_cmp_gt_f32_e64 s2, v24, v25
	s_and_saveexec_b32 s3, vcc_lo
	s_cbranch_execz .LBB151_9
; %bb.8:                                ;   in Loop: Header=BB151_6 Depth=1
	s_delay_alu instid0(VALU_DEP_1) | instskip(NEXT) | instid1(VALU_DEP_1)
	v_cndmask_b32_e64 v24, v25, v24, s2
	v_permlanex16_b32 v25, v24, s5, 0xfedcba98 op_sel:[1,1]
	s_delay_alu instid0(VALU_DEP_1) | instskip(NEXT) | instid1(VALU_DEP_1)
	v_cmp_gt_f32_e64 s2, v24, v25
	v_cndmask_b32_e64 v24, v25, v24, s2
	ds_store_b32 v12, v24
.LBB151_9:                              ;   in Loop: Header=BB151_6 Depth=1
	s_or_b32 exec_lo, exec_lo, s3
	s_waitcnt lgkmcnt(0)
	s_waitcnt_vscnt null, 0x0
	s_barrier
	buffer_gl0_inv
	ds_load_b32 v24, v13
	s_waitcnt lgkmcnt(0)
	v_mov_b32_dpp v25, v24 quad_perm:[1,0,3,2] row_mask:0xf bank_mask:0xf
	s_delay_alu instid0(VALU_DEP_1) | instskip(NEXT) | instid1(VALU_DEP_1)
	v_cmp_gt_f32_e64 s2, v24, v25
	v_cndmask_b32_e64 v24, v25, v24, s2
	s_delay_alu instid0(VALU_DEP_1) | instskip(NEXT) | instid1(VALU_DEP_1)
	v_mov_b32_dpp v25, v24 quad_perm:[2,3,0,1] row_mask:0xf bank_mask:0xf
	v_cmp_gt_f32_e64 s2, v24, v25
	s_delay_alu instid0(VALU_DEP_1) | instskip(SKIP_1) | instid1(VALU_DEP_1)
	v_cndmask_b32_e64 v24, v25, v24, s2
	s_add_i32 s2, s20, s22
	v_mul_f32_e32 v24, 0x3b124925, v24
	s_and_saveexec_b32 s12, s0
	s_cbranch_execz .LBB151_11
; %bb.10:                               ;   in Loop: Header=BB151_6 Depth=1
	s_ashr_i32 s3, s2, 31
	s_delay_alu instid0(SALU_CYCLE_1) | instskip(NEXT) | instid1(SALU_CYCLE_1)
	s_lshl_b64 s[16:17], s[2:3], 2
	s_add_u32 s16, s10, s16
	s_addc_u32 s17, s11, s17
	global_store_b32 v0, v24, s[16:17]
.LBB151_11:                             ;   in Loop: Header=BB151_6 Depth=1
	s_or_b32 exec_lo, exec_lo, s12
	s_and_saveexec_b32 s3, s1
	s_cbranch_execz .LBB151_4
; %bb.12:                               ;   in Loop: Header=BB151_6 Depth=1
	v_rcp_f32_e32 v24, v24
	s_mul_i32 s12, s2, s21
	s_mul_hi_i32 s2, s2, s21
	s_add_u32 s16, s8, s12
	s_addc_u32 s2, s9, s2
	s_mov_b32 s19, s15
	s_and_b32 s17, s2, 0xffff
	s_waitcnt_depctr 0xfff
	v_mul_f32_e32 v22, v22, v24
	v_mul_f32_e32 v23, v23, v24
	;; [unrolled: 1-line block ×4, first 2 shown]
	;;#ASMSTART
	v_med3_f32 v22, v22, v14, v15
v_med3_f32 v23, v23, v14, v15
v_cvt_pk_fp8_f32 v25, v22, v23
	;;#ASMEND
	;;#ASMSTART
	v_med3_f32 v20, v20, v14, v15
v_med3_f32 v21, v21, v14, v15
v_cvt_pk_fp8_f32 v22, v20, v21
	;;#ASMEND
	v_perm_b32 v20, v22, v25, 0x5040100
	v_and_b32_e32 v22, 0xffffff00, v22
	v_mul_f32_e32 v18, v18, v24
	v_mul_f32_e32 v16, v16, v24
	;; [unrolled: 1-line block ×3, first 2 shown]
	v_lshrrev_b32_e32 v21, 16, v20
	s_delay_alu instid0(VALU_DEP_1) | instskip(NEXT) | instid1(VALU_DEP_1)
	v_and_b32_e32 v21, 0xff, v21
	v_or_b32_e32 v21, v21, v22
	v_mul_f32_e32 v19, v19, v24
	;;#ASMSTART
	v_med3_f32 v19, v19, v14, v15
v_med3_f32 v18, v18, v14, v15
v_cvt_pk_fp8_f32 v22, v19, v18
	;;#ASMEND
	;;#ASMSTART
	v_med3_f32 v16, v16, v14, v15
v_med3_f32 v17, v17, v14, v15
v_cvt_pk_fp8_f32 v18, v16, v17
	;;#ASMEND
	v_lshlrev_b32_e32 v16, 16, v18
	v_lshlrev_b32_e32 v18, 16, v21
	s_delay_alu instid0(VALU_DEP_2) | instskip(NEXT) | instid1(VALU_DEP_2)
	v_and_or_b32 v17, 0xffff, v22, v16
	v_and_or_b32 v16, 0xffff, v20, v18
	buffer_store_b64 v[16:17], v10, s[16:19], 0 offen
	;;#ASMSTART
	s_nop 0
	;;#ASMEND
	s_branch .LBB151_4
.LBB151_13:
	s_nop 0
	s_sendmsg sendmsg(MSG_DEALLOC_VGPRS)
	s_endpgm
	.section	.rodata,"a",@progbits
	.p2align	6, 0x0
	.amdhsa_kernel _ZN5aiter43moe_smooth_per_token_scaled_quant_kernel_v1ItDB8_Li128ELi8ELb0ELb1ELi1024EEEvPT0_PfPT_S4_PiS7_iiiii
		.amdhsa_group_segment_fixed_size 4112
		.amdhsa_private_segment_fixed_size 0
		.amdhsa_kernarg_size 68
		.amdhsa_user_sgpr_count 15
		.amdhsa_user_sgpr_dispatch_ptr 0
		.amdhsa_user_sgpr_queue_ptr 0
		.amdhsa_user_sgpr_kernarg_segment_ptr 1
		.amdhsa_user_sgpr_dispatch_id 0
		.amdhsa_user_sgpr_private_segment_size 0
		.amdhsa_wavefront_size32 1
		.amdhsa_uses_dynamic_stack 0
		.amdhsa_enable_private_segment 0
		.amdhsa_system_sgpr_workgroup_id_x 1
		.amdhsa_system_sgpr_workgroup_id_y 0
		.amdhsa_system_sgpr_workgroup_id_z 0
		.amdhsa_system_sgpr_workgroup_info 0
		.amdhsa_system_vgpr_workitem_id 0
		.amdhsa_next_free_vgpr 28
		.amdhsa_next_free_sgpr 23
		.amdhsa_reserve_vcc 1
		.amdhsa_float_round_mode_32 0
		.amdhsa_float_round_mode_16_64 0
		.amdhsa_float_denorm_mode_32 3
		.amdhsa_float_denorm_mode_16_64 3
		.amdhsa_dx10_clamp 1
		.amdhsa_ieee_mode 1
		.amdhsa_fp16_overflow 0
		.amdhsa_workgroup_processor_mode 1
		.amdhsa_memory_ordered 1
		.amdhsa_forward_progress 0
		.amdhsa_shared_vgpr_count 0
		.amdhsa_exception_fp_ieee_invalid_op 0
		.amdhsa_exception_fp_denorm_src 0
		.amdhsa_exception_fp_ieee_div_zero 0
		.amdhsa_exception_fp_ieee_overflow 0
		.amdhsa_exception_fp_ieee_underflow 0
		.amdhsa_exception_fp_ieee_inexact 0
		.amdhsa_exception_int_div_zero 0
	.end_amdhsa_kernel
	.section	.text._ZN5aiter43moe_smooth_per_token_scaled_quant_kernel_v1ItDB8_Li128ELi8ELb0ELb1ELi1024EEEvPT0_PfPT_S4_PiS7_iiiii,"axG",@progbits,_ZN5aiter43moe_smooth_per_token_scaled_quant_kernel_v1ItDB8_Li128ELi8ELb0ELb1ELi1024EEEvPT0_PfPT_S4_PiS7_iiiii,comdat
.Lfunc_end151:
	.size	_ZN5aiter43moe_smooth_per_token_scaled_quant_kernel_v1ItDB8_Li128ELi8ELb0ELb1ELi1024EEEvPT0_PfPT_S4_PiS7_iiiii, .Lfunc_end151-_ZN5aiter43moe_smooth_per_token_scaled_quant_kernel_v1ItDB8_Li128ELi8ELb0ELb1ELi1024EEEvPT0_PfPT_S4_PiS7_iiiii
                                        ; -- End function
	.section	.AMDGPU.csdata,"",@progbits
; Kernel info:
; codeLenInByte = 1548
; NumSgprs: 25
; NumVgprs: 28
; ScratchSize: 0
; MemoryBound: 0
; FloatMode: 240
; IeeeMode: 1
; LDSByteSize: 4112 bytes/workgroup (compile time only)
; SGPRBlocks: 3
; VGPRBlocks: 3
; NumSGPRsForWavesPerEU: 25
; NumVGPRsForWavesPerEU: 28
; Occupancy: 16
; WaveLimiterHint : 0
; COMPUTE_PGM_RSRC2:SCRATCH_EN: 0
; COMPUTE_PGM_RSRC2:USER_SGPR: 15
; COMPUTE_PGM_RSRC2:TRAP_HANDLER: 0
; COMPUTE_PGM_RSRC2:TGID_X_EN: 1
; COMPUTE_PGM_RSRC2:TGID_Y_EN: 0
; COMPUTE_PGM_RSRC2:TGID_Z_EN: 0
; COMPUTE_PGM_RSRC2:TIDIG_COMP_CNT: 0
	.section	.text._ZN5aiter43moe_smooth_per_token_scaled_quant_kernel_v1IDF16_DB8_Li128ELi8ELb0ELb0ELi1024EEEvPT0_PfPT_S4_PiS7_iiiii,"axG",@progbits,_ZN5aiter43moe_smooth_per_token_scaled_quant_kernel_v1IDF16_DB8_Li128ELi8ELb0ELb0ELi1024EEEvPT0_PfPT_S4_PiS7_iiiii,comdat
	.protected	_ZN5aiter43moe_smooth_per_token_scaled_quant_kernel_v1IDF16_DB8_Li128ELi8ELb0ELb0ELi1024EEEvPT0_PfPT_S4_PiS7_iiiii ; -- Begin function _ZN5aiter43moe_smooth_per_token_scaled_quant_kernel_v1IDF16_DB8_Li128ELi8ELb0ELb0ELi1024EEEvPT0_PfPT_S4_PiS7_iiiii
	.globl	_ZN5aiter43moe_smooth_per_token_scaled_quant_kernel_v1IDF16_DB8_Li128ELi8ELb0ELb0ELi1024EEEvPT0_PfPT_S4_PiS7_iiiii
	.p2align	8
	.type	_ZN5aiter43moe_smooth_per_token_scaled_quant_kernel_v1IDF16_DB8_Li128ELi8ELb0ELb0ELi1024EEEvPT0_PfPT_S4_PiS7_iiiii,@function
_ZN5aiter43moe_smooth_per_token_scaled_quant_kernel_v1IDF16_DB8_Li128ELi8ELb0ELb0ELi1024EEEvPT0_PfPT_S4_PiS7_iiiii: ; @_ZN5aiter43moe_smooth_per_token_scaled_quant_kernel_v1IDF16_DB8_Li128ELi8ELb0ELb0ELi1024EEEvPT0_PfPT_S4_PiS7_iiiii
; %bb.0:
	s_clause 0x2
	s_load_b128 s[4:7], s[0:1], 0x34
	s_load_b64 s[2:3], s[0:1], 0x20
	s_load_b64 s[12:13], s[0:1], 0x10
	v_and_b32_e32 v12, 31, v0
	s_mov_b32 s11, -1
	s_delay_alu instid0(VALU_DEP_1)
	v_lshlrev_b32_e32 v1, 2, v12
	s_waitcnt lgkmcnt(0)
	s_mul_i32 s20, s15, s4
	s_mul_hi_i32 s7, s6, s15
	s_ashr_i32 s21, s20, 31
	s_mul_i32 s6, s6, s15
	s_lshl_b64 s[8:9], s[20:21], 2
	s_mov_b32 s21, 0
	s_add_u32 s8, s2, s8
	s_addc_u32 s2, s3, s9
	s_lshl_b32 s10, s4, 2
	s_and_b32 s9, s2, 0xffff
	s_lshl_b64 s[2:3], s[6:7], 1
	buffer_load_b32 v5, v1, s[8:11], 0 offen
	s_add_u32 s8, s12, s2
	v_lshlrev_b32_e32 v1, 4, v0
	s_addc_u32 s2, s13, s3
	s_lshl_b32 s10, s5, 1
	s_and_b32 s9, s2, 0xffff
	s_cmp_lt_i32 s4, 1
	buffer_load_b128 v[1:4], v1, s[8:11], 0 offen
	s_waitcnt vmcnt(0) expcnt(1) lgkmcnt(55)
	s_barrier
	buffer_gl0_inv
	s_cbranch_scc1 .LBB152_11
; %bb.1:
	s_clause 0x1
	s_load_b128 s[12:15], s[0:1], 0x0
	s_load_b64 s[6:7], s[0:1], 0x18
	s_add_i32 s1, s5, 7
	v_lshrrev_b32_e32 v6, 16, v1
	s_ashr_i32 s2, s1, 31
	v_lshrrev_b32_e32 v7, 16, v2
	s_lshr_b32 s2, s2, 29
	v_lshrrev_b32_e32 v8, 16, v3
	v_lshrrev_b32_e32 v9, 16, v4
	;; [unrolled: 1-line block ×3, first 2 shown]
	v_and_b32_e32 v14, 3, v0
	s_add_i32 s3, s5, 3
	s_add_i32 s1, s1, s2
	s_ashr_i32 s2, s3, 31
	s_ashr_i32 s1, s1, 3
	s_lshr_b32 s2, s2, 30
	v_cvt_f32_f16_e32 v1, v1
	v_cvt_f32_f16_e32 v6, v6
	;; [unrolled: 1-line block ×8, first 2 shown]
	v_dual_mov_b32 v15, 0x43e00000 :: v_dual_lshlrev_b32 v10, 3, v0
	v_lshlrev_b32_e32 v11, 5, v0
	v_cmp_eq_u32_e32 vcc_lo, 31, v12
	v_and_b32_e32 v12, 0x7c, v13
	v_dual_mov_b32 v14, 0xc3e00000 :: v_dual_lshlrev_b32 v13, 2, v14
	v_cmp_eq_u32_e64 s0, 0, v0
	v_cmp_gt_u32_e64 s1, s1, v0
	v_mov_b32_e32 v0, 0
	s_add_i32 s3, s3, s2
	s_mov_b32 s22, s5
	s_lshl_b32 s10, s5, 2
	s_and_b32 s18, s3, -4
	s_mov_b32 s5, 0x76543210
	s_branch .LBB152_4
.LBB152_2:                              ;   in Loop: Header=BB152_4 Depth=1
	s_or_b32 exec_lo, exec_lo, s3
.LBB152_3:                              ;   in Loop: Header=BB152_4 Depth=1
	s_add_i32 s21, s21, 1
	s_delay_alu instid0(SALU_CYCLE_1)
	s_cmp_eq_u32 s4, s21
	s_cbranch_scc1 .LBB152_11
.LBB152_4:                              ; =>This Inner Loop Header: Depth=1
	v_readlane_b32 s2, v5, s21
	s_delay_alu instid0(VALU_DEP_1)
	s_cmp_lt_i32 s2, 0
	s_cbranch_scc1 .LBB152_3
; %bb.5:                                ;   in Loop: Header=BB152_4 Depth=1
	s_mul_i32 s2, s2, s22
	s_delay_alu instid0(SALU_CYCLE_1) | instskip(NEXT) | instid1(SALU_CYCLE_1)
	s_ashr_i32 s3, s2, 31
	s_lshl_b64 s[2:3], s[2:3], 2
	s_waitcnt lgkmcnt(0)
	s_add_u32 s8, s6, s2
	s_addc_u32 s2, s7, s3
	s_delay_alu instid0(SALU_CYCLE_1)
	s_and_b32 s9, s2, 0xffff
	s_clause 0x1
	buffer_load_b128 v[16:19], v11, s[8:11], 0 offen
	buffer_load_b128 v[24:27], v11, s[8:11], 16 offen
	s_waitcnt vmcnt(1)
	v_dual_mul_f32 v22, v16, v1 :: v_dual_mul_f32 v23, v17, v6
	v_dual_mul_f32 v20, v18, v2 :: v_dual_mul_f32 v21, v19, v7
	s_waitcnt vmcnt(0)
	v_dual_mul_f32 v19, v24, v3 :: v_dual_mul_f32 v18, v25, v8
	s_delay_alu instid0(VALU_DEP_3) | instskip(SKIP_1) | instid1(VALU_DEP_2)
	v_max3_f32 v16, |v22|, 0x2edbe6ff, |v23|
	v_mul_f32_e32 v17, v27, v9
	v_max3_f32 v24, v16, |v20|, |v21|
	v_mul_f32_e32 v16, v26, v4
	s_delay_alu instid0(VALU_DEP_2) | instskip(NEXT) | instid1(VALU_DEP_1)
	v_max3_f32 v24, v24, |v19|, |v18|
	v_max3_f32 v24, v24, |v16|, |v17|
	s_delay_alu instid0(VALU_DEP_1) | instskip(NEXT) | instid1(VALU_DEP_1)
	v_mov_b32_dpp v25, v24 quad_perm:[1,0,3,2] row_mask:0xf bank_mask:0xf
	v_cmp_gt_f32_e64 s2, v24, v25
	s_delay_alu instid0(VALU_DEP_1) | instskip(NEXT) | instid1(VALU_DEP_1)
	v_cndmask_b32_e64 v24, v25, v24, s2
	v_mov_b32_dpp v25, v24 quad_perm:[2,3,0,1] row_mask:0xf bank_mask:0xf
	s_delay_alu instid0(VALU_DEP_1) | instskip(NEXT) | instid1(VALU_DEP_1)
	v_cmp_gt_f32_e64 s2, v24, v25
	v_cndmask_b32_e64 v24, v25, v24, s2
	s_delay_alu instid0(VALU_DEP_1) | instskip(NEXT) | instid1(VALU_DEP_1)
	v_mov_b32_dpp v25, v24 row_xmask:7 row_mask:0xf bank_mask:0xf
	v_cmp_gt_f32_e64 s2, v24, v25
	s_delay_alu instid0(VALU_DEP_1) | instskip(NEXT) | instid1(VALU_DEP_1)
	v_cndmask_b32_e64 v24, v25, v24, s2
	v_mov_b32_dpp v25, v24 row_xmask:15 row_mask:0xf bank_mask:0xf
	s_delay_alu instid0(VALU_DEP_1)
	v_cmp_gt_f32_e64 s2, v24, v25
	s_and_saveexec_b32 s3, vcc_lo
	s_cbranch_execz .LBB152_7
; %bb.6:                                ;   in Loop: Header=BB152_4 Depth=1
	s_delay_alu instid0(VALU_DEP_1) | instskip(NEXT) | instid1(VALU_DEP_1)
	v_cndmask_b32_e64 v24, v25, v24, s2
	v_permlanex16_b32 v25, v24, s5, 0xfedcba98 op_sel:[1,1]
	s_delay_alu instid0(VALU_DEP_1) | instskip(NEXT) | instid1(VALU_DEP_1)
	v_cmp_gt_f32_e64 s2, v24, v25
	v_cndmask_b32_e64 v24, v25, v24, s2
	ds_store_b32 v12, v24
.LBB152_7:                              ;   in Loop: Header=BB152_4 Depth=1
	s_or_b32 exec_lo, exec_lo, s3
	s_waitcnt lgkmcnt(0)
	s_waitcnt_vscnt null, 0x0
	s_barrier
	buffer_gl0_inv
	ds_load_b32 v24, v13
	s_waitcnt lgkmcnt(0)
	v_mov_b32_dpp v25, v24 quad_perm:[1,0,3,2] row_mask:0xf bank_mask:0xf
	s_delay_alu instid0(VALU_DEP_1) | instskip(NEXT) | instid1(VALU_DEP_1)
	v_cmp_gt_f32_e64 s2, v24, v25
	v_cndmask_b32_e64 v24, v25, v24, s2
	s_delay_alu instid0(VALU_DEP_1) | instskip(NEXT) | instid1(VALU_DEP_1)
	v_mov_b32_dpp v25, v24 quad_perm:[2,3,0,1] row_mask:0xf bank_mask:0xf
	v_cmp_gt_f32_e64 s2, v24, v25
	s_delay_alu instid0(VALU_DEP_1) | instskip(SKIP_1) | instid1(VALU_DEP_1)
	v_cndmask_b32_e64 v24, v25, v24, s2
	s_add_i32 s2, s20, s21
	v_mul_f32_e32 v24, 0x3b124925, v24
	s_and_saveexec_b32 s8, s0
	s_cbranch_execz .LBB152_9
; %bb.8:                                ;   in Loop: Header=BB152_4 Depth=1
	s_ashr_i32 s3, s2, 31
	s_delay_alu instid0(SALU_CYCLE_1) | instskip(NEXT) | instid1(SALU_CYCLE_1)
	s_lshl_b64 s[16:17], s[2:3], 2
	s_add_u32 s16, s14, s16
	s_addc_u32 s17, s15, s17
	global_store_b32 v0, v24, s[16:17]
.LBB152_9:                              ;   in Loop: Header=BB152_4 Depth=1
	s_or_b32 exec_lo, exec_lo, s8
	s_and_saveexec_b32 s3, s1
	s_cbranch_execz .LBB152_2
; %bb.10:                               ;   in Loop: Header=BB152_4 Depth=1
	v_rcp_f32_e32 v24, v24
	s_mul_i32 s8, s2, s22
	s_mul_hi_i32 s2, s2, s22
	s_add_u32 s16, s12, s8
	s_addc_u32 s2, s13, s2
	s_mov_b32 s19, s11
	s_and_b32 s17, s2, 0xffff
	s_waitcnt_depctr 0xfff
	v_mul_f32_e32 v22, v22, v24
	v_mul_f32_e32 v23, v23, v24
	;; [unrolled: 1-line block ×4, first 2 shown]
	;;#ASMSTART
	v_med3_f32 v22, v22, v14, v15
v_med3_f32 v23, v23, v14, v15
v_cvt_pk_fp8_f32 v25, v22, v23
	;;#ASMEND
	;;#ASMSTART
	v_med3_f32 v20, v20, v14, v15
v_med3_f32 v21, v21, v14, v15
v_cvt_pk_fp8_f32 v22, v20, v21
	;;#ASMEND
	v_perm_b32 v20, v22, v25, 0x5040100
	v_and_b32_e32 v22, 0xffffff00, v22
	v_mul_f32_e32 v18, v18, v24
	v_mul_f32_e32 v16, v16, v24
	;; [unrolled: 1-line block ×3, first 2 shown]
	v_lshrrev_b32_e32 v21, 16, v20
	s_delay_alu instid0(VALU_DEP_1) | instskip(NEXT) | instid1(VALU_DEP_1)
	v_and_b32_e32 v21, 0xff, v21
	v_or_b32_e32 v21, v21, v22
	v_mul_f32_e32 v19, v19, v24
	;;#ASMSTART
	v_med3_f32 v19, v19, v14, v15
v_med3_f32 v18, v18, v14, v15
v_cvt_pk_fp8_f32 v22, v19, v18
	;;#ASMEND
	;;#ASMSTART
	v_med3_f32 v16, v16, v14, v15
v_med3_f32 v17, v17, v14, v15
v_cvt_pk_fp8_f32 v18, v16, v17
	;;#ASMEND
	v_lshlrev_b32_e32 v16, 16, v18
	v_lshlrev_b32_e32 v18, 16, v21
	s_delay_alu instid0(VALU_DEP_2) | instskip(NEXT) | instid1(VALU_DEP_2)
	v_and_or_b32 v17, 0xffff, v22, v16
	v_and_or_b32 v16, 0xffff, v20, v18
	buffer_store_b64 v[16:17], v10, s[16:19], 0 offen
	;;#ASMSTART
	s_nop 0
	;;#ASMEND
	s_branch .LBB152_2
.LBB152_11:
	s_nop 0
	s_sendmsg sendmsg(MSG_DEALLOC_VGPRS)
	s_endpgm
	.section	.rodata,"a",@progbits
	.p2align	6, 0x0
	.amdhsa_kernel _ZN5aiter43moe_smooth_per_token_scaled_quant_kernel_v1IDF16_DB8_Li128ELi8ELb0ELb0ELi1024EEEvPT0_PfPT_S4_PiS7_iiiii
		.amdhsa_group_segment_fixed_size 16
		.amdhsa_private_segment_fixed_size 0
		.amdhsa_kernarg_size 68
		.amdhsa_user_sgpr_count 15
		.amdhsa_user_sgpr_dispatch_ptr 0
		.amdhsa_user_sgpr_queue_ptr 0
		.amdhsa_user_sgpr_kernarg_segment_ptr 1
		.amdhsa_user_sgpr_dispatch_id 0
		.amdhsa_user_sgpr_private_segment_size 0
		.amdhsa_wavefront_size32 1
		.amdhsa_uses_dynamic_stack 0
		.amdhsa_enable_private_segment 0
		.amdhsa_system_sgpr_workgroup_id_x 1
		.amdhsa_system_sgpr_workgroup_id_y 0
		.amdhsa_system_sgpr_workgroup_id_z 0
		.amdhsa_system_sgpr_workgroup_info 0
		.amdhsa_system_vgpr_workitem_id 0
		.amdhsa_next_free_vgpr 28
		.amdhsa_next_free_sgpr 23
		.amdhsa_reserve_vcc 1
		.amdhsa_float_round_mode_32 0
		.amdhsa_float_round_mode_16_64 0
		.amdhsa_float_denorm_mode_32 3
		.amdhsa_float_denorm_mode_16_64 3
		.amdhsa_dx10_clamp 1
		.amdhsa_ieee_mode 1
		.amdhsa_fp16_overflow 0
		.amdhsa_workgroup_processor_mode 1
		.amdhsa_memory_ordered 1
		.amdhsa_forward_progress 0
		.amdhsa_shared_vgpr_count 0
		.amdhsa_exception_fp_ieee_invalid_op 0
		.amdhsa_exception_fp_denorm_src 0
		.amdhsa_exception_fp_ieee_div_zero 0
		.amdhsa_exception_fp_ieee_overflow 0
		.amdhsa_exception_fp_ieee_underflow 0
		.amdhsa_exception_fp_ieee_inexact 0
		.amdhsa_exception_int_div_zero 0
	.end_amdhsa_kernel
	.section	.text._ZN5aiter43moe_smooth_per_token_scaled_quant_kernel_v1IDF16_DB8_Li128ELi8ELb0ELb0ELi1024EEEvPT0_PfPT_S4_PiS7_iiiii,"axG",@progbits,_ZN5aiter43moe_smooth_per_token_scaled_quant_kernel_v1IDF16_DB8_Li128ELi8ELb0ELb0ELi1024EEEvPT0_PfPT_S4_PiS7_iiiii,comdat
.Lfunc_end152:
	.size	_ZN5aiter43moe_smooth_per_token_scaled_quant_kernel_v1IDF16_DB8_Li128ELi8ELb0ELb0ELi1024EEEvPT0_PfPT_S4_PiS7_iiiii, .Lfunc_end152-_ZN5aiter43moe_smooth_per_token_scaled_quant_kernel_v1IDF16_DB8_Li128ELi8ELb0ELb0ELi1024EEEvPT0_PfPT_S4_PiS7_iiiii
                                        ; -- End function
	.section	.AMDGPU.csdata,"",@progbits
; Kernel info:
; codeLenInByte = 1296
; NumSgprs: 25
; NumVgprs: 28
; ScratchSize: 0
; MemoryBound: 0
; FloatMode: 240
; IeeeMode: 1
; LDSByteSize: 16 bytes/workgroup (compile time only)
; SGPRBlocks: 3
; VGPRBlocks: 3
; NumSGPRsForWavesPerEU: 25
; NumVGPRsForWavesPerEU: 28
; Occupancy: 16
; WaveLimiterHint : 0
; COMPUTE_PGM_RSRC2:SCRATCH_EN: 0
; COMPUTE_PGM_RSRC2:USER_SGPR: 15
; COMPUTE_PGM_RSRC2:TRAP_HANDLER: 0
; COMPUTE_PGM_RSRC2:TGID_X_EN: 1
; COMPUTE_PGM_RSRC2:TGID_Y_EN: 0
; COMPUTE_PGM_RSRC2:TGID_Z_EN: 0
; COMPUTE_PGM_RSRC2:TIDIG_COMP_CNT: 0
	.section	.text._ZN5aiter43moe_smooth_per_token_scaled_quant_kernel_v1ItDB8_Li128ELi8ELb0ELb0ELi1024EEEvPT0_PfPT_S4_PiS7_iiiii,"axG",@progbits,_ZN5aiter43moe_smooth_per_token_scaled_quant_kernel_v1ItDB8_Li128ELi8ELb0ELb0ELi1024EEEvPT0_PfPT_S4_PiS7_iiiii,comdat
	.protected	_ZN5aiter43moe_smooth_per_token_scaled_quant_kernel_v1ItDB8_Li128ELi8ELb0ELb0ELi1024EEEvPT0_PfPT_S4_PiS7_iiiii ; -- Begin function _ZN5aiter43moe_smooth_per_token_scaled_quant_kernel_v1ItDB8_Li128ELi8ELb0ELb0ELi1024EEEvPT0_PfPT_S4_PiS7_iiiii
	.globl	_ZN5aiter43moe_smooth_per_token_scaled_quant_kernel_v1ItDB8_Li128ELi8ELb0ELb0ELi1024EEEvPT0_PfPT_S4_PiS7_iiiii
	.p2align	8
	.type	_ZN5aiter43moe_smooth_per_token_scaled_quant_kernel_v1ItDB8_Li128ELi8ELb0ELb0ELi1024EEEvPT0_PfPT_S4_PiS7_iiiii,@function
_ZN5aiter43moe_smooth_per_token_scaled_quant_kernel_v1ItDB8_Li128ELi8ELb0ELb0ELi1024EEEvPT0_PfPT_S4_PiS7_iiiii: ; @_ZN5aiter43moe_smooth_per_token_scaled_quant_kernel_v1ItDB8_Li128ELi8ELb0ELb0ELi1024EEEvPT0_PfPT_S4_PiS7_iiiii
; %bb.0:
	s_clause 0x2
	s_load_b128 s[4:7], s[0:1], 0x34
	s_load_b64 s[2:3], s[0:1], 0x20
	s_load_b64 s[12:13], s[0:1], 0x10
	v_and_b32_e32 v12, 31, v0
	s_mov_b32 s11, -1
	s_delay_alu instid0(VALU_DEP_1)
	v_lshlrev_b32_e32 v1, 2, v12
	s_waitcnt lgkmcnt(0)
	s_mul_i32 s20, s15, s4
	s_mul_hi_i32 s7, s6, s15
	s_ashr_i32 s21, s20, 31
	s_mul_i32 s6, s6, s15
	s_lshl_b64 s[8:9], s[20:21], 2
	s_mov_b32 s21, 0
	s_add_u32 s8, s2, s8
	s_addc_u32 s2, s3, s9
	s_lshl_b32 s10, s4, 2
	s_and_b32 s9, s2, 0xffff
	s_lshl_b64 s[2:3], s[6:7], 1
	buffer_load_b32 v5, v1, s[8:11], 0 offen
	s_add_u32 s8, s12, s2
	v_lshlrev_b32_e32 v1, 4, v0
	s_addc_u32 s2, s13, s3
	s_lshl_b32 s10, s5, 1
	s_and_b32 s9, s2, 0xffff
	s_cmp_lt_i32 s4, 1
	buffer_load_b128 v[1:4], v1, s[8:11], 0 offen
	s_waitcnt vmcnt(0) expcnt(1) lgkmcnt(55)
	s_barrier
	buffer_gl0_inv
	s_cbranch_scc1 .LBB153_11
; %bb.1:
	s_clause 0x1
	s_load_b128 s[12:15], s[0:1], 0x0
	s_load_b64 s[6:7], s[0:1], 0x18
	v_and_b32_e32 v6, 0xffff, v1
	v_lshrrev_b32_e32 v7, 16, v1
	v_and_b32_e32 v8, 0xffff, v2
	s_add_i32 s1, s5, 7
	v_lshrrev_b32_e32 v2, 16, v2
	s_ashr_i32 s2, s1, 31
	v_cvt_f32_u32_e32 v1, v6
	s_lshr_b32 s2, s2, 29
	v_cvt_f32_u32_e32 v6, v7
	v_cvt_f32_u32_e32 v7, v8
	v_and_b32_e32 v8, 0xffff, v3
	v_lshrrev_b32_e32 v9, 16, v3
	v_and_b32_e32 v10, 0xffff, v4
	v_lshrrev_b32_e32 v11, 16, v4
	v_lshrrev_b32_e32 v13, 3, v0
	v_and_b32_e32 v14, 3, v0
	s_add_i32 s3, s5, 3
	s_add_i32 s1, s1, s2
	s_ashr_i32 s2, s3, 31
	s_ashr_i32 s1, s1, 3
	s_lshr_b32 s2, s2, 30
	v_cvt_f32_u32_e32 v2, v2
	v_cvt_f32_u32_e32 v3, v8
	v_cvt_f32_u32_e32 v4, v9
	v_cvt_f32_u32_e32 v8, v10
	v_cvt_f32_u32_e32 v9, v11
	v_dual_mov_b32 v15, 0x43e00000 :: v_dual_lshlrev_b32 v10, 3, v0
	v_lshlrev_b32_e32 v11, 5, v0
	v_cmp_eq_u32_e32 vcc_lo, 31, v12
	v_and_b32_e32 v12, 0x7c, v13
	v_dual_mov_b32 v14, 0xc3e00000 :: v_dual_lshlrev_b32 v13, 2, v14
	v_cmp_eq_u32_e64 s0, 0, v0
	v_cmp_gt_u32_e64 s1, s1, v0
	v_mov_b32_e32 v0, 0
	s_add_i32 s3, s3, s2
	s_mov_b32 s22, s5
	s_lshl_b32 s10, s5, 2
	s_and_b32 s18, s3, -4
	s_mov_b32 s5, 0x76543210
	s_branch .LBB153_4
.LBB153_2:                              ;   in Loop: Header=BB153_4 Depth=1
	s_or_b32 exec_lo, exec_lo, s3
.LBB153_3:                              ;   in Loop: Header=BB153_4 Depth=1
	s_add_i32 s21, s21, 1
	s_delay_alu instid0(SALU_CYCLE_1)
	s_cmp_eq_u32 s4, s21
	s_cbranch_scc1 .LBB153_11
.LBB153_4:                              ; =>This Inner Loop Header: Depth=1
	v_readlane_b32 s2, v5, s21
	s_delay_alu instid0(VALU_DEP_1)
	s_cmp_lt_i32 s2, 0
	s_cbranch_scc1 .LBB153_3
; %bb.5:                                ;   in Loop: Header=BB153_4 Depth=1
	s_mul_i32 s2, s2, s22
	s_delay_alu instid0(SALU_CYCLE_1) | instskip(NEXT) | instid1(SALU_CYCLE_1)
	s_ashr_i32 s3, s2, 31
	s_lshl_b64 s[2:3], s[2:3], 2
	s_waitcnt lgkmcnt(0)
	s_add_u32 s8, s6, s2
	s_addc_u32 s2, s7, s3
	s_delay_alu instid0(SALU_CYCLE_1)
	s_and_b32 s9, s2, 0xffff
	s_clause 0x1
	buffer_load_b128 v[16:19], v11, s[8:11], 0 offen
	buffer_load_b128 v[24:27], v11, s[8:11], 16 offen
	s_waitcnt vmcnt(1)
	v_dual_mul_f32 v22, v16, v1 :: v_dual_mul_f32 v23, v17, v6
	v_dual_mul_f32 v20, v18, v7 :: v_dual_mul_f32 v21, v19, v2
	s_waitcnt vmcnt(0)
	v_dual_mul_f32 v19, v24, v3 :: v_dual_mul_f32 v18, v25, v4
	s_delay_alu instid0(VALU_DEP_3) | instskip(SKIP_1) | instid1(VALU_DEP_2)
	v_max3_f32 v16, |v22|, 0x2edbe6ff, |v23|
	v_mul_f32_e32 v17, v27, v9
	v_max3_f32 v24, v16, |v20|, |v21|
	v_mul_f32_e32 v16, v26, v8
	s_delay_alu instid0(VALU_DEP_2) | instskip(NEXT) | instid1(VALU_DEP_1)
	v_max3_f32 v24, v24, |v19|, |v18|
	v_max3_f32 v24, v24, |v16|, |v17|
	s_delay_alu instid0(VALU_DEP_1) | instskip(NEXT) | instid1(VALU_DEP_1)
	v_mov_b32_dpp v25, v24 quad_perm:[1,0,3,2] row_mask:0xf bank_mask:0xf
	v_cmp_gt_f32_e64 s2, v24, v25
	s_delay_alu instid0(VALU_DEP_1) | instskip(NEXT) | instid1(VALU_DEP_1)
	v_cndmask_b32_e64 v24, v25, v24, s2
	v_mov_b32_dpp v25, v24 quad_perm:[2,3,0,1] row_mask:0xf bank_mask:0xf
	s_delay_alu instid0(VALU_DEP_1) | instskip(NEXT) | instid1(VALU_DEP_1)
	v_cmp_gt_f32_e64 s2, v24, v25
	v_cndmask_b32_e64 v24, v25, v24, s2
	s_delay_alu instid0(VALU_DEP_1) | instskip(NEXT) | instid1(VALU_DEP_1)
	v_mov_b32_dpp v25, v24 row_xmask:7 row_mask:0xf bank_mask:0xf
	v_cmp_gt_f32_e64 s2, v24, v25
	s_delay_alu instid0(VALU_DEP_1) | instskip(NEXT) | instid1(VALU_DEP_1)
	v_cndmask_b32_e64 v24, v25, v24, s2
	v_mov_b32_dpp v25, v24 row_xmask:15 row_mask:0xf bank_mask:0xf
	s_delay_alu instid0(VALU_DEP_1)
	v_cmp_gt_f32_e64 s2, v24, v25
	s_and_saveexec_b32 s3, vcc_lo
	s_cbranch_execz .LBB153_7
; %bb.6:                                ;   in Loop: Header=BB153_4 Depth=1
	s_delay_alu instid0(VALU_DEP_1) | instskip(NEXT) | instid1(VALU_DEP_1)
	v_cndmask_b32_e64 v24, v25, v24, s2
	v_permlanex16_b32 v25, v24, s5, 0xfedcba98 op_sel:[1,1]
	s_delay_alu instid0(VALU_DEP_1) | instskip(NEXT) | instid1(VALU_DEP_1)
	v_cmp_gt_f32_e64 s2, v24, v25
	v_cndmask_b32_e64 v24, v25, v24, s2
	ds_store_b32 v12, v24
.LBB153_7:                              ;   in Loop: Header=BB153_4 Depth=1
	s_or_b32 exec_lo, exec_lo, s3
	s_waitcnt lgkmcnt(0)
	s_waitcnt_vscnt null, 0x0
	s_barrier
	buffer_gl0_inv
	ds_load_b32 v24, v13
	s_waitcnt lgkmcnt(0)
	v_mov_b32_dpp v25, v24 quad_perm:[1,0,3,2] row_mask:0xf bank_mask:0xf
	s_delay_alu instid0(VALU_DEP_1) | instskip(NEXT) | instid1(VALU_DEP_1)
	v_cmp_gt_f32_e64 s2, v24, v25
	v_cndmask_b32_e64 v24, v25, v24, s2
	s_delay_alu instid0(VALU_DEP_1) | instskip(NEXT) | instid1(VALU_DEP_1)
	v_mov_b32_dpp v25, v24 quad_perm:[2,3,0,1] row_mask:0xf bank_mask:0xf
	v_cmp_gt_f32_e64 s2, v24, v25
	s_delay_alu instid0(VALU_DEP_1) | instskip(SKIP_1) | instid1(VALU_DEP_1)
	v_cndmask_b32_e64 v24, v25, v24, s2
	s_add_i32 s2, s20, s21
	v_mul_f32_e32 v24, 0x3b124925, v24
	s_and_saveexec_b32 s8, s0
	s_cbranch_execz .LBB153_9
; %bb.8:                                ;   in Loop: Header=BB153_4 Depth=1
	s_ashr_i32 s3, s2, 31
	s_delay_alu instid0(SALU_CYCLE_1) | instskip(NEXT) | instid1(SALU_CYCLE_1)
	s_lshl_b64 s[16:17], s[2:3], 2
	s_add_u32 s16, s14, s16
	s_addc_u32 s17, s15, s17
	global_store_b32 v0, v24, s[16:17]
.LBB153_9:                              ;   in Loop: Header=BB153_4 Depth=1
	s_or_b32 exec_lo, exec_lo, s8
	s_and_saveexec_b32 s3, s1
	s_cbranch_execz .LBB153_2
; %bb.10:                               ;   in Loop: Header=BB153_4 Depth=1
	v_rcp_f32_e32 v24, v24
	s_mul_i32 s8, s2, s22
	s_mul_hi_i32 s2, s2, s22
	s_add_u32 s16, s12, s8
	s_addc_u32 s2, s13, s2
	s_mov_b32 s19, s11
	s_and_b32 s17, s2, 0xffff
	s_waitcnt_depctr 0xfff
	v_mul_f32_e32 v22, v22, v24
	v_mul_f32_e32 v23, v23, v24
	;; [unrolled: 1-line block ×4, first 2 shown]
	;;#ASMSTART
	v_med3_f32 v22, v22, v14, v15
v_med3_f32 v23, v23, v14, v15
v_cvt_pk_fp8_f32 v25, v22, v23
	;;#ASMEND
	;;#ASMSTART
	v_med3_f32 v20, v20, v14, v15
v_med3_f32 v21, v21, v14, v15
v_cvt_pk_fp8_f32 v22, v20, v21
	;;#ASMEND
	v_perm_b32 v20, v22, v25, 0x5040100
	v_and_b32_e32 v22, 0xffffff00, v22
	v_mul_f32_e32 v18, v18, v24
	v_mul_f32_e32 v16, v16, v24
	;; [unrolled: 1-line block ×3, first 2 shown]
	v_lshrrev_b32_e32 v21, 16, v20
	s_delay_alu instid0(VALU_DEP_1) | instskip(NEXT) | instid1(VALU_DEP_1)
	v_and_b32_e32 v21, 0xff, v21
	v_or_b32_e32 v21, v21, v22
	v_mul_f32_e32 v19, v19, v24
	;;#ASMSTART
	v_med3_f32 v19, v19, v14, v15
v_med3_f32 v18, v18, v14, v15
v_cvt_pk_fp8_f32 v22, v19, v18
	;;#ASMEND
	;;#ASMSTART
	v_med3_f32 v16, v16, v14, v15
v_med3_f32 v17, v17, v14, v15
v_cvt_pk_fp8_f32 v18, v16, v17
	;;#ASMEND
	v_lshlrev_b32_e32 v16, 16, v18
	v_lshlrev_b32_e32 v18, 16, v21
	s_delay_alu instid0(VALU_DEP_2) | instskip(NEXT) | instid1(VALU_DEP_2)
	v_and_or_b32 v17, 0xffff, v22, v16
	v_and_or_b32 v16, 0xffff, v20, v18
	buffer_store_b64 v[16:17], v10, s[16:19], 0 offen
	;;#ASMSTART
	s_nop 0
	;;#ASMEND
	s_branch .LBB153_2
.LBB153_11:
	s_nop 0
	s_sendmsg sendmsg(MSG_DEALLOC_VGPRS)
	s_endpgm
	.section	.rodata,"a",@progbits
	.p2align	6, 0x0
	.amdhsa_kernel _ZN5aiter43moe_smooth_per_token_scaled_quant_kernel_v1ItDB8_Li128ELi8ELb0ELb0ELi1024EEEvPT0_PfPT_S4_PiS7_iiiii
		.amdhsa_group_segment_fixed_size 16
		.amdhsa_private_segment_fixed_size 0
		.amdhsa_kernarg_size 68
		.amdhsa_user_sgpr_count 15
		.amdhsa_user_sgpr_dispatch_ptr 0
		.amdhsa_user_sgpr_queue_ptr 0
		.amdhsa_user_sgpr_kernarg_segment_ptr 1
		.amdhsa_user_sgpr_dispatch_id 0
		.amdhsa_user_sgpr_private_segment_size 0
		.amdhsa_wavefront_size32 1
		.amdhsa_uses_dynamic_stack 0
		.amdhsa_enable_private_segment 0
		.amdhsa_system_sgpr_workgroup_id_x 1
		.amdhsa_system_sgpr_workgroup_id_y 0
		.amdhsa_system_sgpr_workgroup_id_z 0
		.amdhsa_system_sgpr_workgroup_info 0
		.amdhsa_system_vgpr_workitem_id 0
		.amdhsa_next_free_vgpr 28
		.amdhsa_next_free_sgpr 23
		.amdhsa_reserve_vcc 1
		.amdhsa_float_round_mode_32 0
		.amdhsa_float_round_mode_16_64 0
		.amdhsa_float_denorm_mode_32 3
		.amdhsa_float_denorm_mode_16_64 3
		.amdhsa_dx10_clamp 1
		.amdhsa_ieee_mode 1
		.amdhsa_fp16_overflow 0
		.amdhsa_workgroup_processor_mode 1
		.amdhsa_memory_ordered 1
		.amdhsa_forward_progress 0
		.amdhsa_shared_vgpr_count 0
		.amdhsa_exception_fp_ieee_invalid_op 0
		.amdhsa_exception_fp_denorm_src 0
		.amdhsa_exception_fp_ieee_div_zero 0
		.amdhsa_exception_fp_ieee_overflow 0
		.amdhsa_exception_fp_ieee_underflow 0
		.amdhsa_exception_fp_ieee_inexact 0
		.amdhsa_exception_int_div_zero 0
	.end_amdhsa_kernel
	.section	.text._ZN5aiter43moe_smooth_per_token_scaled_quant_kernel_v1ItDB8_Li128ELi8ELb0ELb0ELi1024EEEvPT0_PfPT_S4_PiS7_iiiii,"axG",@progbits,_ZN5aiter43moe_smooth_per_token_scaled_quant_kernel_v1ItDB8_Li128ELi8ELb0ELb0ELi1024EEEvPT0_PfPT_S4_PiS7_iiiii,comdat
.Lfunc_end153:
	.size	_ZN5aiter43moe_smooth_per_token_scaled_quant_kernel_v1ItDB8_Li128ELi8ELb0ELb0ELi1024EEEvPT0_PfPT_S4_PiS7_iiiii, .Lfunc_end153-_ZN5aiter43moe_smooth_per_token_scaled_quant_kernel_v1ItDB8_Li128ELi8ELb0ELb0ELi1024EEEvPT0_PfPT_S4_PiS7_iiiii
                                        ; -- End function
	.section	.AMDGPU.csdata,"",@progbits
; Kernel info:
; codeLenInByte = 1328
; NumSgprs: 25
; NumVgprs: 28
; ScratchSize: 0
; MemoryBound: 0
; FloatMode: 240
; IeeeMode: 1
; LDSByteSize: 16 bytes/workgroup (compile time only)
; SGPRBlocks: 3
; VGPRBlocks: 3
; NumSGPRsForWavesPerEU: 25
; NumVGPRsForWavesPerEU: 28
; Occupancy: 16
; WaveLimiterHint : 0
; COMPUTE_PGM_RSRC2:SCRATCH_EN: 0
; COMPUTE_PGM_RSRC2:USER_SGPR: 15
; COMPUTE_PGM_RSRC2:TRAP_HANDLER: 0
; COMPUTE_PGM_RSRC2:TGID_X_EN: 1
; COMPUTE_PGM_RSRC2:TGID_Y_EN: 0
; COMPUTE_PGM_RSRC2:TGID_Z_EN: 0
; COMPUTE_PGM_RSRC2:TIDIG_COMP_CNT: 0
	.section	.text._ZN5aiter43moe_smooth_per_token_scaled_quant_kernel_v1IDF16_DB8_Li256ELi8ELb1ELb1ELi1024EEEvPT0_PfPT_S4_PiS7_iiiii,"axG",@progbits,_ZN5aiter43moe_smooth_per_token_scaled_quant_kernel_v1IDF16_DB8_Li256ELi8ELb1ELb1ELi1024EEEvPT0_PfPT_S4_PiS7_iiiii,comdat
	.protected	_ZN5aiter43moe_smooth_per_token_scaled_quant_kernel_v1IDF16_DB8_Li256ELi8ELb1ELb1ELi1024EEEvPT0_PfPT_S4_PiS7_iiiii ; -- Begin function _ZN5aiter43moe_smooth_per_token_scaled_quant_kernel_v1IDF16_DB8_Li256ELi8ELb1ELb1ELi1024EEEvPT0_PfPT_S4_PiS7_iiiii
	.globl	_ZN5aiter43moe_smooth_per_token_scaled_quant_kernel_v1IDF16_DB8_Li256ELi8ELb1ELb1ELi1024EEEvPT0_PfPT_S4_PiS7_iiiii
	.p2align	8
	.type	_ZN5aiter43moe_smooth_per_token_scaled_quant_kernel_v1IDF16_DB8_Li256ELi8ELb1ELb1ELi1024EEEvPT0_PfPT_S4_PiS7_iiiii,@function
_ZN5aiter43moe_smooth_per_token_scaled_quant_kernel_v1IDF16_DB8_Li256ELi8ELb1ELb1ELi1024EEEvPT0_PfPT_S4_PiS7_iiiii: ; @_ZN5aiter43moe_smooth_per_token_scaled_quant_kernel_v1IDF16_DB8_Li256ELi8ELb1ELb1ELi1024EEEvPT0_PfPT_S4_PiS7_iiiii
; %bb.0:
	s_clause 0x2
	s_load_b32 s18, s[0:1], 0x40
	s_load_b256 s[4:11], s[0:1], 0x20
	s_load_b64 s[2:3], s[0:1], 0x10
	s_mov_b32 s20, s15
	v_and_b32_e32 v12, 31, v0
	v_lshlrev_b32_e32 v6, 2, v0
	s_mov_b32 s15, -1
	s_delay_alu instid0(VALU_DEP_2)
	v_lshlrev_b32_e32 v1, 2, v12
	s_waitcnt lgkmcnt(0)
	s_lshl_b32 s14, s18, 2
	s_mul_i32 s16, s20, s9
	s_and_b32 s13, s7, 0xffff
	s_ashr_i32 s17, s16, 31
	s_mov_b32 s12, s6
	s_lshl_b64 s[6:7], s[16:17], 2
	s_clause 0x3
	buffer_load_b32 v7, v6, s[12:15], 0 offen
	buffer_load_b32 v8, v6, s[12:15], 0 offen offset:1024
	buffer_load_b32 v9, v6, s[12:15], 0 offen offset:2048
	;; [unrolled: 1-line block ×3, first 2 shown]
	s_add_u32 s12, s4, s6
	s_addc_u32 s4, s5, s7
	s_lshl_b32 s14, s9, 2
	s_and_b32 s13, s4, 0xffff
	s_mul_hi_i32 s5, s11, s20
	s_mul_i32 s4, s11, s20
	buffer_load_b32 v5, v1, s[12:15], 0 offen
	s_lshl_b64 s[4:5], s[4:5], 1
	v_lshlrev_b32_e32 v1, 4, v0
	s_add_u32 s12, s2, s4
	s_addc_u32 s2, s3, s5
	s_lshl_b32 s14, s10, 1
	s_and_b32 s13, s2, 0xffff
	v_cmp_gt_i32_e32 vcc_lo, s9, v12
	buffer_load_b128 v[1:4], v1, s[12:15], 0 offen
	s_waitcnt vmcnt(4)
	ds_store_2addr_stride64_b32 v6, v7, v8 offset1:4
	s_waitcnt vmcnt(2)
	ds_store_2addr_stride64_b32 v6, v9, v10 offset0:8 offset1:12
	s_waitcnt vmcnt(0) expcnt(1) lgkmcnt(0)
	s_barrier
	buffer_gl0_inv
	v_cmp_gt_i32_e64 s2, s18, v5
	v_cmp_lt_i32_e64 s3, -1, v5
	s_delay_alu instid0(VALU_DEP_2)
	s_and_b32 s2, vcc_lo, s2
	s_delay_alu instid0(VALU_DEP_1) | instid1(SALU_CYCLE_1)
	s_and_b32 s3, s2, s3
	s_delay_alu instid0(SALU_CYCLE_1)
	s_and_saveexec_b32 s2, s3
	s_cbranch_execz .LBB154_2
; %bb.1:
	v_lshlrev_b32_e32 v5, 2, v5
	ds_load_b32 v5, v5
.LBB154_2:
	s_or_b32 exec_lo, exec_lo, s2
	s_cmp_lt_i32 s9, 1
	s_cbranch_scc1 .LBB154_13
; %bb.3:
	s_clause 0x1
	s_load_b128 s[4:7], s[0:1], 0x0
	s_load_b64 s[22:23], s[0:1], 0x18
	s_add_i32 s1, s10, 7
	v_lshrrev_b32_e32 v6, 16, v1
	s_ashr_i32 s2, s1, 31
	v_lshrrev_b32_e32 v7, 16, v2
	s_lshr_b32 s2, s2, 29
	v_lshrrev_b32_e32 v8, 16, v3
	v_lshrrev_b32_e32 v9, 16, v4
	;; [unrolled: 1-line block ×3, first 2 shown]
	v_and_b32_e32 v14, 7, v0
	s_add_i32 s11, s10, 3
	s_add_i32 s1, s1, s2
	s_ashr_i32 s2, s11, 31
	s_movk_i32 s0, 0x7c
	s_ashr_i32 s1, s1, 3
	s_lshr_b32 s2, s2, 30
	v_cvt_f32_f16_e32 v1, v1
	v_cvt_f32_f16_e32 v6, v6
	;; [unrolled: 1-line block ×8, first 2 shown]
	v_dual_mov_b32 v15, 0x43e00000 :: v_dual_lshlrev_b32 v10, 3, v0
	v_lshlrev_b32_e32 v11, 5, v0
	v_cmp_eq_u32_e32 vcc_lo, 31, v12
	v_and_or_b32 v12, v13, s0, 0x1000
	v_lshl_or_b32 v13, v14, 2, 0x1000
	v_cmp_eq_u32_e64 s0, 0, v0
	v_cmp_gt_u32_e64 s1, s1, v0
	v_mov_b32_e32 v0, 0
	v_mov_b32_e32 v14, 0xc3e00000
	s_add_i32 s11, s11, s2
	s_lshl_b32 s14, s10, 2
	s_mov_b32 s3, 0
	s_and_b32 s18, s11, -4
	s_mov_b32 s11, 0x76543210
	s_branch .LBB154_6
.LBB154_4:                              ;   in Loop: Header=BB154_6 Depth=1
	s_or_b32 exec_lo, exec_lo, s2
.LBB154_5:                              ;   in Loop: Header=BB154_6 Depth=1
	s_add_i32 s3, s3, 1
	s_add_i32 s20, s20, s8
	s_cmp_eq_u32 s9, s3
	s_cbranch_scc1 .LBB154_13
.LBB154_6:                              ; =>This Inner Loop Header: Depth=1
	s_waitcnt lgkmcnt(0)
	v_readlane_b32 s2, v5, s3
	s_delay_alu instid0(VALU_DEP_1)
	s_cmp_lt_i32 s2, 0
	s_cbranch_scc1 .LBB154_5
; %bb.7:                                ;   in Loop: Header=BB154_6 Depth=1
	s_mul_i32 s12, s2, s10
	s_delay_alu instid0(SALU_CYCLE_1) | instskip(NEXT) | instid1(SALU_CYCLE_1)
	s_ashr_i32 s13, s12, 31
	s_lshl_b64 s[12:13], s[12:13], 2
	s_delay_alu instid0(SALU_CYCLE_1) | instskip(SKIP_1) | instid1(SALU_CYCLE_1)
	s_add_u32 s12, s22, s12
	s_addc_u32 s2, s23, s13
	s_and_b32 s13, s2, 0xffff
	s_clause 0x1
	buffer_load_b128 v[16:19], v11, s[12:15], 0 offen
	buffer_load_b128 v[24:27], v11, s[12:15], 16 offen
	s_waitcnt vmcnt(1)
	v_dual_mul_f32 v22, v16, v1 :: v_dual_mul_f32 v23, v17, v6
	v_dual_mul_f32 v20, v18, v2 :: v_dual_mul_f32 v21, v19, v7
	s_waitcnt vmcnt(0)
	v_dual_mul_f32 v19, v24, v3 :: v_dual_mul_f32 v18, v25, v8
	s_delay_alu instid0(VALU_DEP_3) | instskip(SKIP_1) | instid1(VALU_DEP_2)
	v_max3_f32 v16, |v22|, 0x2edbe6ff, |v23|
	v_mul_f32_e32 v17, v27, v9
	v_max3_f32 v24, v16, |v20|, |v21|
	v_mul_f32_e32 v16, v26, v4
	s_delay_alu instid0(VALU_DEP_2) | instskip(NEXT) | instid1(VALU_DEP_1)
	v_max3_f32 v24, v24, |v19|, |v18|
	v_max3_f32 v24, v24, |v16|, |v17|
	s_delay_alu instid0(VALU_DEP_1) | instskip(NEXT) | instid1(VALU_DEP_1)
	v_mov_b32_dpp v25, v24 quad_perm:[1,0,3,2] row_mask:0xf bank_mask:0xf
	v_cmp_gt_f32_e64 s2, v24, v25
	s_delay_alu instid0(VALU_DEP_1) | instskip(NEXT) | instid1(VALU_DEP_1)
	v_cndmask_b32_e64 v24, v25, v24, s2
	v_mov_b32_dpp v25, v24 quad_perm:[2,3,0,1] row_mask:0xf bank_mask:0xf
	s_delay_alu instid0(VALU_DEP_1) | instskip(NEXT) | instid1(VALU_DEP_1)
	v_cmp_gt_f32_e64 s2, v24, v25
	v_cndmask_b32_e64 v24, v25, v24, s2
	s_delay_alu instid0(VALU_DEP_1) | instskip(NEXT) | instid1(VALU_DEP_1)
	v_mov_b32_dpp v25, v24 row_xmask:7 row_mask:0xf bank_mask:0xf
	v_cmp_gt_f32_e64 s2, v24, v25
	s_delay_alu instid0(VALU_DEP_1) | instskip(NEXT) | instid1(VALU_DEP_1)
	v_cndmask_b32_e64 v24, v25, v24, s2
	v_mov_b32_dpp v25, v24 row_xmask:15 row_mask:0xf bank_mask:0xf
	s_delay_alu instid0(VALU_DEP_1)
	v_cmp_gt_f32_e64 s2, v24, v25
	s_and_saveexec_b32 s12, vcc_lo
	s_cbranch_execz .LBB154_9
; %bb.8:                                ;   in Loop: Header=BB154_6 Depth=1
	s_delay_alu instid0(VALU_DEP_1) | instskip(NEXT) | instid1(VALU_DEP_1)
	v_cndmask_b32_e64 v24, v25, v24, s2
	v_permlanex16_b32 v25, v24, s11, 0xfedcba98 op_sel:[1,1]
	s_delay_alu instid0(VALU_DEP_1) | instskip(NEXT) | instid1(VALU_DEP_1)
	v_cmp_gt_f32_e64 s2, v24, v25
	v_cndmask_b32_e64 v24, v25, v24, s2
	ds_store_b32 v12, v24
.LBB154_9:                              ;   in Loop: Header=BB154_6 Depth=1
	s_or_b32 exec_lo, exec_lo, s12
	s_waitcnt lgkmcnt(0)
	s_waitcnt_vscnt null, 0x0
	s_barrier
	buffer_gl0_inv
	ds_load_b32 v24, v13
	s_waitcnt lgkmcnt(0)
	v_mov_b32_dpp v25, v24 quad_perm:[1,0,3,2] row_mask:0xf bank_mask:0xf
	s_delay_alu instid0(VALU_DEP_1) | instskip(NEXT) | instid1(VALU_DEP_1)
	v_cmp_gt_f32_e64 s2, v24, v25
	v_cndmask_b32_e64 v24, v25, v24, s2
	s_delay_alu instid0(VALU_DEP_1) | instskip(NEXT) | instid1(VALU_DEP_1)
	v_mov_b32_dpp v25, v24 quad_perm:[2,3,0,1] row_mask:0xf bank_mask:0xf
	v_cmp_gt_f32_e64 s2, v24, v25
	s_delay_alu instid0(VALU_DEP_1) | instskip(NEXT) | instid1(VALU_DEP_1)
	v_cndmask_b32_e64 v24, v25, v24, s2
	v_mov_b32_dpp v25, v24 row_xmask:7 row_mask:0xf bank_mask:0xf
	s_delay_alu instid0(VALU_DEP_1) | instskip(NEXT) | instid1(VALU_DEP_1)
	v_cmp_gt_f32_e64 s2, v24, v25
	v_cndmask_b32_e64 v24, v25, v24, s2
	s_delay_alu instid0(VALU_DEP_1)
	v_mul_f32_e32 v24, 0x3b124925, v24
	s_and_saveexec_b32 s2, s0
	s_cbranch_execz .LBB154_11
; %bb.10:                               ;   in Loop: Header=BB154_6 Depth=1
	s_ashr_i32 s21, s20, 31
	s_delay_alu instid0(SALU_CYCLE_1) | instskip(NEXT) | instid1(SALU_CYCLE_1)
	s_lshl_b64 s[12:13], s[20:21], 2
	s_add_u32 s12, s6, s12
	s_addc_u32 s13, s7, s13
	global_store_b32 v0, v24, s[12:13]
.LBB154_11:                             ;   in Loop: Header=BB154_6 Depth=1
	s_or_b32 exec_lo, exec_lo, s2
	s_and_saveexec_b32 s2, s1
	s_cbranch_execz .LBB154_4
; %bb.12:                               ;   in Loop: Header=BB154_6 Depth=1
	v_rcp_f32_e32 v24, v24
	s_mul_i32 s12, s20, s10
	s_mul_hi_i32 s13, s20, s10
	s_add_u32 s16, s4, s12
	s_addc_u32 s12, s5, s13
	s_mov_b32 s19, s15
	s_and_b32 s17, s12, 0xffff
	s_waitcnt_depctr 0xfff
	v_mul_f32_e32 v22, v22, v24
	v_mul_f32_e32 v23, v23, v24
	;; [unrolled: 1-line block ×4, first 2 shown]
	;;#ASMSTART
	v_med3_f32 v22, v22, v14, v15
v_med3_f32 v23, v23, v14, v15
v_cvt_pk_fp8_f32 v25, v22, v23
	;;#ASMEND
	;;#ASMSTART
	v_med3_f32 v20, v20, v14, v15
v_med3_f32 v21, v21, v14, v15
v_cvt_pk_fp8_f32 v22, v20, v21
	;;#ASMEND
	v_perm_b32 v20, v22, v25, 0x5040100
	v_and_b32_e32 v22, 0xffffff00, v22
	v_mul_f32_e32 v18, v18, v24
	v_mul_f32_e32 v16, v16, v24
	;; [unrolled: 1-line block ×3, first 2 shown]
	v_lshrrev_b32_e32 v21, 16, v20
	s_delay_alu instid0(VALU_DEP_1) | instskip(NEXT) | instid1(VALU_DEP_1)
	v_and_b32_e32 v21, 0xff, v21
	v_or_b32_e32 v21, v21, v22
	v_mul_f32_e32 v19, v19, v24
	;;#ASMSTART
	v_med3_f32 v19, v19, v14, v15
v_med3_f32 v18, v18, v14, v15
v_cvt_pk_fp8_f32 v22, v19, v18
	;;#ASMEND
	;;#ASMSTART
	v_med3_f32 v16, v16, v14, v15
v_med3_f32 v17, v17, v14, v15
v_cvt_pk_fp8_f32 v18, v16, v17
	;;#ASMEND
	v_lshlrev_b32_e32 v16, 16, v18
	v_lshlrev_b32_e32 v18, 16, v21
	s_delay_alu instid0(VALU_DEP_2) | instskip(NEXT) | instid1(VALU_DEP_2)
	v_and_or_b32 v17, 0xffff, v22, v16
	v_and_or_b32 v16, 0xffff, v20, v18
	buffer_store_b64 v[16:17], v10, s[16:19], 0 offen
	;;#ASMSTART
	s_nop 0
	;;#ASMEND
	s_branch .LBB154_4
.LBB154_13:
	s_nop 0
	s_sendmsg sendmsg(MSG_DEALLOC_VGPRS)
	s_endpgm
	.section	.rodata,"a",@progbits
	.p2align	6, 0x0
	.amdhsa_kernel _ZN5aiter43moe_smooth_per_token_scaled_quant_kernel_v1IDF16_DB8_Li256ELi8ELb1ELb1ELi1024EEEvPT0_PfPT_S4_PiS7_iiiii
		.amdhsa_group_segment_fixed_size 4128
		.amdhsa_private_segment_fixed_size 0
		.amdhsa_kernarg_size 68
		.amdhsa_user_sgpr_count 15
		.amdhsa_user_sgpr_dispatch_ptr 0
		.amdhsa_user_sgpr_queue_ptr 0
		.amdhsa_user_sgpr_kernarg_segment_ptr 1
		.amdhsa_user_sgpr_dispatch_id 0
		.amdhsa_user_sgpr_private_segment_size 0
		.amdhsa_wavefront_size32 1
		.amdhsa_uses_dynamic_stack 0
		.amdhsa_enable_private_segment 0
		.amdhsa_system_sgpr_workgroup_id_x 1
		.amdhsa_system_sgpr_workgroup_id_y 0
		.amdhsa_system_sgpr_workgroup_id_z 0
		.amdhsa_system_sgpr_workgroup_info 0
		.amdhsa_system_vgpr_workitem_id 0
		.amdhsa_next_free_vgpr 28
		.amdhsa_next_free_sgpr 24
		.amdhsa_reserve_vcc 1
		.amdhsa_float_round_mode_32 0
		.amdhsa_float_round_mode_16_64 0
		.amdhsa_float_denorm_mode_32 3
		.amdhsa_float_denorm_mode_16_64 3
		.amdhsa_dx10_clamp 1
		.amdhsa_ieee_mode 1
		.amdhsa_fp16_overflow 0
		.amdhsa_workgroup_processor_mode 1
		.amdhsa_memory_ordered 1
		.amdhsa_forward_progress 0
		.amdhsa_shared_vgpr_count 0
		.amdhsa_exception_fp_ieee_invalid_op 0
		.amdhsa_exception_fp_denorm_src 0
		.amdhsa_exception_fp_ieee_div_zero 0
		.amdhsa_exception_fp_ieee_overflow 0
		.amdhsa_exception_fp_ieee_underflow 0
		.amdhsa_exception_fp_ieee_inexact 0
		.amdhsa_exception_int_div_zero 0
	.end_amdhsa_kernel
	.section	.text._ZN5aiter43moe_smooth_per_token_scaled_quant_kernel_v1IDF16_DB8_Li256ELi8ELb1ELb1ELi1024EEEvPT0_PfPT_S4_PiS7_iiiii,"axG",@progbits,_ZN5aiter43moe_smooth_per_token_scaled_quant_kernel_v1IDF16_DB8_Li256ELi8ELb1ELb1ELi1024EEEvPT0_PfPT_S4_PiS7_iiiii,comdat
.Lfunc_end154:
	.size	_ZN5aiter43moe_smooth_per_token_scaled_quant_kernel_v1IDF16_DB8_Li256ELi8ELb1ELb1ELi1024EEEvPT0_PfPT_S4_PiS7_iiiii, .Lfunc_end154-_ZN5aiter43moe_smooth_per_token_scaled_quant_kernel_v1IDF16_DB8_Li256ELi8ELb1ELb1ELi1024EEEvPT0_PfPT_S4_PiS7_iiiii
                                        ; -- End function
	.section	.AMDGPU.csdata,"",@progbits
; Kernel info:
; codeLenInByte = 1484
; NumSgprs: 26
; NumVgprs: 28
; ScratchSize: 0
; MemoryBound: 0
; FloatMode: 240
; IeeeMode: 1
; LDSByteSize: 4128 bytes/workgroup (compile time only)
; SGPRBlocks: 3
; VGPRBlocks: 3
; NumSGPRsForWavesPerEU: 26
; NumVGPRsForWavesPerEU: 28
; Occupancy: 16
; WaveLimiterHint : 0
; COMPUTE_PGM_RSRC2:SCRATCH_EN: 0
; COMPUTE_PGM_RSRC2:USER_SGPR: 15
; COMPUTE_PGM_RSRC2:TRAP_HANDLER: 0
; COMPUTE_PGM_RSRC2:TGID_X_EN: 1
; COMPUTE_PGM_RSRC2:TGID_Y_EN: 0
; COMPUTE_PGM_RSRC2:TGID_Z_EN: 0
; COMPUTE_PGM_RSRC2:TIDIG_COMP_CNT: 0
	.section	.text._ZN5aiter43moe_smooth_per_token_scaled_quant_kernel_v1ItDB8_Li256ELi8ELb1ELb1ELi1024EEEvPT0_PfPT_S4_PiS7_iiiii,"axG",@progbits,_ZN5aiter43moe_smooth_per_token_scaled_quant_kernel_v1ItDB8_Li256ELi8ELb1ELb1ELi1024EEEvPT0_PfPT_S4_PiS7_iiiii,comdat
	.protected	_ZN5aiter43moe_smooth_per_token_scaled_quant_kernel_v1ItDB8_Li256ELi8ELb1ELb1ELi1024EEEvPT0_PfPT_S4_PiS7_iiiii ; -- Begin function _ZN5aiter43moe_smooth_per_token_scaled_quant_kernel_v1ItDB8_Li256ELi8ELb1ELb1ELi1024EEEvPT0_PfPT_S4_PiS7_iiiii
	.globl	_ZN5aiter43moe_smooth_per_token_scaled_quant_kernel_v1ItDB8_Li256ELi8ELb1ELb1ELi1024EEEvPT0_PfPT_S4_PiS7_iiiii
	.p2align	8
	.type	_ZN5aiter43moe_smooth_per_token_scaled_quant_kernel_v1ItDB8_Li256ELi8ELb1ELb1ELi1024EEEvPT0_PfPT_S4_PiS7_iiiii,@function
_ZN5aiter43moe_smooth_per_token_scaled_quant_kernel_v1ItDB8_Li256ELi8ELb1ELb1ELi1024EEEvPT0_PfPT_S4_PiS7_iiiii: ; @_ZN5aiter43moe_smooth_per_token_scaled_quant_kernel_v1ItDB8_Li256ELi8ELb1ELb1ELi1024EEEvPT0_PfPT_S4_PiS7_iiiii
; %bb.0:
	s_clause 0x2
	s_load_b32 s18, s[0:1], 0x40
	s_load_b256 s[4:11], s[0:1], 0x20
	s_load_b64 s[2:3], s[0:1], 0x10
	s_mov_b32 s20, s15
	v_and_b32_e32 v12, 31, v0
	v_lshlrev_b32_e32 v6, 2, v0
	s_mov_b32 s15, -1
	s_delay_alu instid0(VALU_DEP_2)
	v_lshlrev_b32_e32 v1, 2, v12
	s_waitcnt lgkmcnt(0)
	s_lshl_b32 s14, s18, 2
	s_mul_i32 s16, s20, s9
	s_and_b32 s13, s7, 0xffff
	s_ashr_i32 s17, s16, 31
	s_mov_b32 s12, s6
	s_lshl_b64 s[6:7], s[16:17], 2
	s_clause 0x3
	buffer_load_b32 v7, v6, s[12:15], 0 offen
	buffer_load_b32 v8, v6, s[12:15], 0 offen offset:1024
	buffer_load_b32 v9, v6, s[12:15], 0 offen offset:2048
	buffer_load_b32 v10, v6, s[12:15], 0 offen offset:3072
	s_add_u32 s12, s4, s6
	s_addc_u32 s4, s5, s7
	s_lshl_b32 s14, s9, 2
	s_and_b32 s13, s4, 0xffff
	s_mul_hi_i32 s5, s11, s20
	s_mul_i32 s4, s11, s20
	buffer_load_b32 v5, v1, s[12:15], 0 offen
	s_lshl_b64 s[4:5], s[4:5], 1
	v_lshlrev_b32_e32 v1, 4, v0
	s_add_u32 s12, s2, s4
	s_addc_u32 s2, s3, s5
	s_lshl_b32 s14, s10, 1
	s_and_b32 s13, s2, 0xffff
	v_cmp_gt_i32_e32 vcc_lo, s9, v12
	buffer_load_b128 v[1:4], v1, s[12:15], 0 offen
	s_waitcnt vmcnt(4)
	ds_store_2addr_stride64_b32 v6, v7, v8 offset1:4
	s_waitcnt vmcnt(2)
	ds_store_2addr_stride64_b32 v6, v9, v10 offset0:8 offset1:12
	s_waitcnt vmcnt(0) expcnt(1) lgkmcnt(0)
	s_barrier
	buffer_gl0_inv
	v_cmp_gt_i32_e64 s2, s18, v5
	v_cmp_lt_i32_e64 s3, -1, v5
	s_delay_alu instid0(VALU_DEP_2)
	s_and_b32 s2, vcc_lo, s2
	s_delay_alu instid0(VALU_DEP_1) | instid1(SALU_CYCLE_1)
	s_and_b32 s3, s2, s3
	s_delay_alu instid0(SALU_CYCLE_1)
	s_and_saveexec_b32 s2, s3
	s_cbranch_execz .LBB155_2
; %bb.1:
	v_lshlrev_b32_e32 v5, 2, v5
	ds_load_b32 v5, v5
.LBB155_2:
	s_or_b32 exec_lo, exec_lo, s2
	s_cmp_lt_i32 s9, 1
	s_cbranch_scc1 .LBB155_13
; %bb.3:
	s_clause 0x1
	s_load_b128 s[4:7], s[0:1], 0x0
	s_load_b64 s[22:23], s[0:1], 0x18
	v_and_b32_e32 v6, 0xffff, v1
	v_lshrrev_b32_e32 v7, 16, v1
	v_and_b32_e32 v8, 0xffff, v2
	s_add_i32 s1, s10, 7
	v_lshrrev_b32_e32 v2, 16, v2
	s_ashr_i32 s2, s1, 31
	v_cvt_f32_u32_e32 v1, v6
	s_lshr_b32 s2, s2, 29
	v_cvt_f32_u32_e32 v6, v7
	v_cvt_f32_u32_e32 v7, v8
	v_and_b32_e32 v8, 0xffff, v3
	v_lshrrev_b32_e32 v9, 16, v3
	v_and_b32_e32 v10, 0xffff, v4
	v_lshrrev_b32_e32 v11, 16, v4
	v_lshrrev_b32_e32 v13, 3, v0
	v_and_b32_e32 v14, 7, v0
	s_add_i32 s11, s10, 3
	s_add_i32 s1, s1, s2
	s_ashr_i32 s2, s11, 31
	s_movk_i32 s0, 0x7c
	s_ashr_i32 s1, s1, 3
	s_lshr_b32 s2, s2, 30
	v_cvt_f32_u32_e32 v2, v2
	v_cvt_f32_u32_e32 v3, v8
	;; [unrolled: 1-line block ×5, first 2 shown]
	v_dual_mov_b32 v15, 0x43e00000 :: v_dual_lshlrev_b32 v10, 3, v0
	v_lshlrev_b32_e32 v11, 5, v0
	v_cmp_eq_u32_e32 vcc_lo, 31, v12
	v_and_or_b32 v12, v13, s0, 0x1000
	v_lshl_or_b32 v13, v14, 2, 0x1000
	v_cmp_eq_u32_e64 s0, 0, v0
	v_cmp_gt_u32_e64 s1, s1, v0
	v_mov_b32_e32 v0, 0
	v_mov_b32_e32 v14, 0xc3e00000
	s_add_i32 s11, s11, s2
	s_lshl_b32 s14, s10, 2
	s_mov_b32 s3, 0
	s_and_b32 s18, s11, -4
	s_mov_b32 s11, 0x76543210
	s_branch .LBB155_6
.LBB155_4:                              ;   in Loop: Header=BB155_6 Depth=1
	s_or_b32 exec_lo, exec_lo, s2
.LBB155_5:                              ;   in Loop: Header=BB155_6 Depth=1
	s_add_i32 s3, s3, 1
	s_add_i32 s20, s20, s8
	s_cmp_eq_u32 s9, s3
	s_cbranch_scc1 .LBB155_13
.LBB155_6:                              ; =>This Inner Loop Header: Depth=1
	s_waitcnt lgkmcnt(0)
	v_readlane_b32 s2, v5, s3
	s_delay_alu instid0(VALU_DEP_1)
	s_cmp_lt_i32 s2, 0
	s_cbranch_scc1 .LBB155_5
; %bb.7:                                ;   in Loop: Header=BB155_6 Depth=1
	s_mul_i32 s12, s2, s10
	s_delay_alu instid0(SALU_CYCLE_1) | instskip(NEXT) | instid1(SALU_CYCLE_1)
	s_ashr_i32 s13, s12, 31
	s_lshl_b64 s[12:13], s[12:13], 2
	s_delay_alu instid0(SALU_CYCLE_1) | instskip(SKIP_1) | instid1(SALU_CYCLE_1)
	s_add_u32 s12, s22, s12
	s_addc_u32 s2, s23, s13
	s_and_b32 s13, s2, 0xffff
	s_clause 0x1
	buffer_load_b128 v[16:19], v11, s[12:15], 0 offen
	buffer_load_b128 v[24:27], v11, s[12:15], 16 offen
	s_waitcnt vmcnt(1)
	v_dual_mul_f32 v22, v16, v1 :: v_dual_mul_f32 v23, v17, v6
	v_dual_mul_f32 v20, v18, v7 :: v_dual_mul_f32 v21, v19, v2
	s_waitcnt vmcnt(0)
	v_dual_mul_f32 v19, v24, v3 :: v_dual_mul_f32 v18, v25, v4
	s_delay_alu instid0(VALU_DEP_3) | instskip(SKIP_1) | instid1(VALU_DEP_2)
	v_max3_f32 v16, |v22|, 0x2edbe6ff, |v23|
	v_mul_f32_e32 v17, v27, v9
	v_max3_f32 v24, v16, |v20|, |v21|
	v_mul_f32_e32 v16, v26, v8
	s_delay_alu instid0(VALU_DEP_2) | instskip(NEXT) | instid1(VALU_DEP_1)
	v_max3_f32 v24, v24, |v19|, |v18|
	v_max3_f32 v24, v24, |v16|, |v17|
	s_delay_alu instid0(VALU_DEP_1) | instskip(NEXT) | instid1(VALU_DEP_1)
	v_mov_b32_dpp v25, v24 quad_perm:[1,0,3,2] row_mask:0xf bank_mask:0xf
	v_cmp_gt_f32_e64 s2, v24, v25
	s_delay_alu instid0(VALU_DEP_1) | instskip(NEXT) | instid1(VALU_DEP_1)
	v_cndmask_b32_e64 v24, v25, v24, s2
	v_mov_b32_dpp v25, v24 quad_perm:[2,3,0,1] row_mask:0xf bank_mask:0xf
	s_delay_alu instid0(VALU_DEP_1) | instskip(NEXT) | instid1(VALU_DEP_1)
	v_cmp_gt_f32_e64 s2, v24, v25
	v_cndmask_b32_e64 v24, v25, v24, s2
	s_delay_alu instid0(VALU_DEP_1) | instskip(NEXT) | instid1(VALU_DEP_1)
	v_mov_b32_dpp v25, v24 row_xmask:7 row_mask:0xf bank_mask:0xf
	v_cmp_gt_f32_e64 s2, v24, v25
	s_delay_alu instid0(VALU_DEP_1) | instskip(NEXT) | instid1(VALU_DEP_1)
	v_cndmask_b32_e64 v24, v25, v24, s2
	v_mov_b32_dpp v25, v24 row_xmask:15 row_mask:0xf bank_mask:0xf
	s_delay_alu instid0(VALU_DEP_1)
	v_cmp_gt_f32_e64 s2, v24, v25
	s_and_saveexec_b32 s12, vcc_lo
	s_cbranch_execz .LBB155_9
; %bb.8:                                ;   in Loop: Header=BB155_6 Depth=1
	s_delay_alu instid0(VALU_DEP_1) | instskip(NEXT) | instid1(VALU_DEP_1)
	v_cndmask_b32_e64 v24, v25, v24, s2
	v_permlanex16_b32 v25, v24, s11, 0xfedcba98 op_sel:[1,1]
	s_delay_alu instid0(VALU_DEP_1) | instskip(NEXT) | instid1(VALU_DEP_1)
	v_cmp_gt_f32_e64 s2, v24, v25
	v_cndmask_b32_e64 v24, v25, v24, s2
	ds_store_b32 v12, v24
.LBB155_9:                              ;   in Loop: Header=BB155_6 Depth=1
	s_or_b32 exec_lo, exec_lo, s12
	s_waitcnt lgkmcnt(0)
	s_waitcnt_vscnt null, 0x0
	s_barrier
	buffer_gl0_inv
	ds_load_b32 v24, v13
	s_waitcnt lgkmcnt(0)
	v_mov_b32_dpp v25, v24 quad_perm:[1,0,3,2] row_mask:0xf bank_mask:0xf
	s_delay_alu instid0(VALU_DEP_1) | instskip(NEXT) | instid1(VALU_DEP_1)
	v_cmp_gt_f32_e64 s2, v24, v25
	v_cndmask_b32_e64 v24, v25, v24, s2
	s_delay_alu instid0(VALU_DEP_1) | instskip(NEXT) | instid1(VALU_DEP_1)
	v_mov_b32_dpp v25, v24 quad_perm:[2,3,0,1] row_mask:0xf bank_mask:0xf
	v_cmp_gt_f32_e64 s2, v24, v25
	s_delay_alu instid0(VALU_DEP_1) | instskip(NEXT) | instid1(VALU_DEP_1)
	v_cndmask_b32_e64 v24, v25, v24, s2
	v_mov_b32_dpp v25, v24 row_xmask:7 row_mask:0xf bank_mask:0xf
	s_delay_alu instid0(VALU_DEP_1) | instskip(NEXT) | instid1(VALU_DEP_1)
	v_cmp_gt_f32_e64 s2, v24, v25
	v_cndmask_b32_e64 v24, v25, v24, s2
	s_delay_alu instid0(VALU_DEP_1)
	v_mul_f32_e32 v24, 0x3b124925, v24
	s_and_saveexec_b32 s2, s0
	s_cbranch_execz .LBB155_11
; %bb.10:                               ;   in Loop: Header=BB155_6 Depth=1
	s_ashr_i32 s21, s20, 31
	s_delay_alu instid0(SALU_CYCLE_1) | instskip(NEXT) | instid1(SALU_CYCLE_1)
	s_lshl_b64 s[12:13], s[20:21], 2
	s_add_u32 s12, s6, s12
	s_addc_u32 s13, s7, s13
	global_store_b32 v0, v24, s[12:13]
.LBB155_11:                             ;   in Loop: Header=BB155_6 Depth=1
	s_or_b32 exec_lo, exec_lo, s2
	s_and_saveexec_b32 s2, s1
	s_cbranch_execz .LBB155_4
; %bb.12:                               ;   in Loop: Header=BB155_6 Depth=1
	v_rcp_f32_e32 v24, v24
	s_mul_i32 s12, s20, s10
	s_mul_hi_i32 s13, s20, s10
	s_add_u32 s16, s4, s12
	s_addc_u32 s12, s5, s13
	s_mov_b32 s19, s15
	s_and_b32 s17, s12, 0xffff
	s_waitcnt_depctr 0xfff
	v_mul_f32_e32 v22, v22, v24
	v_mul_f32_e32 v23, v23, v24
	;; [unrolled: 1-line block ×4, first 2 shown]
	;;#ASMSTART
	v_med3_f32 v22, v22, v14, v15
v_med3_f32 v23, v23, v14, v15
v_cvt_pk_fp8_f32 v25, v22, v23
	;;#ASMEND
	;;#ASMSTART
	v_med3_f32 v20, v20, v14, v15
v_med3_f32 v21, v21, v14, v15
v_cvt_pk_fp8_f32 v22, v20, v21
	;;#ASMEND
	v_perm_b32 v20, v22, v25, 0x5040100
	v_and_b32_e32 v22, 0xffffff00, v22
	v_mul_f32_e32 v18, v18, v24
	v_mul_f32_e32 v16, v16, v24
	;; [unrolled: 1-line block ×3, first 2 shown]
	v_lshrrev_b32_e32 v21, 16, v20
	s_delay_alu instid0(VALU_DEP_1) | instskip(NEXT) | instid1(VALU_DEP_1)
	v_and_b32_e32 v21, 0xff, v21
	v_or_b32_e32 v21, v21, v22
	v_mul_f32_e32 v19, v19, v24
	;;#ASMSTART
	v_med3_f32 v19, v19, v14, v15
v_med3_f32 v18, v18, v14, v15
v_cvt_pk_fp8_f32 v22, v19, v18
	;;#ASMEND
	;;#ASMSTART
	v_med3_f32 v16, v16, v14, v15
v_med3_f32 v17, v17, v14, v15
v_cvt_pk_fp8_f32 v18, v16, v17
	;;#ASMEND
	v_lshlrev_b32_e32 v16, 16, v18
	v_lshlrev_b32_e32 v18, 16, v21
	s_delay_alu instid0(VALU_DEP_2) | instskip(NEXT) | instid1(VALU_DEP_2)
	v_and_or_b32 v17, 0xffff, v22, v16
	v_and_or_b32 v16, 0xffff, v20, v18
	buffer_store_b64 v[16:17], v10, s[16:19], 0 offen
	;;#ASMSTART
	s_nop 0
	;;#ASMEND
	s_branch .LBB155_4
.LBB155_13:
	s_nop 0
	s_sendmsg sendmsg(MSG_DEALLOC_VGPRS)
	s_endpgm
	.section	.rodata,"a",@progbits
	.p2align	6, 0x0
	.amdhsa_kernel _ZN5aiter43moe_smooth_per_token_scaled_quant_kernel_v1ItDB8_Li256ELi8ELb1ELb1ELi1024EEEvPT0_PfPT_S4_PiS7_iiiii
		.amdhsa_group_segment_fixed_size 4128
		.amdhsa_private_segment_fixed_size 0
		.amdhsa_kernarg_size 68
		.amdhsa_user_sgpr_count 15
		.amdhsa_user_sgpr_dispatch_ptr 0
		.amdhsa_user_sgpr_queue_ptr 0
		.amdhsa_user_sgpr_kernarg_segment_ptr 1
		.amdhsa_user_sgpr_dispatch_id 0
		.amdhsa_user_sgpr_private_segment_size 0
		.amdhsa_wavefront_size32 1
		.amdhsa_uses_dynamic_stack 0
		.amdhsa_enable_private_segment 0
		.amdhsa_system_sgpr_workgroup_id_x 1
		.amdhsa_system_sgpr_workgroup_id_y 0
		.amdhsa_system_sgpr_workgroup_id_z 0
		.amdhsa_system_sgpr_workgroup_info 0
		.amdhsa_system_vgpr_workitem_id 0
		.amdhsa_next_free_vgpr 28
		.amdhsa_next_free_sgpr 24
		.amdhsa_reserve_vcc 1
		.amdhsa_float_round_mode_32 0
		.amdhsa_float_round_mode_16_64 0
		.amdhsa_float_denorm_mode_32 3
		.amdhsa_float_denorm_mode_16_64 3
		.amdhsa_dx10_clamp 1
		.amdhsa_ieee_mode 1
		.amdhsa_fp16_overflow 0
		.amdhsa_workgroup_processor_mode 1
		.amdhsa_memory_ordered 1
		.amdhsa_forward_progress 0
		.amdhsa_shared_vgpr_count 0
		.amdhsa_exception_fp_ieee_invalid_op 0
		.amdhsa_exception_fp_denorm_src 0
		.amdhsa_exception_fp_ieee_div_zero 0
		.amdhsa_exception_fp_ieee_overflow 0
		.amdhsa_exception_fp_ieee_underflow 0
		.amdhsa_exception_fp_ieee_inexact 0
		.amdhsa_exception_int_div_zero 0
	.end_amdhsa_kernel
	.section	.text._ZN5aiter43moe_smooth_per_token_scaled_quant_kernel_v1ItDB8_Li256ELi8ELb1ELb1ELi1024EEEvPT0_PfPT_S4_PiS7_iiiii,"axG",@progbits,_ZN5aiter43moe_smooth_per_token_scaled_quant_kernel_v1ItDB8_Li256ELi8ELb1ELb1ELi1024EEEvPT0_PfPT_S4_PiS7_iiiii,comdat
.Lfunc_end155:
	.size	_ZN5aiter43moe_smooth_per_token_scaled_quant_kernel_v1ItDB8_Li256ELi8ELb1ELb1ELi1024EEEvPT0_PfPT_S4_PiS7_iiiii, .Lfunc_end155-_ZN5aiter43moe_smooth_per_token_scaled_quant_kernel_v1ItDB8_Li256ELi8ELb1ELb1ELi1024EEEvPT0_PfPT_S4_PiS7_iiiii
                                        ; -- End function
	.section	.AMDGPU.csdata,"",@progbits
; Kernel info:
; codeLenInByte = 1516
; NumSgprs: 26
; NumVgprs: 28
; ScratchSize: 0
; MemoryBound: 0
; FloatMode: 240
; IeeeMode: 1
; LDSByteSize: 4128 bytes/workgroup (compile time only)
; SGPRBlocks: 3
; VGPRBlocks: 3
; NumSGPRsForWavesPerEU: 26
; NumVGPRsForWavesPerEU: 28
; Occupancy: 16
; WaveLimiterHint : 0
; COMPUTE_PGM_RSRC2:SCRATCH_EN: 0
; COMPUTE_PGM_RSRC2:USER_SGPR: 15
; COMPUTE_PGM_RSRC2:TRAP_HANDLER: 0
; COMPUTE_PGM_RSRC2:TGID_X_EN: 1
; COMPUTE_PGM_RSRC2:TGID_Y_EN: 0
; COMPUTE_PGM_RSRC2:TGID_Z_EN: 0
; COMPUTE_PGM_RSRC2:TIDIG_COMP_CNT: 0
	.section	.text._ZN5aiter43moe_smooth_per_token_scaled_quant_kernel_v1IDF16_DB8_Li256ELi8ELb1ELb0ELi1024EEEvPT0_PfPT_S4_PiS7_iiiii,"axG",@progbits,_ZN5aiter43moe_smooth_per_token_scaled_quant_kernel_v1IDF16_DB8_Li256ELi8ELb1ELb0ELi1024EEEvPT0_PfPT_S4_PiS7_iiiii,comdat
	.protected	_ZN5aiter43moe_smooth_per_token_scaled_quant_kernel_v1IDF16_DB8_Li256ELi8ELb1ELb0ELi1024EEEvPT0_PfPT_S4_PiS7_iiiii ; -- Begin function _ZN5aiter43moe_smooth_per_token_scaled_quant_kernel_v1IDF16_DB8_Li256ELi8ELb1ELb0ELi1024EEEvPT0_PfPT_S4_PiS7_iiiii
	.globl	_ZN5aiter43moe_smooth_per_token_scaled_quant_kernel_v1IDF16_DB8_Li256ELi8ELb1ELb0ELi1024EEEvPT0_PfPT_S4_PiS7_iiiii
	.p2align	8
	.type	_ZN5aiter43moe_smooth_per_token_scaled_quant_kernel_v1IDF16_DB8_Li256ELi8ELb1ELb0ELi1024EEEvPT0_PfPT_S4_PiS7_iiiii,@function
_ZN5aiter43moe_smooth_per_token_scaled_quant_kernel_v1IDF16_DB8_Li256ELi8ELb1ELb0ELi1024EEEvPT0_PfPT_S4_PiS7_iiiii: ; @_ZN5aiter43moe_smooth_per_token_scaled_quant_kernel_v1IDF16_DB8_Li256ELi8ELb1ELb0ELi1024EEEvPT0_PfPT_S4_PiS7_iiiii
; %bb.0:
	s_clause 0x2
	s_load_b128 s[4:7], s[0:1], 0x30
	s_load_b64 s[2:3], s[0:1], 0x20
	s_load_b64 s[12:13], s[0:1], 0x10
	v_and_b32_e32 v12, 31, v0
	s_mov_b32 s20, s15
	s_mov_b32 s11, -1
	s_delay_alu instid0(VALU_DEP_1)
	v_lshlrev_b32_e32 v1, 2, v12
	s_waitcnt lgkmcnt(0)
	s_mul_i32 s8, s15, s5
	s_mul_hi_i32 s15, s7, s15
	s_ashr_i32 s9, s8, 31
	s_mul_i32 s14, s7, s20
	s_lshl_b64 s[8:9], s[8:9], 2
	s_delay_alu instid0(SALU_CYCLE_1)
	s_add_u32 s8, s2, s8
	s_addc_u32 s2, s3, s9
	s_lshl_b32 s10, s5, 2
	s_and_b32 s9, s2, 0xffff
	s_lshl_b64 s[2:3], s[14:15], 1
	buffer_load_b32 v5, v1, s[8:11], 0 offen
	s_add_u32 s8, s12, s2
	v_lshlrev_b32_e32 v1, 4, v0
	s_addc_u32 s2, s13, s3
	s_lshl_b32 s10, s6, 1
	s_and_b32 s9, s2, 0xffff
	s_mov_b32 s3, 0
	buffer_load_b128 v[1:4], v1, s[8:11], 0 offen
	s_cmp_lt_i32 s5, 1
	s_waitcnt vmcnt(0) expcnt(1) lgkmcnt(55)
	s_barrier
	buffer_gl0_inv
	s_cbranch_scc1 .LBB156_11
; %bb.1:
	s_clause 0x1
	s_load_b128 s[12:15], s[0:1], 0x0
	s_load_b64 s[22:23], s[0:1], 0x18
	s_add_i32 s1, s6, 7
	v_lshrrev_b32_e32 v6, 16, v1
	s_ashr_i32 s2, s1, 31
	v_lshrrev_b32_e32 v7, 16, v2
	s_lshr_b32 s2, s2, 29
	v_lshrrev_b32_e32 v8, 16, v3
	v_lshrrev_b32_e32 v9, 16, v4
	;; [unrolled: 1-line block ×3, first 2 shown]
	v_and_b32_e32 v14, 7, v0
	s_add_i32 s7, s6, 3
	s_add_i32 s1, s1, s2
	s_ashr_i32 s2, s7, 31
	s_ashr_i32 s1, s1, 3
	s_lshr_b32 s2, s2, 30
	v_cvt_f32_f16_e32 v1, v1
	v_cvt_f32_f16_e32 v6, v6
	;; [unrolled: 1-line block ×8, first 2 shown]
	v_dual_mov_b32 v15, 0x43e00000 :: v_dual_lshlrev_b32 v10, 3, v0
	v_lshlrev_b32_e32 v11, 5, v0
	v_cmp_eq_u32_e32 vcc_lo, 31, v12
	v_and_b32_e32 v12, 0x7c, v13
	v_dual_mov_b32 v14, 0xc3e00000 :: v_dual_lshlrev_b32 v13, 2, v14
	v_cmp_eq_u32_e64 s0, 0, v0
	v_cmp_gt_u32_e64 s1, s1, v0
	v_mov_b32_e32 v0, 0
	s_add_i32 s7, s7, s2
	s_lshl_b32 s10, s6, 2
	s_and_b32 s18, s7, -4
	s_mov_b32 s7, 0x76543210
	s_branch .LBB156_4
.LBB156_2:                              ;   in Loop: Header=BB156_4 Depth=1
	s_or_b32 exec_lo, exec_lo, s2
.LBB156_3:                              ;   in Loop: Header=BB156_4 Depth=1
	s_add_i32 s3, s3, 1
	s_add_i32 s20, s20, s4
	s_cmp_eq_u32 s5, s3
	s_cbranch_scc1 .LBB156_11
.LBB156_4:                              ; =>This Inner Loop Header: Depth=1
	v_readlane_b32 s2, v5, s3
	s_delay_alu instid0(VALU_DEP_1)
	s_cmp_lt_i32 s2, 0
	s_cbranch_scc1 .LBB156_3
; %bb.5:                                ;   in Loop: Header=BB156_4 Depth=1
	s_mul_i32 s8, s2, s6
	s_delay_alu instid0(SALU_CYCLE_1) | instskip(NEXT) | instid1(SALU_CYCLE_1)
	s_ashr_i32 s9, s8, 31
	s_lshl_b64 s[8:9], s[8:9], 2
	s_waitcnt lgkmcnt(0)
	s_add_u32 s8, s22, s8
	s_addc_u32 s2, s23, s9
	s_delay_alu instid0(SALU_CYCLE_1)
	s_and_b32 s9, s2, 0xffff
	s_clause 0x1
	buffer_load_b128 v[16:19], v11, s[8:11], 0 offen
	buffer_load_b128 v[24:27], v11, s[8:11], 16 offen
	s_waitcnt vmcnt(1)
	v_dual_mul_f32 v22, v16, v1 :: v_dual_mul_f32 v23, v17, v6
	v_dual_mul_f32 v20, v18, v2 :: v_dual_mul_f32 v21, v19, v7
	s_waitcnt vmcnt(0)
	v_dual_mul_f32 v19, v24, v3 :: v_dual_mul_f32 v18, v25, v8
	s_delay_alu instid0(VALU_DEP_3) | instskip(SKIP_1) | instid1(VALU_DEP_2)
	v_max3_f32 v16, |v22|, 0x2edbe6ff, |v23|
	v_mul_f32_e32 v17, v27, v9
	v_max3_f32 v24, v16, |v20|, |v21|
	v_mul_f32_e32 v16, v26, v4
	s_delay_alu instid0(VALU_DEP_2) | instskip(NEXT) | instid1(VALU_DEP_1)
	v_max3_f32 v24, v24, |v19|, |v18|
	v_max3_f32 v24, v24, |v16|, |v17|
	s_delay_alu instid0(VALU_DEP_1) | instskip(NEXT) | instid1(VALU_DEP_1)
	v_mov_b32_dpp v25, v24 quad_perm:[1,0,3,2] row_mask:0xf bank_mask:0xf
	v_cmp_gt_f32_e64 s2, v24, v25
	s_delay_alu instid0(VALU_DEP_1) | instskip(NEXT) | instid1(VALU_DEP_1)
	v_cndmask_b32_e64 v24, v25, v24, s2
	v_mov_b32_dpp v25, v24 quad_perm:[2,3,0,1] row_mask:0xf bank_mask:0xf
	s_delay_alu instid0(VALU_DEP_1) | instskip(NEXT) | instid1(VALU_DEP_1)
	v_cmp_gt_f32_e64 s2, v24, v25
	v_cndmask_b32_e64 v24, v25, v24, s2
	s_delay_alu instid0(VALU_DEP_1) | instskip(NEXT) | instid1(VALU_DEP_1)
	v_mov_b32_dpp v25, v24 row_xmask:7 row_mask:0xf bank_mask:0xf
	v_cmp_gt_f32_e64 s2, v24, v25
	s_delay_alu instid0(VALU_DEP_1) | instskip(NEXT) | instid1(VALU_DEP_1)
	v_cndmask_b32_e64 v24, v25, v24, s2
	v_mov_b32_dpp v25, v24 row_xmask:15 row_mask:0xf bank_mask:0xf
	s_delay_alu instid0(VALU_DEP_1)
	v_cmp_gt_f32_e64 s2, v24, v25
	s_and_saveexec_b32 s8, vcc_lo
	s_cbranch_execz .LBB156_7
; %bb.6:                                ;   in Loop: Header=BB156_4 Depth=1
	s_delay_alu instid0(VALU_DEP_1) | instskip(NEXT) | instid1(VALU_DEP_1)
	v_cndmask_b32_e64 v24, v25, v24, s2
	v_permlanex16_b32 v25, v24, s7, 0xfedcba98 op_sel:[1,1]
	s_delay_alu instid0(VALU_DEP_1) | instskip(NEXT) | instid1(VALU_DEP_1)
	v_cmp_gt_f32_e64 s2, v24, v25
	v_cndmask_b32_e64 v24, v25, v24, s2
	ds_store_b32 v12, v24
.LBB156_7:                              ;   in Loop: Header=BB156_4 Depth=1
	s_or_b32 exec_lo, exec_lo, s8
	s_waitcnt lgkmcnt(0)
	s_waitcnt_vscnt null, 0x0
	s_barrier
	buffer_gl0_inv
	ds_load_b32 v24, v13
	s_waitcnt lgkmcnt(0)
	v_mov_b32_dpp v25, v24 quad_perm:[1,0,3,2] row_mask:0xf bank_mask:0xf
	s_delay_alu instid0(VALU_DEP_1) | instskip(NEXT) | instid1(VALU_DEP_1)
	v_cmp_gt_f32_e64 s2, v24, v25
	v_cndmask_b32_e64 v24, v25, v24, s2
	s_delay_alu instid0(VALU_DEP_1) | instskip(NEXT) | instid1(VALU_DEP_1)
	v_mov_b32_dpp v25, v24 quad_perm:[2,3,0,1] row_mask:0xf bank_mask:0xf
	v_cmp_gt_f32_e64 s2, v24, v25
	s_delay_alu instid0(VALU_DEP_1) | instskip(NEXT) | instid1(VALU_DEP_1)
	v_cndmask_b32_e64 v24, v25, v24, s2
	v_mov_b32_dpp v25, v24 row_xmask:7 row_mask:0xf bank_mask:0xf
	s_delay_alu instid0(VALU_DEP_1) | instskip(NEXT) | instid1(VALU_DEP_1)
	v_cmp_gt_f32_e64 s2, v24, v25
	v_cndmask_b32_e64 v24, v25, v24, s2
	s_delay_alu instid0(VALU_DEP_1)
	v_mul_f32_e32 v24, 0x3b124925, v24
	s_and_saveexec_b32 s2, s0
	s_cbranch_execz .LBB156_9
; %bb.8:                                ;   in Loop: Header=BB156_4 Depth=1
	s_ashr_i32 s21, s20, 31
	s_delay_alu instid0(SALU_CYCLE_1) | instskip(NEXT) | instid1(SALU_CYCLE_1)
	s_lshl_b64 s[8:9], s[20:21], 2
	s_add_u32 s8, s14, s8
	s_addc_u32 s9, s15, s9
	global_store_b32 v0, v24, s[8:9]
.LBB156_9:                              ;   in Loop: Header=BB156_4 Depth=1
	s_or_b32 exec_lo, exec_lo, s2
	s_and_saveexec_b32 s2, s1
	s_cbranch_execz .LBB156_2
; %bb.10:                               ;   in Loop: Header=BB156_4 Depth=1
	v_rcp_f32_e32 v24, v24
	s_mul_i32 s8, s20, s6
	s_mul_hi_i32 s9, s20, s6
	s_add_u32 s16, s12, s8
	s_addc_u32 s8, s13, s9
	s_mov_b32 s19, s11
	s_and_b32 s17, s8, 0xffff
	s_waitcnt_depctr 0xfff
	v_mul_f32_e32 v22, v22, v24
	v_mul_f32_e32 v23, v23, v24
	;; [unrolled: 1-line block ×4, first 2 shown]
	;;#ASMSTART
	v_med3_f32 v22, v22, v14, v15
v_med3_f32 v23, v23, v14, v15
v_cvt_pk_fp8_f32 v25, v22, v23
	;;#ASMEND
	;;#ASMSTART
	v_med3_f32 v20, v20, v14, v15
v_med3_f32 v21, v21, v14, v15
v_cvt_pk_fp8_f32 v22, v20, v21
	;;#ASMEND
	v_perm_b32 v20, v22, v25, 0x5040100
	v_and_b32_e32 v22, 0xffffff00, v22
	v_mul_f32_e32 v18, v18, v24
	v_mul_f32_e32 v16, v16, v24
	;; [unrolled: 1-line block ×3, first 2 shown]
	v_lshrrev_b32_e32 v21, 16, v20
	s_delay_alu instid0(VALU_DEP_1) | instskip(NEXT) | instid1(VALU_DEP_1)
	v_and_b32_e32 v21, 0xff, v21
	v_or_b32_e32 v21, v21, v22
	v_mul_f32_e32 v19, v19, v24
	;;#ASMSTART
	v_med3_f32 v19, v19, v14, v15
v_med3_f32 v18, v18, v14, v15
v_cvt_pk_fp8_f32 v22, v19, v18
	;;#ASMEND
	;;#ASMSTART
	v_med3_f32 v16, v16, v14, v15
v_med3_f32 v17, v17, v14, v15
v_cvt_pk_fp8_f32 v18, v16, v17
	;;#ASMEND
	v_lshlrev_b32_e32 v16, 16, v18
	v_lshlrev_b32_e32 v18, 16, v21
	s_delay_alu instid0(VALU_DEP_2) | instskip(NEXT) | instid1(VALU_DEP_2)
	v_and_or_b32 v17, 0xffff, v22, v16
	v_and_or_b32 v16, 0xffff, v20, v18
	buffer_store_b64 v[16:17], v10, s[16:19], 0 offen
	;;#ASMSTART
	s_nop 0
	;;#ASMEND
	s_branch .LBB156_2
.LBB156_11:
	s_nop 0
	s_sendmsg sendmsg(MSG_DEALLOC_VGPRS)
	s_endpgm
	.section	.rodata,"a",@progbits
	.p2align	6, 0x0
	.amdhsa_kernel _ZN5aiter43moe_smooth_per_token_scaled_quant_kernel_v1IDF16_DB8_Li256ELi8ELb1ELb0ELi1024EEEvPT0_PfPT_S4_PiS7_iiiii
		.amdhsa_group_segment_fixed_size 32
		.amdhsa_private_segment_fixed_size 0
		.amdhsa_kernarg_size 68
		.amdhsa_user_sgpr_count 15
		.amdhsa_user_sgpr_dispatch_ptr 0
		.amdhsa_user_sgpr_queue_ptr 0
		.amdhsa_user_sgpr_kernarg_segment_ptr 1
		.amdhsa_user_sgpr_dispatch_id 0
		.amdhsa_user_sgpr_private_segment_size 0
		.amdhsa_wavefront_size32 1
		.amdhsa_uses_dynamic_stack 0
		.amdhsa_enable_private_segment 0
		.amdhsa_system_sgpr_workgroup_id_x 1
		.amdhsa_system_sgpr_workgroup_id_y 0
		.amdhsa_system_sgpr_workgroup_id_z 0
		.amdhsa_system_sgpr_workgroup_info 0
		.amdhsa_system_vgpr_workitem_id 0
		.amdhsa_next_free_vgpr 28
		.amdhsa_next_free_sgpr 24
		.amdhsa_reserve_vcc 1
		.amdhsa_float_round_mode_32 0
		.amdhsa_float_round_mode_16_64 0
		.amdhsa_float_denorm_mode_32 3
		.amdhsa_float_denorm_mode_16_64 3
		.amdhsa_dx10_clamp 1
		.amdhsa_ieee_mode 1
		.amdhsa_fp16_overflow 0
		.amdhsa_workgroup_processor_mode 1
		.amdhsa_memory_ordered 1
		.amdhsa_forward_progress 0
		.amdhsa_shared_vgpr_count 0
		.amdhsa_exception_fp_ieee_invalid_op 0
		.amdhsa_exception_fp_denorm_src 0
		.amdhsa_exception_fp_ieee_div_zero 0
		.amdhsa_exception_fp_ieee_overflow 0
		.amdhsa_exception_fp_ieee_underflow 0
		.amdhsa_exception_fp_ieee_inexact 0
		.amdhsa_exception_int_div_zero 0
	.end_amdhsa_kernel
	.section	.text._ZN5aiter43moe_smooth_per_token_scaled_quant_kernel_v1IDF16_DB8_Li256ELi8ELb1ELb0ELi1024EEEvPT0_PfPT_S4_PiS7_iiiii,"axG",@progbits,_ZN5aiter43moe_smooth_per_token_scaled_quant_kernel_v1IDF16_DB8_Li256ELi8ELb1ELb0ELi1024EEEvPT0_PfPT_S4_PiS7_iiiii,comdat
.Lfunc_end156:
	.size	_ZN5aiter43moe_smooth_per_token_scaled_quant_kernel_v1IDF16_DB8_Li256ELi8ELb1ELb0ELi1024EEEvPT0_PfPT_S4_PiS7_iiiii, .Lfunc_end156-_ZN5aiter43moe_smooth_per_token_scaled_quant_kernel_v1IDF16_DB8_Li256ELi8ELb1ELb0ELi1024EEEvPT0_PfPT_S4_PiS7_iiiii
                                        ; -- End function
	.section	.AMDGPU.csdata,"",@progbits
; Kernel info:
; codeLenInByte = 1328
; NumSgprs: 26
; NumVgprs: 28
; ScratchSize: 0
; MemoryBound: 0
; FloatMode: 240
; IeeeMode: 1
; LDSByteSize: 32 bytes/workgroup (compile time only)
; SGPRBlocks: 3
; VGPRBlocks: 3
; NumSGPRsForWavesPerEU: 26
; NumVGPRsForWavesPerEU: 28
; Occupancy: 16
; WaveLimiterHint : 0
; COMPUTE_PGM_RSRC2:SCRATCH_EN: 0
; COMPUTE_PGM_RSRC2:USER_SGPR: 15
; COMPUTE_PGM_RSRC2:TRAP_HANDLER: 0
; COMPUTE_PGM_RSRC2:TGID_X_EN: 1
; COMPUTE_PGM_RSRC2:TGID_Y_EN: 0
; COMPUTE_PGM_RSRC2:TGID_Z_EN: 0
; COMPUTE_PGM_RSRC2:TIDIG_COMP_CNT: 0
	.section	.text._ZN5aiter43moe_smooth_per_token_scaled_quant_kernel_v1ItDB8_Li256ELi8ELb1ELb0ELi1024EEEvPT0_PfPT_S4_PiS7_iiiii,"axG",@progbits,_ZN5aiter43moe_smooth_per_token_scaled_quant_kernel_v1ItDB8_Li256ELi8ELb1ELb0ELi1024EEEvPT0_PfPT_S4_PiS7_iiiii,comdat
	.protected	_ZN5aiter43moe_smooth_per_token_scaled_quant_kernel_v1ItDB8_Li256ELi8ELb1ELb0ELi1024EEEvPT0_PfPT_S4_PiS7_iiiii ; -- Begin function _ZN5aiter43moe_smooth_per_token_scaled_quant_kernel_v1ItDB8_Li256ELi8ELb1ELb0ELi1024EEEvPT0_PfPT_S4_PiS7_iiiii
	.globl	_ZN5aiter43moe_smooth_per_token_scaled_quant_kernel_v1ItDB8_Li256ELi8ELb1ELb0ELi1024EEEvPT0_PfPT_S4_PiS7_iiiii
	.p2align	8
	.type	_ZN5aiter43moe_smooth_per_token_scaled_quant_kernel_v1ItDB8_Li256ELi8ELb1ELb0ELi1024EEEvPT0_PfPT_S4_PiS7_iiiii,@function
_ZN5aiter43moe_smooth_per_token_scaled_quant_kernel_v1ItDB8_Li256ELi8ELb1ELb0ELi1024EEEvPT0_PfPT_S4_PiS7_iiiii: ; @_ZN5aiter43moe_smooth_per_token_scaled_quant_kernel_v1ItDB8_Li256ELi8ELb1ELb0ELi1024EEEvPT0_PfPT_S4_PiS7_iiiii
; %bb.0:
	s_clause 0x2
	s_load_b128 s[4:7], s[0:1], 0x30
	s_load_b64 s[2:3], s[0:1], 0x20
	s_load_b64 s[12:13], s[0:1], 0x10
	v_and_b32_e32 v12, 31, v0
	s_mov_b32 s20, s15
	s_mov_b32 s11, -1
	s_delay_alu instid0(VALU_DEP_1)
	v_lshlrev_b32_e32 v1, 2, v12
	s_waitcnt lgkmcnt(0)
	s_mul_i32 s8, s15, s5
	s_mul_hi_i32 s15, s7, s15
	s_ashr_i32 s9, s8, 31
	s_mul_i32 s14, s7, s20
	s_lshl_b64 s[8:9], s[8:9], 2
	s_delay_alu instid0(SALU_CYCLE_1)
	s_add_u32 s8, s2, s8
	s_addc_u32 s2, s3, s9
	s_lshl_b32 s10, s5, 2
	s_and_b32 s9, s2, 0xffff
	s_lshl_b64 s[2:3], s[14:15], 1
	buffer_load_b32 v5, v1, s[8:11], 0 offen
	s_add_u32 s8, s12, s2
	v_lshlrev_b32_e32 v1, 4, v0
	s_addc_u32 s2, s13, s3
	s_lshl_b32 s10, s6, 1
	s_and_b32 s9, s2, 0xffff
	s_mov_b32 s3, 0
	buffer_load_b128 v[1:4], v1, s[8:11], 0 offen
	s_cmp_lt_i32 s5, 1
	s_waitcnt vmcnt(0) expcnt(1) lgkmcnt(55)
	s_barrier
	buffer_gl0_inv
	s_cbranch_scc1 .LBB157_11
; %bb.1:
	s_clause 0x1
	s_load_b128 s[12:15], s[0:1], 0x0
	s_load_b64 s[22:23], s[0:1], 0x18
	v_and_b32_e32 v6, 0xffff, v1
	v_lshrrev_b32_e32 v7, 16, v1
	v_and_b32_e32 v8, 0xffff, v2
	s_add_i32 s1, s6, 7
	v_lshrrev_b32_e32 v2, 16, v2
	s_ashr_i32 s2, s1, 31
	v_cvt_f32_u32_e32 v1, v6
	s_lshr_b32 s2, s2, 29
	v_cvt_f32_u32_e32 v6, v7
	v_cvt_f32_u32_e32 v7, v8
	v_and_b32_e32 v8, 0xffff, v3
	v_lshrrev_b32_e32 v9, 16, v3
	v_and_b32_e32 v10, 0xffff, v4
	v_lshrrev_b32_e32 v11, 16, v4
	v_lshrrev_b32_e32 v13, 3, v0
	v_and_b32_e32 v14, 7, v0
	s_add_i32 s7, s6, 3
	s_add_i32 s1, s1, s2
	s_ashr_i32 s2, s7, 31
	s_ashr_i32 s1, s1, 3
	s_lshr_b32 s2, s2, 30
	v_cvt_f32_u32_e32 v2, v2
	v_cvt_f32_u32_e32 v3, v8
	;; [unrolled: 1-line block ×5, first 2 shown]
	v_dual_mov_b32 v15, 0x43e00000 :: v_dual_lshlrev_b32 v10, 3, v0
	v_lshlrev_b32_e32 v11, 5, v0
	v_cmp_eq_u32_e32 vcc_lo, 31, v12
	v_and_b32_e32 v12, 0x7c, v13
	v_dual_mov_b32 v14, 0xc3e00000 :: v_dual_lshlrev_b32 v13, 2, v14
	v_cmp_eq_u32_e64 s0, 0, v0
	v_cmp_gt_u32_e64 s1, s1, v0
	v_mov_b32_e32 v0, 0
	s_add_i32 s7, s7, s2
	s_lshl_b32 s10, s6, 2
	s_and_b32 s18, s7, -4
	s_mov_b32 s7, 0x76543210
	s_branch .LBB157_4
.LBB157_2:                              ;   in Loop: Header=BB157_4 Depth=1
	s_or_b32 exec_lo, exec_lo, s2
.LBB157_3:                              ;   in Loop: Header=BB157_4 Depth=1
	s_add_i32 s3, s3, 1
	s_add_i32 s20, s20, s4
	s_cmp_eq_u32 s5, s3
	s_cbranch_scc1 .LBB157_11
.LBB157_4:                              ; =>This Inner Loop Header: Depth=1
	v_readlane_b32 s2, v5, s3
	s_delay_alu instid0(VALU_DEP_1)
	s_cmp_lt_i32 s2, 0
	s_cbranch_scc1 .LBB157_3
; %bb.5:                                ;   in Loop: Header=BB157_4 Depth=1
	s_mul_i32 s8, s2, s6
	s_delay_alu instid0(SALU_CYCLE_1) | instskip(NEXT) | instid1(SALU_CYCLE_1)
	s_ashr_i32 s9, s8, 31
	s_lshl_b64 s[8:9], s[8:9], 2
	s_waitcnt lgkmcnt(0)
	s_add_u32 s8, s22, s8
	s_addc_u32 s2, s23, s9
	s_delay_alu instid0(SALU_CYCLE_1)
	s_and_b32 s9, s2, 0xffff
	s_clause 0x1
	buffer_load_b128 v[16:19], v11, s[8:11], 0 offen
	buffer_load_b128 v[24:27], v11, s[8:11], 16 offen
	s_waitcnt vmcnt(1)
	v_dual_mul_f32 v22, v16, v1 :: v_dual_mul_f32 v23, v17, v6
	v_dual_mul_f32 v20, v18, v7 :: v_dual_mul_f32 v21, v19, v2
	s_waitcnt vmcnt(0)
	v_dual_mul_f32 v19, v24, v3 :: v_dual_mul_f32 v18, v25, v4
	s_delay_alu instid0(VALU_DEP_3) | instskip(SKIP_1) | instid1(VALU_DEP_2)
	v_max3_f32 v16, |v22|, 0x2edbe6ff, |v23|
	v_mul_f32_e32 v17, v27, v9
	v_max3_f32 v24, v16, |v20|, |v21|
	v_mul_f32_e32 v16, v26, v8
	s_delay_alu instid0(VALU_DEP_2) | instskip(NEXT) | instid1(VALU_DEP_1)
	v_max3_f32 v24, v24, |v19|, |v18|
	v_max3_f32 v24, v24, |v16|, |v17|
	s_delay_alu instid0(VALU_DEP_1) | instskip(NEXT) | instid1(VALU_DEP_1)
	v_mov_b32_dpp v25, v24 quad_perm:[1,0,3,2] row_mask:0xf bank_mask:0xf
	v_cmp_gt_f32_e64 s2, v24, v25
	s_delay_alu instid0(VALU_DEP_1) | instskip(NEXT) | instid1(VALU_DEP_1)
	v_cndmask_b32_e64 v24, v25, v24, s2
	v_mov_b32_dpp v25, v24 quad_perm:[2,3,0,1] row_mask:0xf bank_mask:0xf
	s_delay_alu instid0(VALU_DEP_1) | instskip(NEXT) | instid1(VALU_DEP_1)
	v_cmp_gt_f32_e64 s2, v24, v25
	v_cndmask_b32_e64 v24, v25, v24, s2
	s_delay_alu instid0(VALU_DEP_1) | instskip(NEXT) | instid1(VALU_DEP_1)
	v_mov_b32_dpp v25, v24 row_xmask:7 row_mask:0xf bank_mask:0xf
	v_cmp_gt_f32_e64 s2, v24, v25
	s_delay_alu instid0(VALU_DEP_1) | instskip(NEXT) | instid1(VALU_DEP_1)
	v_cndmask_b32_e64 v24, v25, v24, s2
	v_mov_b32_dpp v25, v24 row_xmask:15 row_mask:0xf bank_mask:0xf
	s_delay_alu instid0(VALU_DEP_1)
	v_cmp_gt_f32_e64 s2, v24, v25
	s_and_saveexec_b32 s8, vcc_lo
	s_cbranch_execz .LBB157_7
; %bb.6:                                ;   in Loop: Header=BB157_4 Depth=1
	s_delay_alu instid0(VALU_DEP_1) | instskip(NEXT) | instid1(VALU_DEP_1)
	v_cndmask_b32_e64 v24, v25, v24, s2
	v_permlanex16_b32 v25, v24, s7, 0xfedcba98 op_sel:[1,1]
	s_delay_alu instid0(VALU_DEP_1) | instskip(NEXT) | instid1(VALU_DEP_1)
	v_cmp_gt_f32_e64 s2, v24, v25
	v_cndmask_b32_e64 v24, v25, v24, s2
	ds_store_b32 v12, v24
.LBB157_7:                              ;   in Loop: Header=BB157_4 Depth=1
	s_or_b32 exec_lo, exec_lo, s8
	s_waitcnt lgkmcnt(0)
	s_waitcnt_vscnt null, 0x0
	s_barrier
	buffer_gl0_inv
	ds_load_b32 v24, v13
	s_waitcnt lgkmcnt(0)
	v_mov_b32_dpp v25, v24 quad_perm:[1,0,3,2] row_mask:0xf bank_mask:0xf
	s_delay_alu instid0(VALU_DEP_1) | instskip(NEXT) | instid1(VALU_DEP_1)
	v_cmp_gt_f32_e64 s2, v24, v25
	v_cndmask_b32_e64 v24, v25, v24, s2
	s_delay_alu instid0(VALU_DEP_1) | instskip(NEXT) | instid1(VALU_DEP_1)
	v_mov_b32_dpp v25, v24 quad_perm:[2,3,0,1] row_mask:0xf bank_mask:0xf
	v_cmp_gt_f32_e64 s2, v24, v25
	s_delay_alu instid0(VALU_DEP_1) | instskip(NEXT) | instid1(VALU_DEP_1)
	v_cndmask_b32_e64 v24, v25, v24, s2
	v_mov_b32_dpp v25, v24 row_xmask:7 row_mask:0xf bank_mask:0xf
	s_delay_alu instid0(VALU_DEP_1) | instskip(NEXT) | instid1(VALU_DEP_1)
	v_cmp_gt_f32_e64 s2, v24, v25
	v_cndmask_b32_e64 v24, v25, v24, s2
	s_delay_alu instid0(VALU_DEP_1)
	v_mul_f32_e32 v24, 0x3b124925, v24
	s_and_saveexec_b32 s2, s0
	s_cbranch_execz .LBB157_9
; %bb.8:                                ;   in Loop: Header=BB157_4 Depth=1
	s_ashr_i32 s21, s20, 31
	s_delay_alu instid0(SALU_CYCLE_1) | instskip(NEXT) | instid1(SALU_CYCLE_1)
	s_lshl_b64 s[8:9], s[20:21], 2
	s_add_u32 s8, s14, s8
	s_addc_u32 s9, s15, s9
	global_store_b32 v0, v24, s[8:9]
.LBB157_9:                              ;   in Loop: Header=BB157_4 Depth=1
	s_or_b32 exec_lo, exec_lo, s2
	s_and_saveexec_b32 s2, s1
	s_cbranch_execz .LBB157_2
; %bb.10:                               ;   in Loop: Header=BB157_4 Depth=1
	v_rcp_f32_e32 v24, v24
	s_mul_i32 s8, s20, s6
	s_mul_hi_i32 s9, s20, s6
	s_add_u32 s16, s12, s8
	s_addc_u32 s8, s13, s9
	s_mov_b32 s19, s11
	s_and_b32 s17, s8, 0xffff
	s_waitcnt_depctr 0xfff
	v_mul_f32_e32 v22, v22, v24
	v_mul_f32_e32 v23, v23, v24
	;; [unrolled: 1-line block ×4, first 2 shown]
	;;#ASMSTART
	v_med3_f32 v22, v22, v14, v15
v_med3_f32 v23, v23, v14, v15
v_cvt_pk_fp8_f32 v25, v22, v23
	;;#ASMEND
	;;#ASMSTART
	v_med3_f32 v20, v20, v14, v15
v_med3_f32 v21, v21, v14, v15
v_cvt_pk_fp8_f32 v22, v20, v21
	;;#ASMEND
	v_perm_b32 v20, v22, v25, 0x5040100
	v_and_b32_e32 v22, 0xffffff00, v22
	v_mul_f32_e32 v18, v18, v24
	v_mul_f32_e32 v16, v16, v24
	;; [unrolled: 1-line block ×3, first 2 shown]
	v_lshrrev_b32_e32 v21, 16, v20
	s_delay_alu instid0(VALU_DEP_1) | instskip(NEXT) | instid1(VALU_DEP_1)
	v_and_b32_e32 v21, 0xff, v21
	v_or_b32_e32 v21, v21, v22
	v_mul_f32_e32 v19, v19, v24
	;;#ASMSTART
	v_med3_f32 v19, v19, v14, v15
v_med3_f32 v18, v18, v14, v15
v_cvt_pk_fp8_f32 v22, v19, v18
	;;#ASMEND
	;;#ASMSTART
	v_med3_f32 v16, v16, v14, v15
v_med3_f32 v17, v17, v14, v15
v_cvt_pk_fp8_f32 v18, v16, v17
	;;#ASMEND
	v_lshlrev_b32_e32 v16, 16, v18
	v_lshlrev_b32_e32 v18, 16, v21
	s_delay_alu instid0(VALU_DEP_2) | instskip(NEXT) | instid1(VALU_DEP_2)
	v_and_or_b32 v17, 0xffff, v22, v16
	v_and_or_b32 v16, 0xffff, v20, v18
	buffer_store_b64 v[16:17], v10, s[16:19], 0 offen
	;;#ASMSTART
	s_nop 0
	;;#ASMEND
	s_branch .LBB157_2
.LBB157_11:
	s_nop 0
	s_sendmsg sendmsg(MSG_DEALLOC_VGPRS)
	s_endpgm
	.section	.rodata,"a",@progbits
	.p2align	6, 0x0
	.amdhsa_kernel _ZN5aiter43moe_smooth_per_token_scaled_quant_kernel_v1ItDB8_Li256ELi8ELb1ELb0ELi1024EEEvPT0_PfPT_S4_PiS7_iiiii
		.amdhsa_group_segment_fixed_size 32
		.amdhsa_private_segment_fixed_size 0
		.amdhsa_kernarg_size 68
		.amdhsa_user_sgpr_count 15
		.amdhsa_user_sgpr_dispatch_ptr 0
		.amdhsa_user_sgpr_queue_ptr 0
		.amdhsa_user_sgpr_kernarg_segment_ptr 1
		.amdhsa_user_sgpr_dispatch_id 0
		.amdhsa_user_sgpr_private_segment_size 0
		.amdhsa_wavefront_size32 1
		.amdhsa_uses_dynamic_stack 0
		.amdhsa_enable_private_segment 0
		.amdhsa_system_sgpr_workgroup_id_x 1
		.amdhsa_system_sgpr_workgroup_id_y 0
		.amdhsa_system_sgpr_workgroup_id_z 0
		.amdhsa_system_sgpr_workgroup_info 0
		.amdhsa_system_vgpr_workitem_id 0
		.amdhsa_next_free_vgpr 28
		.amdhsa_next_free_sgpr 24
		.amdhsa_reserve_vcc 1
		.amdhsa_float_round_mode_32 0
		.amdhsa_float_round_mode_16_64 0
		.amdhsa_float_denorm_mode_32 3
		.amdhsa_float_denorm_mode_16_64 3
		.amdhsa_dx10_clamp 1
		.amdhsa_ieee_mode 1
		.amdhsa_fp16_overflow 0
		.amdhsa_workgroup_processor_mode 1
		.amdhsa_memory_ordered 1
		.amdhsa_forward_progress 0
		.amdhsa_shared_vgpr_count 0
		.amdhsa_exception_fp_ieee_invalid_op 0
		.amdhsa_exception_fp_denorm_src 0
		.amdhsa_exception_fp_ieee_div_zero 0
		.amdhsa_exception_fp_ieee_overflow 0
		.amdhsa_exception_fp_ieee_underflow 0
		.amdhsa_exception_fp_ieee_inexact 0
		.amdhsa_exception_int_div_zero 0
	.end_amdhsa_kernel
	.section	.text._ZN5aiter43moe_smooth_per_token_scaled_quant_kernel_v1ItDB8_Li256ELi8ELb1ELb0ELi1024EEEvPT0_PfPT_S4_PiS7_iiiii,"axG",@progbits,_ZN5aiter43moe_smooth_per_token_scaled_quant_kernel_v1ItDB8_Li256ELi8ELb1ELb0ELi1024EEEvPT0_PfPT_S4_PiS7_iiiii,comdat
.Lfunc_end157:
	.size	_ZN5aiter43moe_smooth_per_token_scaled_quant_kernel_v1ItDB8_Li256ELi8ELb1ELb0ELi1024EEEvPT0_PfPT_S4_PiS7_iiiii, .Lfunc_end157-_ZN5aiter43moe_smooth_per_token_scaled_quant_kernel_v1ItDB8_Li256ELi8ELb1ELb0ELi1024EEEvPT0_PfPT_S4_PiS7_iiiii
                                        ; -- End function
	.section	.AMDGPU.csdata,"",@progbits
; Kernel info:
; codeLenInByte = 1360
; NumSgprs: 26
; NumVgprs: 28
; ScratchSize: 0
; MemoryBound: 0
; FloatMode: 240
; IeeeMode: 1
; LDSByteSize: 32 bytes/workgroup (compile time only)
; SGPRBlocks: 3
; VGPRBlocks: 3
; NumSGPRsForWavesPerEU: 26
; NumVGPRsForWavesPerEU: 28
; Occupancy: 16
; WaveLimiterHint : 0
; COMPUTE_PGM_RSRC2:SCRATCH_EN: 0
; COMPUTE_PGM_RSRC2:USER_SGPR: 15
; COMPUTE_PGM_RSRC2:TRAP_HANDLER: 0
; COMPUTE_PGM_RSRC2:TGID_X_EN: 1
; COMPUTE_PGM_RSRC2:TGID_Y_EN: 0
; COMPUTE_PGM_RSRC2:TGID_Z_EN: 0
; COMPUTE_PGM_RSRC2:TIDIG_COMP_CNT: 0
	.section	.text._ZN5aiter43moe_smooth_per_token_scaled_quant_kernel_v1IDF16_DB8_Li256ELi8ELb0ELb1ELi1024EEEvPT0_PfPT_S4_PiS7_iiiii,"axG",@progbits,_ZN5aiter43moe_smooth_per_token_scaled_quant_kernel_v1IDF16_DB8_Li256ELi8ELb0ELb1ELi1024EEEvPT0_PfPT_S4_PiS7_iiiii,comdat
	.protected	_ZN5aiter43moe_smooth_per_token_scaled_quant_kernel_v1IDF16_DB8_Li256ELi8ELb0ELb1ELi1024EEEvPT0_PfPT_S4_PiS7_iiiii ; -- Begin function _ZN5aiter43moe_smooth_per_token_scaled_quant_kernel_v1IDF16_DB8_Li256ELi8ELb0ELb1ELi1024EEEvPT0_PfPT_S4_PiS7_iiiii
	.globl	_ZN5aiter43moe_smooth_per_token_scaled_quant_kernel_v1IDF16_DB8_Li256ELi8ELb0ELb1ELi1024EEEvPT0_PfPT_S4_PiS7_iiiii
	.p2align	8
	.type	_ZN5aiter43moe_smooth_per_token_scaled_quant_kernel_v1IDF16_DB8_Li256ELi8ELb0ELb1ELi1024EEEvPT0_PfPT_S4_PiS7_iiiii,@function
_ZN5aiter43moe_smooth_per_token_scaled_quant_kernel_v1IDF16_DB8_Li256ELi8ELb0ELb1ELi1024EEEvPT0_PfPT_S4_PiS7_iiiii: ; @_ZN5aiter43moe_smooth_per_token_scaled_quant_kernel_v1IDF16_DB8_Li256ELi8ELb0ELb1ELi1024EEEvPT0_PfPT_S4_PiS7_iiiii
; %bb.0:
	s_clause 0x2
	s_load_b128 s[4:7], s[0:1], 0x34
	s_load_b128 s[8:11], s[0:1], 0x20
	s_load_b64 s[2:3], s[0:1], 0x10
	v_and_b32_e32 v12, 31, v0
	v_lshlrev_b32_e32 v6, 2, v0
	s_mov_b32 s19, -1
	s_delay_alu instid0(VALU_DEP_2)
	v_lshlrev_b32_e32 v1, 2, v12
	s_waitcnt lgkmcnt(0)
	s_mul_i32 s20, s15, s4
	s_lshl_b32 s18, s7, 2
	s_ashr_i32 s21, s20, 31
	s_and_b32 s17, s11, 0xffff
	s_mov_b32 s16, s10
	s_lshl_b64 s[10:11], s[20:21], 2
	s_clause 0x3
	buffer_load_b32 v7, v6, s[16:19], 0 offen
	buffer_load_b32 v8, v6, s[16:19], 0 offen offset:1024
	buffer_load_b32 v9, v6, s[16:19], 0 offen offset:2048
	;; [unrolled: 1-line block ×3, first 2 shown]
	s_add_u32 s16, s8, s10
	s_addc_u32 s8, s9, s11
	s_lshl_b32 s18, s4, 2
	s_and_b32 s17, s8, 0xffff
	s_mul_hi_i32 s9, s6, s15
	s_mul_i32 s8, s6, s15
	buffer_load_b32 v5, v1, s[16:19], 0 offen
	s_lshl_b64 s[8:9], s[8:9], 1
	v_lshlrev_b32_e32 v1, 4, v0
	s_add_u32 s16, s2, s8
	s_addc_u32 s2, s3, s9
	s_lshl_b32 s18, s5, 1
	s_and_b32 s17, s2, 0xffff
	v_cmp_gt_i32_e32 vcc_lo, s4, v12
	buffer_load_b128 v[1:4], v1, s[16:19], 0 offen
	s_waitcnt vmcnt(4)
	ds_store_2addr_stride64_b32 v6, v7, v8 offset1:4
	s_waitcnt vmcnt(2)
	ds_store_2addr_stride64_b32 v6, v9, v10 offset0:8 offset1:12
	s_waitcnt vmcnt(0) expcnt(1) lgkmcnt(0)
	s_barrier
	buffer_gl0_inv
	v_cmp_gt_i32_e64 s2, s7, v5
	v_cmp_lt_i32_e64 s3, -1, v5
	s_delay_alu instid0(VALU_DEP_2)
	s_and_b32 s2, vcc_lo, s2
	s_delay_alu instid0(VALU_DEP_1) | instid1(SALU_CYCLE_1)
	s_and_b32 s3, s2, s3
	s_delay_alu instid0(SALU_CYCLE_1)
	s_and_saveexec_b32 s2, s3
	s_cbranch_execz .LBB158_2
; %bb.1:
	v_lshlrev_b32_e32 v5, 2, v5
	ds_load_b32 v5, v5
.LBB158_2:
	s_or_b32 exec_lo, exec_lo, s2
	s_cmp_lt_i32 s4, 1
	s_cbranch_scc1 .LBB158_13
; %bb.3:
	s_clause 0x1
	s_load_b128 s[8:11], s[0:1], 0x0
	s_load_b64 s[6:7], s[0:1], 0x18
	s_add_i32 s1, s5, 7
	v_lshrrev_b32_e32 v6, 16, v1
	s_ashr_i32 s2, s1, 31
	v_lshrrev_b32_e32 v7, 16, v2
	s_lshr_b32 s2, s2, 29
	v_lshrrev_b32_e32 v8, 16, v3
	v_lshrrev_b32_e32 v9, 16, v4
	;; [unrolled: 1-line block ×3, first 2 shown]
	v_and_b32_e32 v14, 7, v0
	s_add_i32 s3, s5, 3
	s_add_i32 s1, s1, s2
	s_ashr_i32 s2, s3, 31
	s_movk_i32 s0, 0x7c
	s_ashr_i32 s1, s1, 3
	s_lshr_b32 s2, s2, 30
	v_cvt_f32_f16_e32 v1, v1
	v_cvt_f32_f16_e32 v6, v6
	;; [unrolled: 1-line block ×8, first 2 shown]
	v_dual_mov_b32 v15, 0x43e00000 :: v_dual_lshlrev_b32 v10, 3, v0
	v_lshlrev_b32_e32 v11, 5, v0
	v_cmp_eq_u32_e32 vcc_lo, 31, v12
	v_and_or_b32 v12, v13, s0, 0x1000
	v_lshl_or_b32 v13, v14, 2, 0x1000
	v_cmp_eq_u32_e64 s0, 0, v0
	v_cmp_gt_u32_e64 s1, s1, v0
	v_mov_b32_e32 v0, 0
	v_mov_b32_e32 v14, 0xc3e00000
	s_add_i32 s3, s3, s2
	s_mov_b32 s21, s5
	s_lshl_b32 s14, s5, 2
	s_mov_b32 s22, 0
	s_and_b32 s18, s3, -4
	s_mov_b32 s15, -1
	s_mov_b32 s5, 0x76543210
	s_branch .LBB158_6
.LBB158_4:                              ;   in Loop: Header=BB158_6 Depth=1
	s_or_b32 exec_lo, exec_lo, s3
.LBB158_5:                              ;   in Loop: Header=BB158_6 Depth=1
	s_add_i32 s22, s22, 1
	s_delay_alu instid0(SALU_CYCLE_1)
	s_cmp_eq_u32 s4, s22
	s_cbranch_scc1 .LBB158_13
.LBB158_6:                              ; =>This Inner Loop Header: Depth=1
	s_waitcnt lgkmcnt(0)
	v_readlane_b32 s2, v5, s22
	s_delay_alu instid0(VALU_DEP_1)
	s_cmp_lt_i32 s2, 0
	s_cbranch_scc1 .LBB158_5
; %bb.7:                                ;   in Loop: Header=BB158_6 Depth=1
	s_mul_i32 s2, s2, s21
	s_delay_alu instid0(SALU_CYCLE_1) | instskip(NEXT) | instid1(SALU_CYCLE_1)
	s_ashr_i32 s3, s2, 31
	s_lshl_b64 s[2:3], s[2:3], 2
	s_delay_alu instid0(SALU_CYCLE_1) | instskip(SKIP_1) | instid1(SALU_CYCLE_1)
	s_add_u32 s12, s6, s2
	s_addc_u32 s2, s7, s3
	s_and_b32 s13, s2, 0xffff
	s_clause 0x1
	buffer_load_b128 v[16:19], v11, s[12:15], 0 offen
	buffer_load_b128 v[24:27], v11, s[12:15], 16 offen
	s_waitcnt vmcnt(1)
	v_dual_mul_f32 v22, v16, v1 :: v_dual_mul_f32 v23, v17, v6
	v_dual_mul_f32 v20, v18, v2 :: v_dual_mul_f32 v21, v19, v7
	s_waitcnt vmcnt(0)
	v_dual_mul_f32 v19, v24, v3 :: v_dual_mul_f32 v18, v25, v8
	s_delay_alu instid0(VALU_DEP_3) | instskip(SKIP_1) | instid1(VALU_DEP_2)
	v_max3_f32 v16, |v22|, 0x2edbe6ff, |v23|
	v_mul_f32_e32 v17, v27, v9
	v_max3_f32 v24, v16, |v20|, |v21|
	v_mul_f32_e32 v16, v26, v4
	s_delay_alu instid0(VALU_DEP_2) | instskip(NEXT) | instid1(VALU_DEP_1)
	v_max3_f32 v24, v24, |v19|, |v18|
	v_max3_f32 v24, v24, |v16|, |v17|
	s_delay_alu instid0(VALU_DEP_1) | instskip(NEXT) | instid1(VALU_DEP_1)
	v_mov_b32_dpp v25, v24 quad_perm:[1,0,3,2] row_mask:0xf bank_mask:0xf
	v_cmp_gt_f32_e64 s2, v24, v25
	s_delay_alu instid0(VALU_DEP_1) | instskip(NEXT) | instid1(VALU_DEP_1)
	v_cndmask_b32_e64 v24, v25, v24, s2
	v_mov_b32_dpp v25, v24 quad_perm:[2,3,0,1] row_mask:0xf bank_mask:0xf
	s_delay_alu instid0(VALU_DEP_1) | instskip(NEXT) | instid1(VALU_DEP_1)
	v_cmp_gt_f32_e64 s2, v24, v25
	v_cndmask_b32_e64 v24, v25, v24, s2
	s_delay_alu instid0(VALU_DEP_1) | instskip(NEXT) | instid1(VALU_DEP_1)
	v_mov_b32_dpp v25, v24 row_xmask:7 row_mask:0xf bank_mask:0xf
	v_cmp_gt_f32_e64 s2, v24, v25
	s_delay_alu instid0(VALU_DEP_1) | instskip(NEXT) | instid1(VALU_DEP_1)
	v_cndmask_b32_e64 v24, v25, v24, s2
	v_mov_b32_dpp v25, v24 row_xmask:15 row_mask:0xf bank_mask:0xf
	s_delay_alu instid0(VALU_DEP_1)
	v_cmp_gt_f32_e64 s2, v24, v25
	s_and_saveexec_b32 s3, vcc_lo
	s_cbranch_execz .LBB158_9
; %bb.8:                                ;   in Loop: Header=BB158_6 Depth=1
	s_delay_alu instid0(VALU_DEP_1) | instskip(NEXT) | instid1(VALU_DEP_1)
	v_cndmask_b32_e64 v24, v25, v24, s2
	v_permlanex16_b32 v25, v24, s5, 0xfedcba98 op_sel:[1,1]
	s_delay_alu instid0(VALU_DEP_1) | instskip(NEXT) | instid1(VALU_DEP_1)
	v_cmp_gt_f32_e64 s2, v24, v25
	v_cndmask_b32_e64 v24, v25, v24, s2
	ds_store_b32 v12, v24
.LBB158_9:                              ;   in Loop: Header=BB158_6 Depth=1
	s_or_b32 exec_lo, exec_lo, s3
	s_waitcnt lgkmcnt(0)
	s_waitcnt_vscnt null, 0x0
	s_barrier
	buffer_gl0_inv
	ds_load_b32 v24, v13
	s_waitcnt lgkmcnt(0)
	v_mov_b32_dpp v25, v24 quad_perm:[1,0,3,2] row_mask:0xf bank_mask:0xf
	s_delay_alu instid0(VALU_DEP_1) | instskip(NEXT) | instid1(VALU_DEP_1)
	v_cmp_gt_f32_e64 s2, v24, v25
	v_cndmask_b32_e64 v24, v25, v24, s2
	s_delay_alu instid0(VALU_DEP_1) | instskip(NEXT) | instid1(VALU_DEP_1)
	v_mov_b32_dpp v25, v24 quad_perm:[2,3,0,1] row_mask:0xf bank_mask:0xf
	v_cmp_gt_f32_e64 s2, v24, v25
	s_delay_alu instid0(VALU_DEP_1) | instskip(NEXT) | instid1(VALU_DEP_1)
	v_cndmask_b32_e64 v24, v25, v24, s2
	v_mov_b32_dpp v25, v24 row_xmask:7 row_mask:0xf bank_mask:0xf
	s_delay_alu instid0(VALU_DEP_1) | instskip(NEXT) | instid1(VALU_DEP_1)
	v_cmp_gt_f32_e64 s2, v24, v25
	v_cndmask_b32_e64 v24, v25, v24, s2
	s_add_i32 s2, s20, s22
	s_delay_alu instid0(VALU_DEP_1)
	v_mul_f32_e32 v24, 0x3b124925, v24
	s_and_saveexec_b32 s12, s0
	s_cbranch_execz .LBB158_11
; %bb.10:                               ;   in Loop: Header=BB158_6 Depth=1
	s_ashr_i32 s3, s2, 31
	s_delay_alu instid0(SALU_CYCLE_1) | instskip(NEXT) | instid1(SALU_CYCLE_1)
	s_lshl_b64 s[16:17], s[2:3], 2
	s_add_u32 s16, s10, s16
	s_addc_u32 s17, s11, s17
	global_store_b32 v0, v24, s[16:17]
.LBB158_11:                             ;   in Loop: Header=BB158_6 Depth=1
	s_or_b32 exec_lo, exec_lo, s12
	s_and_saveexec_b32 s3, s1
	s_cbranch_execz .LBB158_4
; %bb.12:                               ;   in Loop: Header=BB158_6 Depth=1
	v_rcp_f32_e32 v24, v24
	s_mul_i32 s12, s2, s21
	s_mul_hi_i32 s2, s2, s21
	s_add_u32 s16, s8, s12
	s_addc_u32 s2, s9, s2
	s_mov_b32 s19, s15
	s_and_b32 s17, s2, 0xffff
	s_waitcnt_depctr 0xfff
	v_mul_f32_e32 v22, v22, v24
	v_mul_f32_e32 v23, v23, v24
	;; [unrolled: 1-line block ×4, first 2 shown]
	;;#ASMSTART
	v_med3_f32 v22, v22, v14, v15
v_med3_f32 v23, v23, v14, v15
v_cvt_pk_fp8_f32 v25, v22, v23
	;;#ASMEND
	;;#ASMSTART
	v_med3_f32 v20, v20, v14, v15
v_med3_f32 v21, v21, v14, v15
v_cvt_pk_fp8_f32 v22, v20, v21
	;;#ASMEND
	v_perm_b32 v20, v22, v25, 0x5040100
	v_and_b32_e32 v22, 0xffffff00, v22
	v_mul_f32_e32 v18, v18, v24
	v_mul_f32_e32 v16, v16, v24
	;; [unrolled: 1-line block ×3, first 2 shown]
	v_lshrrev_b32_e32 v21, 16, v20
	s_delay_alu instid0(VALU_DEP_1) | instskip(NEXT) | instid1(VALU_DEP_1)
	v_and_b32_e32 v21, 0xff, v21
	v_or_b32_e32 v21, v21, v22
	v_mul_f32_e32 v19, v19, v24
	;;#ASMSTART
	v_med3_f32 v19, v19, v14, v15
v_med3_f32 v18, v18, v14, v15
v_cvt_pk_fp8_f32 v22, v19, v18
	;;#ASMEND
	;;#ASMSTART
	v_med3_f32 v16, v16, v14, v15
v_med3_f32 v17, v17, v14, v15
v_cvt_pk_fp8_f32 v18, v16, v17
	;;#ASMEND
	v_lshlrev_b32_e32 v16, 16, v18
	v_lshlrev_b32_e32 v18, 16, v21
	s_delay_alu instid0(VALU_DEP_2) | instskip(NEXT) | instid1(VALU_DEP_2)
	v_and_or_b32 v17, 0xffff, v22, v16
	v_and_or_b32 v16, 0xffff, v20, v18
	buffer_store_b64 v[16:17], v10, s[16:19], 0 offen
	;;#ASMSTART
	s_nop 0
	;;#ASMEND
	s_branch .LBB158_4
.LBB158_13:
	s_nop 0
	s_sendmsg sendmsg(MSG_DEALLOC_VGPRS)
	s_endpgm
	.section	.rodata,"a",@progbits
	.p2align	6, 0x0
	.amdhsa_kernel _ZN5aiter43moe_smooth_per_token_scaled_quant_kernel_v1IDF16_DB8_Li256ELi8ELb0ELb1ELi1024EEEvPT0_PfPT_S4_PiS7_iiiii
		.amdhsa_group_segment_fixed_size 4128
		.amdhsa_private_segment_fixed_size 0
		.amdhsa_kernarg_size 68
		.amdhsa_user_sgpr_count 15
		.amdhsa_user_sgpr_dispatch_ptr 0
		.amdhsa_user_sgpr_queue_ptr 0
		.amdhsa_user_sgpr_kernarg_segment_ptr 1
		.amdhsa_user_sgpr_dispatch_id 0
		.amdhsa_user_sgpr_private_segment_size 0
		.amdhsa_wavefront_size32 1
		.amdhsa_uses_dynamic_stack 0
		.amdhsa_enable_private_segment 0
		.amdhsa_system_sgpr_workgroup_id_x 1
		.amdhsa_system_sgpr_workgroup_id_y 0
		.amdhsa_system_sgpr_workgroup_id_z 0
		.amdhsa_system_sgpr_workgroup_info 0
		.amdhsa_system_vgpr_workitem_id 0
		.amdhsa_next_free_vgpr 28
		.amdhsa_next_free_sgpr 23
		.amdhsa_reserve_vcc 1
		.amdhsa_float_round_mode_32 0
		.amdhsa_float_round_mode_16_64 0
		.amdhsa_float_denorm_mode_32 3
		.amdhsa_float_denorm_mode_16_64 3
		.amdhsa_dx10_clamp 1
		.amdhsa_ieee_mode 1
		.amdhsa_fp16_overflow 0
		.amdhsa_workgroup_processor_mode 1
		.amdhsa_memory_ordered 1
		.amdhsa_forward_progress 0
		.amdhsa_shared_vgpr_count 0
		.amdhsa_exception_fp_ieee_invalid_op 0
		.amdhsa_exception_fp_denorm_src 0
		.amdhsa_exception_fp_ieee_div_zero 0
		.amdhsa_exception_fp_ieee_overflow 0
		.amdhsa_exception_fp_ieee_underflow 0
		.amdhsa_exception_fp_ieee_inexact 0
		.amdhsa_exception_int_div_zero 0
	.end_amdhsa_kernel
	.section	.text._ZN5aiter43moe_smooth_per_token_scaled_quant_kernel_v1IDF16_DB8_Li256ELi8ELb0ELb1ELi1024EEEvPT0_PfPT_S4_PiS7_iiiii,"axG",@progbits,_ZN5aiter43moe_smooth_per_token_scaled_quant_kernel_v1IDF16_DB8_Li256ELi8ELb0ELb1ELi1024EEEvPT0_PfPT_S4_PiS7_iiiii,comdat
.Lfunc_end158:
	.size	_ZN5aiter43moe_smooth_per_token_scaled_quant_kernel_v1IDF16_DB8_Li256ELi8ELb0ELb1ELi1024EEEvPT0_PfPT_S4_PiS7_iiiii, .Lfunc_end158-_ZN5aiter43moe_smooth_per_token_scaled_quant_kernel_v1IDF16_DB8_Li256ELi8ELb0ELb1ELi1024EEEvPT0_PfPT_S4_PiS7_iiiii
                                        ; -- End function
	.section	.AMDGPU.csdata,"",@progbits
; Kernel info:
; codeLenInByte = 1492
; NumSgprs: 25
; NumVgprs: 28
; ScratchSize: 0
; MemoryBound: 0
; FloatMode: 240
; IeeeMode: 1
; LDSByteSize: 4128 bytes/workgroup (compile time only)
; SGPRBlocks: 3
; VGPRBlocks: 3
; NumSGPRsForWavesPerEU: 25
; NumVGPRsForWavesPerEU: 28
; Occupancy: 16
; WaveLimiterHint : 0
; COMPUTE_PGM_RSRC2:SCRATCH_EN: 0
; COMPUTE_PGM_RSRC2:USER_SGPR: 15
; COMPUTE_PGM_RSRC2:TRAP_HANDLER: 0
; COMPUTE_PGM_RSRC2:TGID_X_EN: 1
; COMPUTE_PGM_RSRC2:TGID_Y_EN: 0
; COMPUTE_PGM_RSRC2:TGID_Z_EN: 0
; COMPUTE_PGM_RSRC2:TIDIG_COMP_CNT: 0
	.section	.text._ZN5aiter43moe_smooth_per_token_scaled_quant_kernel_v1ItDB8_Li256ELi8ELb0ELb1ELi1024EEEvPT0_PfPT_S4_PiS7_iiiii,"axG",@progbits,_ZN5aiter43moe_smooth_per_token_scaled_quant_kernel_v1ItDB8_Li256ELi8ELb0ELb1ELi1024EEEvPT0_PfPT_S4_PiS7_iiiii,comdat
	.protected	_ZN5aiter43moe_smooth_per_token_scaled_quant_kernel_v1ItDB8_Li256ELi8ELb0ELb1ELi1024EEEvPT0_PfPT_S4_PiS7_iiiii ; -- Begin function _ZN5aiter43moe_smooth_per_token_scaled_quant_kernel_v1ItDB8_Li256ELi8ELb0ELb1ELi1024EEEvPT0_PfPT_S4_PiS7_iiiii
	.globl	_ZN5aiter43moe_smooth_per_token_scaled_quant_kernel_v1ItDB8_Li256ELi8ELb0ELb1ELi1024EEEvPT0_PfPT_S4_PiS7_iiiii
	.p2align	8
	.type	_ZN5aiter43moe_smooth_per_token_scaled_quant_kernel_v1ItDB8_Li256ELi8ELb0ELb1ELi1024EEEvPT0_PfPT_S4_PiS7_iiiii,@function
_ZN5aiter43moe_smooth_per_token_scaled_quant_kernel_v1ItDB8_Li256ELi8ELb0ELb1ELi1024EEEvPT0_PfPT_S4_PiS7_iiiii: ; @_ZN5aiter43moe_smooth_per_token_scaled_quant_kernel_v1ItDB8_Li256ELi8ELb0ELb1ELi1024EEEvPT0_PfPT_S4_PiS7_iiiii
; %bb.0:
	s_clause 0x2
	s_load_b128 s[4:7], s[0:1], 0x34
	s_load_b128 s[8:11], s[0:1], 0x20
	s_load_b64 s[2:3], s[0:1], 0x10
	v_and_b32_e32 v12, 31, v0
	v_lshlrev_b32_e32 v6, 2, v0
	s_mov_b32 s19, -1
	s_delay_alu instid0(VALU_DEP_2)
	v_lshlrev_b32_e32 v1, 2, v12
	s_waitcnt lgkmcnt(0)
	s_mul_i32 s20, s15, s4
	s_lshl_b32 s18, s7, 2
	s_ashr_i32 s21, s20, 31
	s_and_b32 s17, s11, 0xffff
	s_mov_b32 s16, s10
	s_lshl_b64 s[10:11], s[20:21], 2
	s_clause 0x3
	buffer_load_b32 v7, v6, s[16:19], 0 offen
	buffer_load_b32 v8, v6, s[16:19], 0 offen offset:1024
	buffer_load_b32 v9, v6, s[16:19], 0 offen offset:2048
	;; [unrolled: 1-line block ×3, first 2 shown]
	s_add_u32 s16, s8, s10
	s_addc_u32 s8, s9, s11
	s_lshl_b32 s18, s4, 2
	s_and_b32 s17, s8, 0xffff
	s_mul_hi_i32 s9, s6, s15
	s_mul_i32 s8, s6, s15
	buffer_load_b32 v5, v1, s[16:19], 0 offen
	s_lshl_b64 s[8:9], s[8:9], 1
	v_lshlrev_b32_e32 v1, 4, v0
	s_add_u32 s16, s2, s8
	s_addc_u32 s2, s3, s9
	s_lshl_b32 s18, s5, 1
	s_and_b32 s17, s2, 0xffff
	v_cmp_gt_i32_e32 vcc_lo, s4, v12
	buffer_load_b128 v[1:4], v1, s[16:19], 0 offen
	s_waitcnt vmcnt(4)
	ds_store_2addr_stride64_b32 v6, v7, v8 offset1:4
	s_waitcnt vmcnt(2)
	ds_store_2addr_stride64_b32 v6, v9, v10 offset0:8 offset1:12
	s_waitcnt vmcnt(0) expcnt(1) lgkmcnt(0)
	s_barrier
	buffer_gl0_inv
	v_cmp_gt_i32_e64 s2, s7, v5
	v_cmp_lt_i32_e64 s3, -1, v5
	s_delay_alu instid0(VALU_DEP_2)
	s_and_b32 s2, vcc_lo, s2
	s_delay_alu instid0(VALU_DEP_1) | instid1(SALU_CYCLE_1)
	s_and_b32 s3, s2, s3
	s_delay_alu instid0(SALU_CYCLE_1)
	s_and_saveexec_b32 s2, s3
	s_cbranch_execz .LBB159_2
; %bb.1:
	v_lshlrev_b32_e32 v5, 2, v5
	ds_load_b32 v5, v5
.LBB159_2:
	s_or_b32 exec_lo, exec_lo, s2
	s_cmp_lt_i32 s4, 1
	s_cbranch_scc1 .LBB159_13
; %bb.3:
	s_clause 0x1
	s_load_b128 s[8:11], s[0:1], 0x0
	s_load_b64 s[6:7], s[0:1], 0x18
	v_and_b32_e32 v6, 0xffff, v1
	v_lshrrev_b32_e32 v7, 16, v1
	v_and_b32_e32 v8, 0xffff, v2
	s_add_i32 s1, s5, 7
	v_lshrrev_b32_e32 v2, 16, v2
	s_ashr_i32 s2, s1, 31
	v_cvt_f32_u32_e32 v1, v6
	s_lshr_b32 s2, s2, 29
	v_cvt_f32_u32_e32 v6, v7
	v_cvt_f32_u32_e32 v7, v8
	v_and_b32_e32 v8, 0xffff, v3
	v_lshrrev_b32_e32 v9, 16, v3
	v_and_b32_e32 v10, 0xffff, v4
	v_lshrrev_b32_e32 v11, 16, v4
	v_lshrrev_b32_e32 v13, 3, v0
	v_and_b32_e32 v14, 7, v0
	s_add_i32 s3, s5, 3
	s_add_i32 s1, s1, s2
	s_ashr_i32 s2, s3, 31
	s_movk_i32 s0, 0x7c
	s_ashr_i32 s1, s1, 3
	s_lshr_b32 s2, s2, 30
	v_cvt_f32_u32_e32 v2, v2
	v_cvt_f32_u32_e32 v3, v8
	;; [unrolled: 1-line block ×5, first 2 shown]
	v_dual_mov_b32 v15, 0x43e00000 :: v_dual_lshlrev_b32 v10, 3, v0
	v_lshlrev_b32_e32 v11, 5, v0
	v_cmp_eq_u32_e32 vcc_lo, 31, v12
	v_and_or_b32 v12, v13, s0, 0x1000
	v_lshl_or_b32 v13, v14, 2, 0x1000
	v_cmp_eq_u32_e64 s0, 0, v0
	v_cmp_gt_u32_e64 s1, s1, v0
	v_mov_b32_e32 v0, 0
	v_mov_b32_e32 v14, 0xc3e00000
	s_add_i32 s3, s3, s2
	s_mov_b32 s21, s5
	s_lshl_b32 s14, s5, 2
	s_mov_b32 s22, 0
	s_and_b32 s18, s3, -4
	s_mov_b32 s15, -1
	s_mov_b32 s5, 0x76543210
	s_branch .LBB159_6
.LBB159_4:                              ;   in Loop: Header=BB159_6 Depth=1
	s_or_b32 exec_lo, exec_lo, s3
.LBB159_5:                              ;   in Loop: Header=BB159_6 Depth=1
	s_add_i32 s22, s22, 1
	s_delay_alu instid0(SALU_CYCLE_1)
	s_cmp_eq_u32 s4, s22
	s_cbranch_scc1 .LBB159_13
.LBB159_6:                              ; =>This Inner Loop Header: Depth=1
	s_waitcnt lgkmcnt(0)
	v_readlane_b32 s2, v5, s22
	s_delay_alu instid0(VALU_DEP_1)
	s_cmp_lt_i32 s2, 0
	s_cbranch_scc1 .LBB159_5
; %bb.7:                                ;   in Loop: Header=BB159_6 Depth=1
	s_mul_i32 s2, s2, s21
	s_delay_alu instid0(SALU_CYCLE_1) | instskip(NEXT) | instid1(SALU_CYCLE_1)
	s_ashr_i32 s3, s2, 31
	s_lshl_b64 s[2:3], s[2:3], 2
	s_delay_alu instid0(SALU_CYCLE_1) | instskip(SKIP_1) | instid1(SALU_CYCLE_1)
	s_add_u32 s12, s6, s2
	s_addc_u32 s2, s7, s3
	s_and_b32 s13, s2, 0xffff
	s_clause 0x1
	buffer_load_b128 v[16:19], v11, s[12:15], 0 offen
	buffer_load_b128 v[24:27], v11, s[12:15], 16 offen
	s_waitcnt vmcnt(1)
	v_dual_mul_f32 v22, v16, v1 :: v_dual_mul_f32 v23, v17, v6
	v_dual_mul_f32 v20, v18, v7 :: v_dual_mul_f32 v21, v19, v2
	s_waitcnt vmcnt(0)
	v_dual_mul_f32 v19, v24, v3 :: v_dual_mul_f32 v18, v25, v4
	s_delay_alu instid0(VALU_DEP_3) | instskip(SKIP_1) | instid1(VALU_DEP_2)
	v_max3_f32 v16, |v22|, 0x2edbe6ff, |v23|
	v_mul_f32_e32 v17, v27, v9
	v_max3_f32 v24, v16, |v20|, |v21|
	v_mul_f32_e32 v16, v26, v8
	s_delay_alu instid0(VALU_DEP_2) | instskip(NEXT) | instid1(VALU_DEP_1)
	v_max3_f32 v24, v24, |v19|, |v18|
	v_max3_f32 v24, v24, |v16|, |v17|
	s_delay_alu instid0(VALU_DEP_1) | instskip(NEXT) | instid1(VALU_DEP_1)
	v_mov_b32_dpp v25, v24 quad_perm:[1,0,3,2] row_mask:0xf bank_mask:0xf
	v_cmp_gt_f32_e64 s2, v24, v25
	s_delay_alu instid0(VALU_DEP_1) | instskip(NEXT) | instid1(VALU_DEP_1)
	v_cndmask_b32_e64 v24, v25, v24, s2
	v_mov_b32_dpp v25, v24 quad_perm:[2,3,0,1] row_mask:0xf bank_mask:0xf
	s_delay_alu instid0(VALU_DEP_1) | instskip(NEXT) | instid1(VALU_DEP_1)
	v_cmp_gt_f32_e64 s2, v24, v25
	v_cndmask_b32_e64 v24, v25, v24, s2
	s_delay_alu instid0(VALU_DEP_1) | instskip(NEXT) | instid1(VALU_DEP_1)
	v_mov_b32_dpp v25, v24 row_xmask:7 row_mask:0xf bank_mask:0xf
	v_cmp_gt_f32_e64 s2, v24, v25
	s_delay_alu instid0(VALU_DEP_1) | instskip(NEXT) | instid1(VALU_DEP_1)
	v_cndmask_b32_e64 v24, v25, v24, s2
	v_mov_b32_dpp v25, v24 row_xmask:15 row_mask:0xf bank_mask:0xf
	s_delay_alu instid0(VALU_DEP_1)
	v_cmp_gt_f32_e64 s2, v24, v25
	s_and_saveexec_b32 s3, vcc_lo
	s_cbranch_execz .LBB159_9
; %bb.8:                                ;   in Loop: Header=BB159_6 Depth=1
	s_delay_alu instid0(VALU_DEP_1) | instskip(NEXT) | instid1(VALU_DEP_1)
	v_cndmask_b32_e64 v24, v25, v24, s2
	v_permlanex16_b32 v25, v24, s5, 0xfedcba98 op_sel:[1,1]
	s_delay_alu instid0(VALU_DEP_1) | instskip(NEXT) | instid1(VALU_DEP_1)
	v_cmp_gt_f32_e64 s2, v24, v25
	v_cndmask_b32_e64 v24, v25, v24, s2
	ds_store_b32 v12, v24
.LBB159_9:                              ;   in Loop: Header=BB159_6 Depth=1
	s_or_b32 exec_lo, exec_lo, s3
	s_waitcnt lgkmcnt(0)
	s_waitcnt_vscnt null, 0x0
	s_barrier
	buffer_gl0_inv
	ds_load_b32 v24, v13
	s_waitcnt lgkmcnt(0)
	v_mov_b32_dpp v25, v24 quad_perm:[1,0,3,2] row_mask:0xf bank_mask:0xf
	s_delay_alu instid0(VALU_DEP_1) | instskip(NEXT) | instid1(VALU_DEP_1)
	v_cmp_gt_f32_e64 s2, v24, v25
	v_cndmask_b32_e64 v24, v25, v24, s2
	s_delay_alu instid0(VALU_DEP_1) | instskip(NEXT) | instid1(VALU_DEP_1)
	v_mov_b32_dpp v25, v24 quad_perm:[2,3,0,1] row_mask:0xf bank_mask:0xf
	v_cmp_gt_f32_e64 s2, v24, v25
	s_delay_alu instid0(VALU_DEP_1) | instskip(NEXT) | instid1(VALU_DEP_1)
	v_cndmask_b32_e64 v24, v25, v24, s2
	v_mov_b32_dpp v25, v24 row_xmask:7 row_mask:0xf bank_mask:0xf
	s_delay_alu instid0(VALU_DEP_1) | instskip(NEXT) | instid1(VALU_DEP_1)
	v_cmp_gt_f32_e64 s2, v24, v25
	v_cndmask_b32_e64 v24, v25, v24, s2
	s_add_i32 s2, s20, s22
	s_delay_alu instid0(VALU_DEP_1)
	v_mul_f32_e32 v24, 0x3b124925, v24
	s_and_saveexec_b32 s12, s0
	s_cbranch_execz .LBB159_11
; %bb.10:                               ;   in Loop: Header=BB159_6 Depth=1
	s_ashr_i32 s3, s2, 31
	s_delay_alu instid0(SALU_CYCLE_1) | instskip(NEXT) | instid1(SALU_CYCLE_1)
	s_lshl_b64 s[16:17], s[2:3], 2
	s_add_u32 s16, s10, s16
	s_addc_u32 s17, s11, s17
	global_store_b32 v0, v24, s[16:17]
.LBB159_11:                             ;   in Loop: Header=BB159_6 Depth=1
	s_or_b32 exec_lo, exec_lo, s12
	s_and_saveexec_b32 s3, s1
	s_cbranch_execz .LBB159_4
; %bb.12:                               ;   in Loop: Header=BB159_6 Depth=1
	v_rcp_f32_e32 v24, v24
	s_mul_i32 s12, s2, s21
	s_mul_hi_i32 s2, s2, s21
	s_add_u32 s16, s8, s12
	s_addc_u32 s2, s9, s2
	s_mov_b32 s19, s15
	s_and_b32 s17, s2, 0xffff
	s_waitcnt_depctr 0xfff
	v_mul_f32_e32 v22, v22, v24
	v_mul_f32_e32 v23, v23, v24
	;; [unrolled: 1-line block ×4, first 2 shown]
	;;#ASMSTART
	v_med3_f32 v22, v22, v14, v15
v_med3_f32 v23, v23, v14, v15
v_cvt_pk_fp8_f32 v25, v22, v23
	;;#ASMEND
	;;#ASMSTART
	v_med3_f32 v20, v20, v14, v15
v_med3_f32 v21, v21, v14, v15
v_cvt_pk_fp8_f32 v22, v20, v21
	;;#ASMEND
	v_perm_b32 v20, v22, v25, 0x5040100
	v_and_b32_e32 v22, 0xffffff00, v22
	v_mul_f32_e32 v18, v18, v24
	v_mul_f32_e32 v16, v16, v24
	;; [unrolled: 1-line block ×3, first 2 shown]
	v_lshrrev_b32_e32 v21, 16, v20
	s_delay_alu instid0(VALU_DEP_1) | instskip(NEXT) | instid1(VALU_DEP_1)
	v_and_b32_e32 v21, 0xff, v21
	v_or_b32_e32 v21, v21, v22
	v_mul_f32_e32 v19, v19, v24
	;;#ASMSTART
	v_med3_f32 v19, v19, v14, v15
v_med3_f32 v18, v18, v14, v15
v_cvt_pk_fp8_f32 v22, v19, v18
	;;#ASMEND
	;;#ASMSTART
	v_med3_f32 v16, v16, v14, v15
v_med3_f32 v17, v17, v14, v15
v_cvt_pk_fp8_f32 v18, v16, v17
	;;#ASMEND
	v_lshlrev_b32_e32 v16, 16, v18
	v_lshlrev_b32_e32 v18, 16, v21
	s_delay_alu instid0(VALU_DEP_2) | instskip(NEXT) | instid1(VALU_DEP_2)
	v_and_or_b32 v17, 0xffff, v22, v16
	v_and_or_b32 v16, 0xffff, v20, v18
	buffer_store_b64 v[16:17], v10, s[16:19], 0 offen
	;;#ASMSTART
	s_nop 0
	;;#ASMEND
	s_branch .LBB159_4
.LBB159_13:
	s_nop 0
	s_sendmsg sendmsg(MSG_DEALLOC_VGPRS)
	s_endpgm
	.section	.rodata,"a",@progbits
	.p2align	6, 0x0
	.amdhsa_kernel _ZN5aiter43moe_smooth_per_token_scaled_quant_kernel_v1ItDB8_Li256ELi8ELb0ELb1ELi1024EEEvPT0_PfPT_S4_PiS7_iiiii
		.amdhsa_group_segment_fixed_size 4128
		.amdhsa_private_segment_fixed_size 0
		.amdhsa_kernarg_size 68
		.amdhsa_user_sgpr_count 15
		.amdhsa_user_sgpr_dispatch_ptr 0
		.amdhsa_user_sgpr_queue_ptr 0
		.amdhsa_user_sgpr_kernarg_segment_ptr 1
		.amdhsa_user_sgpr_dispatch_id 0
		.amdhsa_user_sgpr_private_segment_size 0
		.amdhsa_wavefront_size32 1
		.amdhsa_uses_dynamic_stack 0
		.amdhsa_enable_private_segment 0
		.amdhsa_system_sgpr_workgroup_id_x 1
		.amdhsa_system_sgpr_workgroup_id_y 0
		.amdhsa_system_sgpr_workgroup_id_z 0
		.amdhsa_system_sgpr_workgroup_info 0
		.amdhsa_system_vgpr_workitem_id 0
		.amdhsa_next_free_vgpr 28
		.amdhsa_next_free_sgpr 23
		.amdhsa_reserve_vcc 1
		.amdhsa_float_round_mode_32 0
		.amdhsa_float_round_mode_16_64 0
		.amdhsa_float_denorm_mode_32 3
		.amdhsa_float_denorm_mode_16_64 3
		.amdhsa_dx10_clamp 1
		.amdhsa_ieee_mode 1
		.amdhsa_fp16_overflow 0
		.amdhsa_workgroup_processor_mode 1
		.amdhsa_memory_ordered 1
		.amdhsa_forward_progress 0
		.amdhsa_shared_vgpr_count 0
		.amdhsa_exception_fp_ieee_invalid_op 0
		.amdhsa_exception_fp_denorm_src 0
		.amdhsa_exception_fp_ieee_div_zero 0
		.amdhsa_exception_fp_ieee_overflow 0
		.amdhsa_exception_fp_ieee_underflow 0
		.amdhsa_exception_fp_ieee_inexact 0
		.amdhsa_exception_int_div_zero 0
	.end_amdhsa_kernel
	.section	.text._ZN5aiter43moe_smooth_per_token_scaled_quant_kernel_v1ItDB8_Li256ELi8ELb0ELb1ELi1024EEEvPT0_PfPT_S4_PiS7_iiiii,"axG",@progbits,_ZN5aiter43moe_smooth_per_token_scaled_quant_kernel_v1ItDB8_Li256ELi8ELb0ELb1ELi1024EEEvPT0_PfPT_S4_PiS7_iiiii,comdat
.Lfunc_end159:
	.size	_ZN5aiter43moe_smooth_per_token_scaled_quant_kernel_v1ItDB8_Li256ELi8ELb0ELb1ELi1024EEEvPT0_PfPT_S4_PiS7_iiiii, .Lfunc_end159-_ZN5aiter43moe_smooth_per_token_scaled_quant_kernel_v1ItDB8_Li256ELi8ELb0ELb1ELi1024EEEvPT0_PfPT_S4_PiS7_iiiii
                                        ; -- End function
	.section	.AMDGPU.csdata,"",@progbits
; Kernel info:
; codeLenInByte = 1524
; NumSgprs: 25
; NumVgprs: 28
; ScratchSize: 0
; MemoryBound: 0
; FloatMode: 240
; IeeeMode: 1
; LDSByteSize: 4128 bytes/workgroup (compile time only)
; SGPRBlocks: 3
; VGPRBlocks: 3
; NumSGPRsForWavesPerEU: 25
; NumVGPRsForWavesPerEU: 28
; Occupancy: 16
; WaveLimiterHint : 0
; COMPUTE_PGM_RSRC2:SCRATCH_EN: 0
; COMPUTE_PGM_RSRC2:USER_SGPR: 15
; COMPUTE_PGM_RSRC2:TRAP_HANDLER: 0
; COMPUTE_PGM_RSRC2:TGID_X_EN: 1
; COMPUTE_PGM_RSRC2:TGID_Y_EN: 0
; COMPUTE_PGM_RSRC2:TGID_Z_EN: 0
; COMPUTE_PGM_RSRC2:TIDIG_COMP_CNT: 0
	.section	.text._ZN5aiter43moe_smooth_per_token_scaled_quant_kernel_v1IDF16_DB8_Li256ELi8ELb0ELb0ELi1024EEEvPT0_PfPT_S4_PiS7_iiiii,"axG",@progbits,_ZN5aiter43moe_smooth_per_token_scaled_quant_kernel_v1IDF16_DB8_Li256ELi8ELb0ELb0ELi1024EEEvPT0_PfPT_S4_PiS7_iiiii,comdat
	.protected	_ZN5aiter43moe_smooth_per_token_scaled_quant_kernel_v1IDF16_DB8_Li256ELi8ELb0ELb0ELi1024EEEvPT0_PfPT_S4_PiS7_iiiii ; -- Begin function _ZN5aiter43moe_smooth_per_token_scaled_quant_kernel_v1IDF16_DB8_Li256ELi8ELb0ELb0ELi1024EEEvPT0_PfPT_S4_PiS7_iiiii
	.globl	_ZN5aiter43moe_smooth_per_token_scaled_quant_kernel_v1IDF16_DB8_Li256ELi8ELb0ELb0ELi1024EEEvPT0_PfPT_S4_PiS7_iiiii
	.p2align	8
	.type	_ZN5aiter43moe_smooth_per_token_scaled_quant_kernel_v1IDF16_DB8_Li256ELi8ELb0ELb0ELi1024EEEvPT0_PfPT_S4_PiS7_iiiii,@function
_ZN5aiter43moe_smooth_per_token_scaled_quant_kernel_v1IDF16_DB8_Li256ELi8ELb0ELb0ELi1024EEEvPT0_PfPT_S4_PiS7_iiiii: ; @_ZN5aiter43moe_smooth_per_token_scaled_quant_kernel_v1IDF16_DB8_Li256ELi8ELb0ELb0ELi1024EEEvPT0_PfPT_S4_PiS7_iiiii
; %bb.0:
	s_clause 0x2
	s_load_b128 s[4:7], s[0:1], 0x34
	s_load_b64 s[2:3], s[0:1], 0x20
	s_load_b64 s[12:13], s[0:1], 0x10
	v_and_b32_e32 v12, 31, v0
	s_mov_b32 s11, -1
	s_delay_alu instid0(VALU_DEP_1)
	v_lshlrev_b32_e32 v1, 2, v12
	s_waitcnt lgkmcnt(0)
	s_mul_i32 s20, s15, s4
	s_mul_hi_i32 s7, s6, s15
	s_ashr_i32 s21, s20, 31
	s_mul_i32 s6, s6, s15
	s_lshl_b64 s[8:9], s[20:21], 2
	s_mov_b32 s21, 0
	s_add_u32 s8, s2, s8
	s_addc_u32 s2, s3, s9
	s_lshl_b32 s10, s4, 2
	s_and_b32 s9, s2, 0xffff
	s_lshl_b64 s[2:3], s[6:7], 1
	buffer_load_b32 v5, v1, s[8:11], 0 offen
	s_add_u32 s8, s12, s2
	v_lshlrev_b32_e32 v1, 4, v0
	s_addc_u32 s2, s13, s3
	s_lshl_b32 s10, s5, 1
	s_and_b32 s9, s2, 0xffff
	s_cmp_lt_i32 s4, 1
	buffer_load_b128 v[1:4], v1, s[8:11], 0 offen
	s_waitcnt vmcnt(0) expcnt(1) lgkmcnt(55)
	s_barrier
	buffer_gl0_inv
	s_cbranch_scc1 .LBB160_11
; %bb.1:
	s_clause 0x1
	s_load_b128 s[12:15], s[0:1], 0x0
	s_load_b64 s[6:7], s[0:1], 0x18
	s_add_i32 s1, s5, 7
	v_lshrrev_b32_e32 v6, 16, v1
	s_ashr_i32 s2, s1, 31
	v_lshrrev_b32_e32 v7, 16, v2
	s_lshr_b32 s2, s2, 29
	v_lshrrev_b32_e32 v8, 16, v3
	v_lshrrev_b32_e32 v9, 16, v4
	;; [unrolled: 1-line block ×3, first 2 shown]
	v_and_b32_e32 v14, 7, v0
	s_add_i32 s3, s5, 3
	s_add_i32 s1, s1, s2
	s_ashr_i32 s2, s3, 31
	s_ashr_i32 s1, s1, 3
	s_lshr_b32 s2, s2, 30
	v_cvt_f32_f16_e32 v1, v1
	v_cvt_f32_f16_e32 v6, v6
	;; [unrolled: 1-line block ×8, first 2 shown]
	v_dual_mov_b32 v15, 0x43e00000 :: v_dual_lshlrev_b32 v10, 3, v0
	v_lshlrev_b32_e32 v11, 5, v0
	v_cmp_eq_u32_e32 vcc_lo, 31, v12
	v_and_b32_e32 v12, 0x7c, v13
	v_dual_mov_b32 v14, 0xc3e00000 :: v_dual_lshlrev_b32 v13, 2, v14
	v_cmp_eq_u32_e64 s0, 0, v0
	v_cmp_gt_u32_e64 s1, s1, v0
	v_mov_b32_e32 v0, 0
	s_add_i32 s3, s3, s2
	s_mov_b32 s22, s5
	s_lshl_b32 s10, s5, 2
	s_and_b32 s18, s3, -4
	s_mov_b32 s5, 0x76543210
	s_branch .LBB160_4
.LBB160_2:                              ;   in Loop: Header=BB160_4 Depth=1
	s_or_b32 exec_lo, exec_lo, s3
.LBB160_3:                              ;   in Loop: Header=BB160_4 Depth=1
	s_add_i32 s21, s21, 1
	s_delay_alu instid0(SALU_CYCLE_1)
	s_cmp_eq_u32 s4, s21
	s_cbranch_scc1 .LBB160_11
.LBB160_4:                              ; =>This Inner Loop Header: Depth=1
	v_readlane_b32 s2, v5, s21
	s_delay_alu instid0(VALU_DEP_1)
	s_cmp_lt_i32 s2, 0
	s_cbranch_scc1 .LBB160_3
; %bb.5:                                ;   in Loop: Header=BB160_4 Depth=1
	s_mul_i32 s2, s2, s22
	s_delay_alu instid0(SALU_CYCLE_1) | instskip(NEXT) | instid1(SALU_CYCLE_1)
	s_ashr_i32 s3, s2, 31
	s_lshl_b64 s[2:3], s[2:3], 2
	s_waitcnt lgkmcnt(0)
	s_add_u32 s8, s6, s2
	s_addc_u32 s2, s7, s3
	s_delay_alu instid0(SALU_CYCLE_1)
	s_and_b32 s9, s2, 0xffff
	s_clause 0x1
	buffer_load_b128 v[16:19], v11, s[8:11], 0 offen
	buffer_load_b128 v[24:27], v11, s[8:11], 16 offen
	s_waitcnt vmcnt(1)
	v_dual_mul_f32 v22, v16, v1 :: v_dual_mul_f32 v23, v17, v6
	v_dual_mul_f32 v20, v18, v2 :: v_dual_mul_f32 v21, v19, v7
	s_waitcnt vmcnt(0)
	v_dual_mul_f32 v19, v24, v3 :: v_dual_mul_f32 v18, v25, v8
	s_delay_alu instid0(VALU_DEP_3) | instskip(SKIP_1) | instid1(VALU_DEP_2)
	v_max3_f32 v16, |v22|, 0x2edbe6ff, |v23|
	v_mul_f32_e32 v17, v27, v9
	v_max3_f32 v24, v16, |v20|, |v21|
	v_mul_f32_e32 v16, v26, v4
	s_delay_alu instid0(VALU_DEP_2) | instskip(NEXT) | instid1(VALU_DEP_1)
	v_max3_f32 v24, v24, |v19|, |v18|
	v_max3_f32 v24, v24, |v16|, |v17|
	s_delay_alu instid0(VALU_DEP_1) | instskip(NEXT) | instid1(VALU_DEP_1)
	v_mov_b32_dpp v25, v24 quad_perm:[1,0,3,2] row_mask:0xf bank_mask:0xf
	v_cmp_gt_f32_e64 s2, v24, v25
	s_delay_alu instid0(VALU_DEP_1) | instskip(NEXT) | instid1(VALU_DEP_1)
	v_cndmask_b32_e64 v24, v25, v24, s2
	v_mov_b32_dpp v25, v24 quad_perm:[2,3,0,1] row_mask:0xf bank_mask:0xf
	s_delay_alu instid0(VALU_DEP_1) | instskip(NEXT) | instid1(VALU_DEP_1)
	v_cmp_gt_f32_e64 s2, v24, v25
	v_cndmask_b32_e64 v24, v25, v24, s2
	s_delay_alu instid0(VALU_DEP_1) | instskip(NEXT) | instid1(VALU_DEP_1)
	v_mov_b32_dpp v25, v24 row_xmask:7 row_mask:0xf bank_mask:0xf
	v_cmp_gt_f32_e64 s2, v24, v25
	s_delay_alu instid0(VALU_DEP_1) | instskip(NEXT) | instid1(VALU_DEP_1)
	v_cndmask_b32_e64 v24, v25, v24, s2
	v_mov_b32_dpp v25, v24 row_xmask:15 row_mask:0xf bank_mask:0xf
	s_delay_alu instid0(VALU_DEP_1)
	v_cmp_gt_f32_e64 s2, v24, v25
	s_and_saveexec_b32 s3, vcc_lo
	s_cbranch_execz .LBB160_7
; %bb.6:                                ;   in Loop: Header=BB160_4 Depth=1
	s_delay_alu instid0(VALU_DEP_1) | instskip(NEXT) | instid1(VALU_DEP_1)
	v_cndmask_b32_e64 v24, v25, v24, s2
	v_permlanex16_b32 v25, v24, s5, 0xfedcba98 op_sel:[1,1]
	s_delay_alu instid0(VALU_DEP_1) | instskip(NEXT) | instid1(VALU_DEP_1)
	v_cmp_gt_f32_e64 s2, v24, v25
	v_cndmask_b32_e64 v24, v25, v24, s2
	ds_store_b32 v12, v24
.LBB160_7:                              ;   in Loop: Header=BB160_4 Depth=1
	s_or_b32 exec_lo, exec_lo, s3
	s_waitcnt lgkmcnt(0)
	s_waitcnt_vscnt null, 0x0
	s_barrier
	buffer_gl0_inv
	ds_load_b32 v24, v13
	s_waitcnt lgkmcnt(0)
	v_mov_b32_dpp v25, v24 quad_perm:[1,0,3,2] row_mask:0xf bank_mask:0xf
	s_delay_alu instid0(VALU_DEP_1) | instskip(NEXT) | instid1(VALU_DEP_1)
	v_cmp_gt_f32_e64 s2, v24, v25
	v_cndmask_b32_e64 v24, v25, v24, s2
	s_delay_alu instid0(VALU_DEP_1) | instskip(NEXT) | instid1(VALU_DEP_1)
	v_mov_b32_dpp v25, v24 quad_perm:[2,3,0,1] row_mask:0xf bank_mask:0xf
	v_cmp_gt_f32_e64 s2, v24, v25
	s_delay_alu instid0(VALU_DEP_1) | instskip(NEXT) | instid1(VALU_DEP_1)
	v_cndmask_b32_e64 v24, v25, v24, s2
	v_mov_b32_dpp v25, v24 row_xmask:7 row_mask:0xf bank_mask:0xf
	s_delay_alu instid0(VALU_DEP_1) | instskip(NEXT) | instid1(VALU_DEP_1)
	v_cmp_gt_f32_e64 s2, v24, v25
	v_cndmask_b32_e64 v24, v25, v24, s2
	s_add_i32 s2, s20, s21
	s_delay_alu instid0(VALU_DEP_1)
	v_mul_f32_e32 v24, 0x3b124925, v24
	s_and_saveexec_b32 s8, s0
	s_cbranch_execz .LBB160_9
; %bb.8:                                ;   in Loop: Header=BB160_4 Depth=1
	s_ashr_i32 s3, s2, 31
	s_delay_alu instid0(SALU_CYCLE_1) | instskip(NEXT) | instid1(SALU_CYCLE_1)
	s_lshl_b64 s[16:17], s[2:3], 2
	s_add_u32 s16, s14, s16
	s_addc_u32 s17, s15, s17
	global_store_b32 v0, v24, s[16:17]
.LBB160_9:                              ;   in Loop: Header=BB160_4 Depth=1
	s_or_b32 exec_lo, exec_lo, s8
	s_and_saveexec_b32 s3, s1
	s_cbranch_execz .LBB160_2
; %bb.10:                               ;   in Loop: Header=BB160_4 Depth=1
	v_rcp_f32_e32 v24, v24
	s_mul_i32 s8, s2, s22
	s_mul_hi_i32 s2, s2, s22
	s_add_u32 s16, s12, s8
	s_addc_u32 s2, s13, s2
	s_mov_b32 s19, s11
	s_and_b32 s17, s2, 0xffff
	s_waitcnt_depctr 0xfff
	v_mul_f32_e32 v22, v22, v24
	v_mul_f32_e32 v23, v23, v24
	;; [unrolled: 1-line block ×4, first 2 shown]
	;;#ASMSTART
	v_med3_f32 v22, v22, v14, v15
v_med3_f32 v23, v23, v14, v15
v_cvt_pk_fp8_f32 v25, v22, v23
	;;#ASMEND
	;;#ASMSTART
	v_med3_f32 v20, v20, v14, v15
v_med3_f32 v21, v21, v14, v15
v_cvt_pk_fp8_f32 v22, v20, v21
	;;#ASMEND
	v_perm_b32 v20, v22, v25, 0x5040100
	v_and_b32_e32 v22, 0xffffff00, v22
	v_mul_f32_e32 v18, v18, v24
	v_mul_f32_e32 v16, v16, v24
	;; [unrolled: 1-line block ×3, first 2 shown]
	v_lshrrev_b32_e32 v21, 16, v20
	s_delay_alu instid0(VALU_DEP_1) | instskip(NEXT) | instid1(VALU_DEP_1)
	v_and_b32_e32 v21, 0xff, v21
	v_or_b32_e32 v21, v21, v22
	v_mul_f32_e32 v19, v19, v24
	;;#ASMSTART
	v_med3_f32 v19, v19, v14, v15
v_med3_f32 v18, v18, v14, v15
v_cvt_pk_fp8_f32 v22, v19, v18
	;;#ASMEND
	;;#ASMSTART
	v_med3_f32 v16, v16, v14, v15
v_med3_f32 v17, v17, v14, v15
v_cvt_pk_fp8_f32 v18, v16, v17
	;;#ASMEND
	v_lshlrev_b32_e32 v16, 16, v18
	v_lshlrev_b32_e32 v18, 16, v21
	s_delay_alu instid0(VALU_DEP_2) | instskip(NEXT) | instid1(VALU_DEP_2)
	v_and_or_b32 v17, 0xffff, v22, v16
	v_and_or_b32 v16, 0xffff, v20, v18
	buffer_store_b64 v[16:17], v10, s[16:19], 0 offen
	;;#ASMSTART
	s_nop 0
	;;#ASMEND
	s_branch .LBB160_2
.LBB160_11:
	s_nop 0
	s_sendmsg sendmsg(MSG_DEALLOC_VGPRS)
	s_endpgm
	.section	.rodata,"a",@progbits
	.p2align	6, 0x0
	.amdhsa_kernel _ZN5aiter43moe_smooth_per_token_scaled_quant_kernel_v1IDF16_DB8_Li256ELi8ELb0ELb0ELi1024EEEvPT0_PfPT_S4_PiS7_iiiii
		.amdhsa_group_segment_fixed_size 32
		.amdhsa_private_segment_fixed_size 0
		.amdhsa_kernarg_size 68
		.amdhsa_user_sgpr_count 15
		.amdhsa_user_sgpr_dispatch_ptr 0
		.amdhsa_user_sgpr_queue_ptr 0
		.amdhsa_user_sgpr_kernarg_segment_ptr 1
		.amdhsa_user_sgpr_dispatch_id 0
		.amdhsa_user_sgpr_private_segment_size 0
		.amdhsa_wavefront_size32 1
		.amdhsa_uses_dynamic_stack 0
		.amdhsa_enable_private_segment 0
		.amdhsa_system_sgpr_workgroup_id_x 1
		.amdhsa_system_sgpr_workgroup_id_y 0
		.amdhsa_system_sgpr_workgroup_id_z 0
		.amdhsa_system_sgpr_workgroup_info 0
		.amdhsa_system_vgpr_workitem_id 0
		.amdhsa_next_free_vgpr 28
		.amdhsa_next_free_sgpr 23
		.amdhsa_reserve_vcc 1
		.amdhsa_float_round_mode_32 0
		.amdhsa_float_round_mode_16_64 0
		.amdhsa_float_denorm_mode_32 3
		.amdhsa_float_denorm_mode_16_64 3
		.amdhsa_dx10_clamp 1
		.amdhsa_ieee_mode 1
		.amdhsa_fp16_overflow 0
		.amdhsa_workgroup_processor_mode 1
		.amdhsa_memory_ordered 1
		.amdhsa_forward_progress 0
		.amdhsa_shared_vgpr_count 0
		.amdhsa_exception_fp_ieee_invalid_op 0
		.amdhsa_exception_fp_denorm_src 0
		.amdhsa_exception_fp_ieee_div_zero 0
		.amdhsa_exception_fp_ieee_overflow 0
		.amdhsa_exception_fp_ieee_underflow 0
		.amdhsa_exception_fp_ieee_inexact 0
		.amdhsa_exception_int_div_zero 0
	.end_amdhsa_kernel
	.section	.text._ZN5aiter43moe_smooth_per_token_scaled_quant_kernel_v1IDF16_DB8_Li256ELi8ELb0ELb0ELi1024EEEvPT0_PfPT_S4_PiS7_iiiii,"axG",@progbits,_ZN5aiter43moe_smooth_per_token_scaled_quant_kernel_v1IDF16_DB8_Li256ELi8ELb0ELb0ELi1024EEEvPT0_PfPT_S4_PiS7_iiiii,comdat
.Lfunc_end160:
	.size	_ZN5aiter43moe_smooth_per_token_scaled_quant_kernel_v1IDF16_DB8_Li256ELi8ELb0ELb0ELi1024EEEvPT0_PfPT_S4_PiS7_iiiii, .Lfunc_end160-_ZN5aiter43moe_smooth_per_token_scaled_quant_kernel_v1IDF16_DB8_Li256ELi8ELb0ELb0ELi1024EEEvPT0_PfPT_S4_PiS7_iiiii
                                        ; -- End function
	.section	.AMDGPU.csdata,"",@progbits
; Kernel info:
; codeLenInByte = 1328
; NumSgprs: 25
; NumVgprs: 28
; ScratchSize: 0
; MemoryBound: 0
; FloatMode: 240
; IeeeMode: 1
; LDSByteSize: 32 bytes/workgroup (compile time only)
; SGPRBlocks: 3
; VGPRBlocks: 3
; NumSGPRsForWavesPerEU: 25
; NumVGPRsForWavesPerEU: 28
; Occupancy: 16
; WaveLimiterHint : 0
; COMPUTE_PGM_RSRC2:SCRATCH_EN: 0
; COMPUTE_PGM_RSRC2:USER_SGPR: 15
; COMPUTE_PGM_RSRC2:TRAP_HANDLER: 0
; COMPUTE_PGM_RSRC2:TGID_X_EN: 1
; COMPUTE_PGM_RSRC2:TGID_Y_EN: 0
; COMPUTE_PGM_RSRC2:TGID_Z_EN: 0
; COMPUTE_PGM_RSRC2:TIDIG_COMP_CNT: 0
	.section	.text._ZN5aiter43moe_smooth_per_token_scaled_quant_kernel_v1ItDB8_Li256ELi8ELb0ELb0ELi1024EEEvPT0_PfPT_S4_PiS7_iiiii,"axG",@progbits,_ZN5aiter43moe_smooth_per_token_scaled_quant_kernel_v1ItDB8_Li256ELi8ELb0ELb0ELi1024EEEvPT0_PfPT_S4_PiS7_iiiii,comdat
	.protected	_ZN5aiter43moe_smooth_per_token_scaled_quant_kernel_v1ItDB8_Li256ELi8ELb0ELb0ELi1024EEEvPT0_PfPT_S4_PiS7_iiiii ; -- Begin function _ZN5aiter43moe_smooth_per_token_scaled_quant_kernel_v1ItDB8_Li256ELi8ELb0ELb0ELi1024EEEvPT0_PfPT_S4_PiS7_iiiii
	.globl	_ZN5aiter43moe_smooth_per_token_scaled_quant_kernel_v1ItDB8_Li256ELi8ELb0ELb0ELi1024EEEvPT0_PfPT_S4_PiS7_iiiii
	.p2align	8
	.type	_ZN5aiter43moe_smooth_per_token_scaled_quant_kernel_v1ItDB8_Li256ELi8ELb0ELb0ELi1024EEEvPT0_PfPT_S4_PiS7_iiiii,@function
_ZN5aiter43moe_smooth_per_token_scaled_quant_kernel_v1ItDB8_Li256ELi8ELb0ELb0ELi1024EEEvPT0_PfPT_S4_PiS7_iiiii: ; @_ZN5aiter43moe_smooth_per_token_scaled_quant_kernel_v1ItDB8_Li256ELi8ELb0ELb0ELi1024EEEvPT0_PfPT_S4_PiS7_iiiii
; %bb.0:
	s_clause 0x2
	s_load_b128 s[4:7], s[0:1], 0x34
	s_load_b64 s[2:3], s[0:1], 0x20
	s_load_b64 s[12:13], s[0:1], 0x10
	v_and_b32_e32 v12, 31, v0
	s_mov_b32 s11, -1
	s_delay_alu instid0(VALU_DEP_1)
	v_lshlrev_b32_e32 v1, 2, v12
	s_waitcnt lgkmcnt(0)
	s_mul_i32 s20, s15, s4
	s_mul_hi_i32 s7, s6, s15
	s_ashr_i32 s21, s20, 31
	s_mul_i32 s6, s6, s15
	s_lshl_b64 s[8:9], s[20:21], 2
	s_mov_b32 s21, 0
	s_add_u32 s8, s2, s8
	s_addc_u32 s2, s3, s9
	s_lshl_b32 s10, s4, 2
	s_and_b32 s9, s2, 0xffff
	s_lshl_b64 s[2:3], s[6:7], 1
	buffer_load_b32 v5, v1, s[8:11], 0 offen
	s_add_u32 s8, s12, s2
	v_lshlrev_b32_e32 v1, 4, v0
	s_addc_u32 s2, s13, s3
	s_lshl_b32 s10, s5, 1
	s_and_b32 s9, s2, 0xffff
	s_cmp_lt_i32 s4, 1
	buffer_load_b128 v[1:4], v1, s[8:11], 0 offen
	s_waitcnt vmcnt(0) expcnt(1) lgkmcnt(55)
	s_barrier
	buffer_gl0_inv
	s_cbranch_scc1 .LBB161_11
; %bb.1:
	s_clause 0x1
	s_load_b128 s[12:15], s[0:1], 0x0
	s_load_b64 s[6:7], s[0:1], 0x18
	v_and_b32_e32 v6, 0xffff, v1
	v_lshrrev_b32_e32 v7, 16, v1
	v_and_b32_e32 v8, 0xffff, v2
	s_add_i32 s1, s5, 7
	v_lshrrev_b32_e32 v2, 16, v2
	s_ashr_i32 s2, s1, 31
	v_cvt_f32_u32_e32 v1, v6
	s_lshr_b32 s2, s2, 29
	v_cvt_f32_u32_e32 v6, v7
	v_cvt_f32_u32_e32 v7, v8
	v_and_b32_e32 v8, 0xffff, v3
	v_lshrrev_b32_e32 v9, 16, v3
	v_and_b32_e32 v10, 0xffff, v4
	v_lshrrev_b32_e32 v11, 16, v4
	v_lshrrev_b32_e32 v13, 3, v0
	v_and_b32_e32 v14, 7, v0
	s_add_i32 s3, s5, 3
	s_add_i32 s1, s1, s2
	s_ashr_i32 s2, s3, 31
	s_ashr_i32 s1, s1, 3
	s_lshr_b32 s2, s2, 30
	v_cvt_f32_u32_e32 v2, v2
	v_cvt_f32_u32_e32 v3, v8
	;; [unrolled: 1-line block ×5, first 2 shown]
	v_dual_mov_b32 v15, 0x43e00000 :: v_dual_lshlrev_b32 v10, 3, v0
	v_lshlrev_b32_e32 v11, 5, v0
	v_cmp_eq_u32_e32 vcc_lo, 31, v12
	v_and_b32_e32 v12, 0x7c, v13
	v_dual_mov_b32 v14, 0xc3e00000 :: v_dual_lshlrev_b32 v13, 2, v14
	v_cmp_eq_u32_e64 s0, 0, v0
	v_cmp_gt_u32_e64 s1, s1, v0
	v_mov_b32_e32 v0, 0
	s_add_i32 s3, s3, s2
	s_mov_b32 s22, s5
	s_lshl_b32 s10, s5, 2
	s_and_b32 s18, s3, -4
	s_mov_b32 s5, 0x76543210
	s_branch .LBB161_4
.LBB161_2:                              ;   in Loop: Header=BB161_4 Depth=1
	s_or_b32 exec_lo, exec_lo, s3
.LBB161_3:                              ;   in Loop: Header=BB161_4 Depth=1
	s_add_i32 s21, s21, 1
	s_delay_alu instid0(SALU_CYCLE_1)
	s_cmp_eq_u32 s4, s21
	s_cbranch_scc1 .LBB161_11
.LBB161_4:                              ; =>This Inner Loop Header: Depth=1
	v_readlane_b32 s2, v5, s21
	s_delay_alu instid0(VALU_DEP_1)
	s_cmp_lt_i32 s2, 0
	s_cbranch_scc1 .LBB161_3
; %bb.5:                                ;   in Loop: Header=BB161_4 Depth=1
	s_mul_i32 s2, s2, s22
	s_delay_alu instid0(SALU_CYCLE_1) | instskip(NEXT) | instid1(SALU_CYCLE_1)
	s_ashr_i32 s3, s2, 31
	s_lshl_b64 s[2:3], s[2:3], 2
	s_waitcnt lgkmcnt(0)
	s_add_u32 s8, s6, s2
	s_addc_u32 s2, s7, s3
	s_delay_alu instid0(SALU_CYCLE_1)
	s_and_b32 s9, s2, 0xffff
	s_clause 0x1
	buffer_load_b128 v[16:19], v11, s[8:11], 0 offen
	buffer_load_b128 v[24:27], v11, s[8:11], 16 offen
	s_waitcnt vmcnt(1)
	v_dual_mul_f32 v22, v16, v1 :: v_dual_mul_f32 v23, v17, v6
	v_dual_mul_f32 v20, v18, v7 :: v_dual_mul_f32 v21, v19, v2
	s_waitcnt vmcnt(0)
	v_dual_mul_f32 v19, v24, v3 :: v_dual_mul_f32 v18, v25, v4
	s_delay_alu instid0(VALU_DEP_3) | instskip(SKIP_1) | instid1(VALU_DEP_2)
	v_max3_f32 v16, |v22|, 0x2edbe6ff, |v23|
	v_mul_f32_e32 v17, v27, v9
	v_max3_f32 v24, v16, |v20|, |v21|
	v_mul_f32_e32 v16, v26, v8
	s_delay_alu instid0(VALU_DEP_2) | instskip(NEXT) | instid1(VALU_DEP_1)
	v_max3_f32 v24, v24, |v19|, |v18|
	v_max3_f32 v24, v24, |v16|, |v17|
	s_delay_alu instid0(VALU_DEP_1) | instskip(NEXT) | instid1(VALU_DEP_1)
	v_mov_b32_dpp v25, v24 quad_perm:[1,0,3,2] row_mask:0xf bank_mask:0xf
	v_cmp_gt_f32_e64 s2, v24, v25
	s_delay_alu instid0(VALU_DEP_1) | instskip(NEXT) | instid1(VALU_DEP_1)
	v_cndmask_b32_e64 v24, v25, v24, s2
	v_mov_b32_dpp v25, v24 quad_perm:[2,3,0,1] row_mask:0xf bank_mask:0xf
	s_delay_alu instid0(VALU_DEP_1) | instskip(NEXT) | instid1(VALU_DEP_1)
	v_cmp_gt_f32_e64 s2, v24, v25
	v_cndmask_b32_e64 v24, v25, v24, s2
	s_delay_alu instid0(VALU_DEP_1) | instskip(NEXT) | instid1(VALU_DEP_1)
	v_mov_b32_dpp v25, v24 row_xmask:7 row_mask:0xf bank_mask:0xf
	v_cmp_gt_f32_e64 s2, v24, v25
	s_delay_alu instid0(VALU_DEP_1) | instskip(NEXT) | instid1(VALU_DEP_1)
	v_cndmask_b32_e64 v24, v25, v24, s2
	v_mov_b32_dpp v25, v24 row_xmask:15 row_mask:0xf bank_mask:0xf
	s_delay_alu instid0(VALU_DEP_1)
	v_cmp_gt_f32_e64 s2, v24, v25
	s_and_saveexec_b32 s3, vcc_lo
	s_cbranch_execz .LBB161_7
; %bb.6:                                ;   in Loop: Header=BB161_4 Depth=1
	s_delay_alu instid0(VALU_DEP_1) | instskip(NEXT) | instid1(VALU_DEP_1)
	v_cndmask_b32_e64 v24, v25, v24, s2
	v_permlanex16_b32 v25, v24, s5, 0xfedcba98 op_sel:[1,1]
	s_delay_alu instid0(VALU_DEP_1) | instskip(NEXT) | instid1(VALU_DEP_1)
	v_cmp_gt_f32_e64 s2, v24, v25
	v_cndmask_b32_e64 v24, v25, v24, s2
	ds_store_b32 v12, v24
.LBB161_7:                              ;   in Loop: Header=BB161_4 Depth=1
	s_or_b32 exec_lo, exec_lo, s3
	s_waitcnt lgkmcnt(0)
	s_waitcnt_vscnt null, 0x0
	s_barrier
	buffer_gl0_inv
	ds_load_b32 v24, v13
	s_waitcnt lgkmcnt(0)
	v_mov_b32_dpp v25, v24 quad_perm:[1,0,3,2] row_mask:0xf bank_mask:0xf
	s_delay_alu instid0(VALU_DEP_1) | instskip(NEXT) | instid1(VALU_DEP_1)
	v_cmp_gt_f32_e64 s2, v24, v25
	v_cndmask_b32_e64 v24, v25, v24, s2
	s_delay_alu instid0(VALU_DEP_1) | instskip(NEXT) | instid1(VALU_DEP_1)
	v_mov_b32_dpp v25, v24 quad_perm:[2,3,0,1] row_mask:0xf bank_mask:0xf
	v_cmp_gt_f32_e64 s2, v24, v25
	s_delay_alu instid0(VALU_DEP_1) | instskip(NEXT) | instid1(VALU_DEP_1)
	v_cndmask_b32_e64 v24, v25, v24, s2
	v_mov_b32_dpp v25, v24 row_xmask:7 row_mask:0xf bank_mask:0xf
	s_delay_alu instid0(VALU_DEP_1) | instskip(NEXT) | instid1(VALU_DEP_1)
	v_cmp_gt_f32_e64 s2, v24, v25
	v_cndmask_b32_e64 v24, v25, v24, s2
	s_add_i32 s2, s20, s21
	s_delay_alu instid0(VALU_DEP_1)
	v_mul_f32_e32 v24, 0x3b124925, v24
	s_and_saveexec_b32 s8, s0
	s_cbranch_execz .LBB161_9
; %bb.8:                                ;   in Loop: Header=BB161_4 Depth=1
	s_ashr_i32 s3, s2, 31
	s_delay_alu instid0(SALU_CYCLE_1) | instskip(NEXT) | instid1(SALU_CYCLE_1)
	s_lshl_b64 s[16:17], s[2:3], 2
	s_add_u32 s16, s14, s16
	s_addc_u32 s17, s15, s17
	global_store_b32 v0, v24, s[16:17]
.LBB161_9:                              ;   in Loop: Header=BB161_4 Depth=1
	s_or_b32 exec_lo, exec_lo, s8
	s_and_saveexec_b32 s3, s1
	s_cbranch_execz .LBB161_2
; %bb.10:                               ;   in Loop: Header=BB161_4 Depth=1
	v_rcp_f32_e32 v24, v24
	s_mul_i32 s8, s2, s22
	s_mul_hi_i32 s2, s2, s22
	s_add_u32 s16, s12, s8
	s_addc_u32 s2, s13, s2
	s_mov_b32 s19, s11
	s_and_b32 s17, s2, 0xffff
	s_waitcnt_depctr 0xfff
	v_mul_f32_e32 v22, v22, v24
	v_mul_f32_e32 v23, v23, v24
	;; [unrolled: 1-line block ×4, first 2 shown]
	;;#ASMSTART
	v_med3_f32 v22, v22, v14, v15
v_med3_f32 v23, v23, v14, v15
v_cvt_pk_fp8_f32 v25, v22, v23
	;;#ASMEND
	;;#ASMSTART
	v_med3_f32 v20, v20, v14, v15
v_med3_f32 v21, v21, v14, v15
v_cvt_pk_fp8_f32 v22, v20, v21
	;;#ASMEND
	v_perm_b32 v20, v22, v25, 0x5040100
	v_and_b32_e32 v22, 0xffffff00, v22
	v_mul_f32_e32 v18, v18, v24
	v_mul_f32_e32 v16, v16, v24
	;; [unrolled: 1-line block ×3, first 2 shown]
	v_lshrrev_b32_e32 v21, 16, v20
	s_delay_alu instid0(VALU_DEP_1) | instskip(NEXT) | instid1(VALU_DEP_1)
	v_and_b32_e32 v21, 0xff, v21
	v_or_b32_e32 v21, v21, v22
	v_mul_f32_e32 v19, v19, v24
	;;#ASMSTART
	v_med3_f32 v19, v19, v14, v15
v_med3_f32 v18, v18, v14, v15
v_cvt_pk_fp8_f32 v22, v19, v18
	;;#ASMEND
	;;#ASMSTART
	v_med3_f32 v16, v16, v14, v15
v_med3_f32 v17, v17, v14, v15
v_cvt_pk_fp8_f32 v18, v16, v17
	;;#ASMEND
	v_lshlrev_b32_e32 v16, 16, v18
	v_lshlrev_b32_e32 v18, 16, v21
	s_delay_alu instid0(VALU_DEP_2) | instskip(NEXT) | instid1(VALU_DEP_2)
	v_and_or_b32 v17, 0xffff, v22, v16
	v_and_or_b32 v16, 0xffff, v20, v18
	buffer_store_b64 v[16:17], v10, s[16:19], 0 offen
	;;#ASMSTART
	s_nop 0
	;;#ASMEND
	s_branch .LBB161_2
.LBB161_11:
	s_nop 0
	s_sendmsg sendmsg(MSG_DEALLOC_VGPRS)
	s_endpgm
	.section	.rodata,"a",@progbits
	.p2align	6, 0x0
	.amdhsa_kernel _ZN5aiter43moe_smooth_per_token_scaled_quant_kernel_v1ItDB8_Li256ELi8ELb0ELb0ELi1024EEEvPT0_PfPT_S4_PiS7_iiiii
		.amdhsa_group_segment_fixed_size 32
		.amdhsa_private_segment_fixed_size 0
		.amdhsa_kernarg_size 68
		.amdhsa_user_sgpr_count 15
		.amdhsa_user_sgpr_dispatch_ptr 0
		.amdhsa_user_sgpr_queue_ptr 0
		.amdhsa_user_sgpr_kernarg_segment_ptr 1
		.amdhsa_user_sgpr_dispatch_id 0
		.amdhsa_user_sgpr_private_segment_size 0
		.amdhsa_wavefront_size32 1
		.amdhsa_uses_dynamic_stack 0
		.amdhsa_enable_private_segment 0
		.amdhsa_system_sgpr_workgroup_id_x 1
		.amdhsa_system_sgpr_workgroup_id_y 0
		.amdhsa_system_sgpr_workgroup_id_z 0
		.amdhsa_system_sgpr_workgroup_info 0
		.amdhsa_system_vgpr_workitem_id 0
		.amdhsa_next_free_vgpr 28
		.amdhsa_next_free_sgpr 23
		.amdhsa_reserve_vcc 1
		.amdhsa_float_round_mode_32 0
		.amdhsa_float_round_mode_16_64 0
		.amdhsa_float_denorm_mode_32 3
		.amdhsa_float_denorm_mode_16_64 3
		.amdhsa_dx10_clamp 1
		.amdhsa_ieee_mode 1
		.amdhsa_fp16_overflow 0
		.amdhsa_workgroup_processor_mode 1
		.amdhsa_memory_ordered 1
		.amdhsa_forward_progress 0
		.amdhsa_shared_vgpr_count 0
		.amdhsa_exception_fp_ieee_invalid_op 0
		.amdhsa_exception_fp_denorm_src 0
		.amdhsa_exception_fp_ieee_div_zero 0
		.amdhsa_exception_fp_ieee_overflow 0
		.amdhsa_exception_fp_ieee_underflow 0
		.amdhsa_exception_fp_ieee_inexact 0
		.amdhsa_exception_int_div_zero 0
	.end_amdhsa_kernel
	.section	.text._ZN5aiter43moe_smooth_per_token_scaled_quant_kernel_v1ItDB8_Li256ELi8ELb0ELb0ELi1024EEEvPT0_PfPT_S4_PiS7_iiiii,"axG",@progbits,_ZN5aiter43moe_smooth_per_token_scaled_quant_kernel_v1ItDB8_Li256ELi8ELb0ELb0ELi1024EEEvPT0_PfPT_S4_PiS7_iiiii,comdat
.Lfunc_end161:
	.size	_ZN5aiter43moe_smooth_per_token_scaled_quant_kernel_v1ItDB8_Li256ELi8ELb0ELb0ELi1024EEEvPT0_PfPT_S4_PiS7_iiiii, .Lfunc_end161-_ZN5aiter43moe_smooth_per_token_scaled_quant_kernel_v1ItDB8_Li256ELi8ELb0ELb0ELi1024EEEvPT0_PfPT_S4_PiS7_iiiii
                                        ; -- End function
	.section	.AMDGPU.csdata,"",@progbits
; Kernel info:
; codeLenInByte = 1360
; NumSgprs: 25
; NumVgprs: 28
; ScratchSize: 0
; MemoryBound: 0
; FloatMode: 240
; IeeeMode: 1
; LDSByteSize: 32 bytes/workgroup (compile time only)
; SGPRBlocks: 3
; VGPRBlocks: 3
; NumSGPRsForWavesPerEU: 25
; NumVGPRsForWavesPerEU: 28
; Occupancy: 16
; WaveLimiterHint : 0
; COMPUTE_PGM_RSRC2:SCRATCH_EN: 0
; COMPUTE_PGM_RSRC2:USER_SGPR: 15
; COMPUTE_PGM_RSRC2:TRAP_HANDLER: 0
; COMPUTE_PGM_RSRC2:TGID_X_EN: 1
; COMPUTE_PGM_RSRC2:TGID_Y_EN: 0
; COMPUTE_PGM_RSRC2:TGID_Z_EN: 0
; COMPUTE_PGM_RSRC2:TIDIG_COMP_CNT: 0
	.section	.text._ZN5aiter43moe_smooth_per_token_scaled_quant_kernel_v1IDF16_DB8_Li256ELi16ELb1ELb1ELi1024EEEvPT0_PfPT_S4_PiS7_iiiii,"axG",@progbits,_ZN5aiter43moe_smooth_per_token_scaled_quant_kernel_v1IDF16_DB8_Li256ELi16ELb1ELb1ELi1024EEEvPT0_PfPT_S4_PiS7_iiiii,comdat
	.protected	_ZN5aiter43moe_smooth_per_token_scaled_quant_kernel_v1IDF16_DB8_Li256ELi16ELb1ELb1ELi1024EEEvPT0_PfPT_S4_PiS7_iiiii ; -- Begin function _ZN5aiter43moe_smooth_per_token_scaled_quant_kernel_v1IDF16_DB8_Li256ELi16ELb1ELb1ELi1024EEEvPT0_PfPT_S4_PiS7_iiiii
	.globl	_ZN5aiter43moe_smooth_per_token_scaled_quant_kernel_v1IDF16_DB8_Li256ELi16ELb1ELb1ELi1024EEEvPT0_PfPT_S4_PiS7_iiiii
	.p2align	8
	.type	_ZN5aiter43moe_smooth_per_token_scaled_quant_kernel_v1IDF16_DB8_Li256ELi16ELb1ELb1ELi1024EEEvPT0_PfPT_S4_PiS7_iiiii,@function
_ZN5aiter43moe_smooth_per_token_scaled_quant_kernel_v1IDF16_DB8_Li256ELi16ELb1ELb1ELi1024EEEvPT0_PfPT_S4_PiS7_iiiii: ; @_ZN5aiter43moe_smooth_per_token_scaled_quant_kernel_v1IDF16_DB8_Li256ELi16ELb1ELb1ELi1024EEEvPT0_PfPT_S4_PiS7_iiiii
; %bb.0:
	s_clause 0x2
	s_load_b32 s18, s[0:1], 0x40
	s_load_b256 s[4:11], s[0:1], 0x20
	s_load_b64 s[2:3], s[0:1], 0x10
	s_mov_b32 s20, s15
	v_and_b32_e32 v20, 31, v0
	v_lshlrev_b32_e32 v10, 2, v0
	s_mov_b32 s15, -1
	s_delay_alu instid0(VALU_DEP_2)
	v_lshlrev_b32_e32 v1, 2, v20
	s_waitcnt lgkmcnt(0)
	s_lshl_b32 s14, s18, 2
	s_mul_i32 s16, s20, s9
	s_and_b32 s13, s7, 0xffff
	s_ashr_i32 s17, s16, 31
	s_mov_b32 s12, s6
	s_lshl_b64 s[16:17], s[16:17], 2
	s_clause 0x3
	buffer_load_b32 v11, v10, s[12:15], 0 offen
	buffer_load_b32 v12, v10, s[12:15], 0 offen offset:1024
	buffer_load_b32 v13, v10, s[12:15], 0 offen offset:2048
	;; [unrolled: 1-line block ×3, first 2 shown]
	s_add_u32 s12, s4, s16
	s_addc_u32 s4, s5, s17
	s_lshl_b32 s14, s9, 2
	s_and_b32 s13, s4, 0xffff
	s_mul_hi_i32 s7, s11, s20
	s_mul_i32 s6, s11, s20
	buffer_load_b32 v9, v1, s[12:15], 0 offen
	s_lshl_b64 s[4:5], s[6:7], 1
	v_lshlrev_b32_e32 v1, 5, v0
	s_add_u32 s12, s2, s4
	s_addc_u32 s2, s3, s5
	s_lshl_b32 s14, s10, 1
	s_and_b32 s13, s2, 0xffff
	s_clause 0x1
	buffer_load_b128 v[5:8], v1, s[12:15], 0 offen
	buffer_load_b128 v[1:4], v1, s[12:15], 16 offen
	v_cmp_gt_i32_e32 vcc_lo, s9, v20
	s_waitcnt vmcnt(5)
	ds_store_2addr_stride64_b32 v10, v11, v12 offset1:4
	s_waitcnt vmcnt(3)
	ds_store_2addr_stride64_b32 v10, v13, v14 offset0:8 offset1:12
	s_waitcnt vmcnt(0) expcnt(2) lgkmcnt(0)
	s_barrier
	buffer_gl0_inv
	v_cmp_gt_i32_e64 s2, s18, v9
	v_cmp_lt_i32_e64 s3, -1, v9
	s_delay_alu instid0(VALU_DEP_2)
	s_and_b32 s2, vcc_lo, s2
	s_delay_alu instid0(VALU_DEP_1) | instid1(SALU_CYCLE_1)
	s_and_b32 s3, s2, s3
	s_delay_alu instid0(SALU_CYCLE_1)
	s_and_saveexec_b32 s2, s3
	s_cbranch_execz .LBB162_2
; %bb.1:
	v_lshlrev_b32_e32 v9, 2, v9
	ds_load_b32 v9, v9
.LBB162_2:
	s_or_b32 exec_lo, exec_lo, s2
	s_cmp_lt_i32 s9, 1
	s_cbranch_scc1 .LBB162_13
; %bb.3:
	s_clause 0x1
	s_load_b128 s[4:7], s[0:1], 0x0
	s_load_b64 s[22:23], s[0:1], 0x18
	s_add_i32 s1, s10, 15
	v_lshrrev_b32_e32 v10, 16, v5
	s_ashr_i32 s2, s1, 31
	v_lshrrev_b32_e32 v11, 16, v6
	s_lshr_b32 s2, s2, 28
	v_lshrrev_b32_e32 v12, 16, v7
	v_lshrrev_b32_e32 v13, 16, v8
	;; [unrolled: 1-line block ×7, first 2 shown]
	v_and_b32_e32 v22, 7, v0
	s_add_i32 s11, s10, 3
	s_add_i32 s1, s1, s2
	s_ashr_i32 s2, s11, 31
	s_movk_i32 s0, 0x7c
	s_ashr_i32 s1, s1, 4
	s_lshr_b32 s2, s2, 30
	v_cvt_f32_f16_e32 v5, v5
	v_cvt_f32_f16_e32 v10, v10
	;; [unrolled: 1-line block ×16, first 2 shown]
	v_dual_mov_b32 v23, 0x43e00000 :: v_dual_lshlrev_b32 v18, 4, v0
	v_lshlrev_b32_e32 v19, 6, v0
	v_cmp_eq_u32_e32 vcc_lo, 31, v20
	v_and_or_b32 v20, v21, s0, 0x1000
	v_lshl_or_b32 v21, v22, 2, 0x1000
	v_cmp_eq_u32_e64 s0, 0, v0
	v_cmp_gt_u32_e64 s1, s1, v0
	v_mov_b32_e32 v0, 0
	v_mov_b32_e32 v22, 0xc3e00000
	s_add_i32 s11, s11, s2
	s_lshl_b32 s14, s10, 2
	s_mov_b32 s3, 0
	s_and_b32 s18, s11, -4
	s_mov_b32 s11, 0x76543210
	s_branch .LBB162_6
.LBB162_4:                              ;   in Loop: Header=BB162_6 Depth=1
	s_or_b32 exec_lo, exec_lo, s2
.LBB162_5:                              ;   in Loop: Header=BB162_6 Depth=1
	s_add_i32 s3, s3, 1
	s_add_i32 s20, s20, s8
	s_cmp_eq_u32 s9, s3
	s_cbranch_scc1 .LBB162_13
.LBB162_6:                              ; =>This Inner Loop Header: Depth=1
	s_waitcnt lgkmcnt(0)
	v_readlane_b32 s2, v9, s3
	s_delay_alu instid0(VALU_DEP_1)
	s_cmp_lt_i32 s2, 0
	s_cbranch_scc1 .LBB162_5
; %bb.7:                                ;   in Loop: Header=BB162_6 Depth=1
	s_mul_i32 s12, s2, s10
	s_delay_alu instid0(SALU_CYCLE_1) | instskip(NEXT) | instid1(SALU_CYCLE_1)
	s_ashr_i32 s13, s12, 31
	s_lshl_b64 s[12:13], s[12:13], 2
	s_delay_alu instid0(SALU_CYCLE_1) | instskip(SKIP_1) | instid1(SALU_CYCLE_1)
	s_add_u32 s12, s22, s12
	s_addc_u32 s2, s23, s13
	s_and_b32 s13, s2, 0xffff
	s_clause 0x3
	buffer_load_b128 v[24:27], v19, s[12:15], 0 offen
	buffer_load_b128 v[28:31], v19, s[12:15], 16 offen
	;; [unrolled: 1-line block ×4, first 2 shown]
	s_waitcnt vmcnt(3)
	v_dual_mul_f32 v38, v24, v5 :: v_dual_mul_f32 v39, v25, v10
	v_dual_mul_f32 v36, v26, v6 :: v_dual_mul_f32 v37, v27, v11
	s_waitcnt vmcnt(2)
	v_dual_mul_f32 v34, v28, v7 :: v_dual_mul_f32 v35, v29, v12
	s_delay_alu instid0(VALU_DEP_3) | instskip(SKIP_3) | instid1(VALU_DEP_3)
	v_max3_f32 v24, |v38|, 0x2edbe6ff, |v39|
	v_dual_mul_f32 v32, v30, v8 :: v_dual_mul_f32 v33, v31, v13
	s_waitcnt vmcnt(1)
	v_dual_mul_f32 v31, v40, v1 :: v_dual_mul_f32 v30, v41, v14
	v_max3_f32 v24, v24, |v36|, |v37|
	v_dual_mul_f32 v28, v42, v2 :: v_dual_mul_f32 v29, v43, v15
	s_waitcnt vmcnt(0)
	v_dual_mul_f32 v26, v44, v3 :: v_dual_mul_f32 v27, v45, v16
	s_delay_alu instid0(VALU_DEP_3) | instskip(SKIP_1) | instid1(VALU_DEP_2)
	v_max3_f32 v24, v24, |v34|, |v35|
	v_mul_f32_e32 v25, v47, v17
	v_max3_f32 v24, v24, |v32|, |v33|
	s_delay_alu instid0(VALU_DEP_1) | instskip(NEXT) | instid1(VALU_DEP_1)
	v_max3_f32 v24, v24, |v31|, |v30|
	v_max3_f32 v40, v24, |v28|, |v29|
	v_mul_f32_e32 v24, v46, v4
	s_delay_alu instid0(VALU_DEP_2) | instskip(NEXT) | instid1(VALU_DEP_1)
	v_max3_f32 v40, v40, |v26|, |v27|
	v_max3_f32 v40, v40, |v24|, |v25|
	s_delay_alu instid0(VALU_DEP_1) | instskip(NEXT) | instid1(VALU_DEP_1)
	v_mov_b32_dpp v41, v40 quad_perm:[1,0,3,2] row_mask:0xf bank_mask:0xf
	v_cmp_gt_f32_e64 s2, v40, v41
	s_delay_alu instid0(VALU_DEP_1) | instskip(NEXT) | instid1(VALU_DEP_1)
	v_cndmask_b32_e64 v40, v41, v40, s2
	v_mov_b32_dpp v41, v40 quad_perm:[2,3,0,1] row_mask:0xf bank_mask:0xf
	s_delay_alu instid0(VALU_DEP_1) | instskip(NEXT) | instid1(VALU_DEP_1)
	v_cmp_gt_f32_e64 s2, v40, v41
	v_cndmask_b32_e64 v40, v41, v40, s2
	s_delay_alu instid0(VALU_DEP_1) | instskip(NEXT) | instid1(VALU_DEP_1)
	v_mov_b32_dpp v41, v40 row_xmask:7 row_mask:0xf bank_mask:0xf
	v_cmp_gt_f32_e64 s2, v40, v41
	s_delay_alu instid0(VALU_DEP_1) | instskip(NEXT) | instid1(VALU_DEP_1)
	v_cndmask_b32_e64 v40, v41, v40, s2
	v_mov_b32_dpp v41, v40 row_xmask:15 row_mask:0xf bank_mask:0xf
	s_delay_alu instid0(VALU_DEP_1)
	v_cmp_gt_f32_e64 s2, v40, v41
	s_and_saveexec_b32 s12, vcc_lo
	s_cbranch_execz .LBB162_9
; %bb.8:                                ;   in Loop: Header=BB162_6 Depth=1
	s_delay_alu instid0(VALU_DEP_1) | instskip(NEXT) | instid1(VALU_DEP_1)
	v_cndmask_b32_e64 v40, v41, v40, s2
	v_permlanex16_b32 v41, v40, s11, 0xfedcba98 op_sel:[1,1]
	s_delay_alu instid0(VALU_DEP_1) | instskip(NEXT) | instid1(VALU_DEP_1)
	v_cmp_gt_f32_e64 s2, v40, v41
	v_cndmask_b32_e64 v40, v41, v40, s2
	ds_store_b32 v20, v40
.LBB162_9:                              ;   in Loop: Header=BB162_6 Depth=1
	s_or_b32 exec_lo, exec_lo, s12
	s_waitcnt lgkmcnt(0)
	s_waitcnt_vscnt null, 0x0
	s_barrier
	buffer_gl0_inv
	ds_load_b32 v40, v21
	s_waitcnt lgkmcnt(0)
	v_mov_b32_dpp v41, v40 quad_perm:[1,0,3,2] row_mask:0xf bank_mask:0xf
	s_delay_alu instid0(VALU_DEP_1) | instskip(NEXT) | instid1(VALU_DEP_1)
	v_cmp_gt_f32_e64 s2, v40, v41
	v_cndmask_b32_e64 v40, v41, v40, s2
	s_delay_alu instid0(VALU_DEP_1) | instskip(NEXT) | instid1(VALU_DEP_1)
	v_mov_b32_dpp v41, v40 quad_perm:[2,3,0,1] row_mask:0xf bank_mask:0xf
	v_cmp_gt_f32_e64 s2, v40, v41
	s_delay_alu instid0(VALU_DEP_1) | instskip(NEXT) | instid1(VALU_DEP_1)
	v_cndmask_b32_e64 v40, v41, v40, s2
	v_mov_b32_dpp v41, v40 row_xmask:7 row_mask:0xf bank_mask:0xf
	s_delay_alu instid0(VALU_DEP_1) | instskip(NEXT) | instid1(VALU_DEP_1)
	v_cmp_gt_f32_e64 s2, v40, v41
	v_cndmask_b32_e64 v40, v41, v40, s2
	s_delay_alu instid0(VALU_DEP_1)
	v_mul_f32_e32 v40, 0x3b124925, v40
	s_and_saveexec_b32 s2, s0
	s_cbranch_execz .LBB162_11
; %bb.10:                               ;   in Loop: Header=BB162_6 Depth=1
	s_ashr_i32 s21, s20, 31
	s_delay_alu instid0(SALU_CYCLE_1) | instskip(NEXT) | instid1(SALU_CYCLE_1)
	s_lshl_b64 s[12:13], s[20:21], 2
	s_add_u32 s12, s6, s12
	s_addc_u32 s13, s7, s13
	global_store_b32 v0, v40, s[12:13]
.LBB162_11:                             ;   in Loop: Header=BB162_6 Depth=1
	s_or_b32 exec_lo, exec_lo, s2
	s_and_saveexec_b32 s2, s1
	s_cbranch_execz .LBB162_4
; %bb.12:                               ;   in Loop: Header=BB162_6 Depth=1
	v_rcp_f32_e32 v40, v40
	s_mul_i32 s12, s20, s10
	s_mul_hi_i32 s13, s20, s10
	s_add_u32 s16, s4, s12
	s_addc_u32 s12, s5, s13
	s_mov_b32 s19, s15
	s_and_b32 s17, s12, 0xffff
	s_waitcnt_depctr 0xfff
	v_mul_f32_e32 v38, v38, v40
	v_mul_f32_e32 v39, v39, v40
	;; [unrolled: 1-line block ×5, first 2 shown]
	;;#ASMSTART
	v_med3_f32 v38, v38, v22, v23
v_med3_f32 v39, v39, v22, v23
v_cvt_pk_fp8_f32 v31, v38, v39
	;;#ASMEND
	;;#ASMSTART
	v_med3_f32 v36, v36, v22, v23
v_med3_f32 v37, v37, v22, v23
v_cvt_pk_fp8_f32 v38, v36, v37
	;;#ASMEND
	v_perm_b32 v36, v38, v31, 0x5040100
	v_mul_f32_e32 v34, v34, v40
	v_mul_f32_e32 v35, v35, v40
	v_mul_f32_e32 v32, v32, v40
	v_mul_f32_e32 v33, v33, v40
	v_mul_f32_e32 v37, v30, v40
	;;#ASMSTART
	v_med3_f32 v34, v34, v22, v23
v_med3_f32 v35, v35, v22, v23
v_cvt_pk_fp8_f32 v30, v34, v35
	;;#ASMEND
	;;#ASMSTART
	v_med3_f32 v32, v32, v22, v23
v_med3_f32 v33, v33, v22, v23
v_cvt_pk_fp8_f32 v31, v32, v33
	;;#ASMEND
	v_mul_f32_e32 v28, v28, v40
	v_mul_f32_e32 v29, v29, v40
	;; [unrolled: 1-line block ×4, first 2 shown]
	;;#ASMSTART
	v_med3_f32 v41, v41, v22, v23
v_med3_f32 v37, v37, v22, v23
v_cvt_pk_fp8_f32 v32, v41, v37
	;;#ASMEND
	;;#ASMSTART
	v_med3_f32 v28, v28, v22, v23
v_med3_f32 v29, v29, v22, v23
v_cvt_pk_fp8_f32 v33, v28, v29
	;;#ASMEND
	v_mul_f32_e32 v24, v24, v40
	v_mul_f32_e32 v25, v25, v40
	;;#ASMSTART
	v_med3_f32 v26, v26, v22, v23
v_med3_f32 v27, v27, v22, v23
v_cvt_pk_fp8_f32 v28, v26, v27
	;;#ASMEND
	v_perm_b32 v31, v30, v31, 0x1000504
	v_perm_b32 v30, v36, v38, 0x1060504
	;; [unrolled: 1-line block ×3, first 2 shown]
	;;#ASMSTART
	v_med3_f32 v24, v24, v22, v23
v_med3_f32 v25, v25, v22, v23
v_cvt_pk_fp8_f32 v26, v24, v25
	;;#ASMEND
	v_perm_b32 v33, v28, v26, 0x1000504
	buffer_store_b128 v[30:33], v18, s[16:19], 0 offen
	;;#ASMSTART
	s_nop 0
	;;#ASMEND
	s_branch .LBB162_4
.LBB162_13:
	s_nop 0
	s_sendmsg sendmsg(MSG_DEALLOC_VGPRS)
	s_endpgm
	.section	.rodata,"a",@progbits
	.p2align	6, 0x0
	.amdhsa_kernel _ZN5aiter43moe_smooth_per_token_scaled_quant_kernel_v1IDF16_DB8_Li256ELi16ELb1ELb1ELi1024EEEvPT0_PfPT_S4_PiS7_iiiii
		.amdhsa_group_segment_fixed_size 4128
		.amdhsa_private_segment_fixed_size 0
		.amdhsa_kernarg_size 68
		.amdhsa_user_sgpr_count 15
		.amdhsa_user_sgpr_dispatch_ptr 0
		.amdhsa_user_sgpr_queue_ptr 0
		.amdhsa_user_sgpr_kernarg_segment_ptr 1
		.amdhsa_user_sgpr_dispatch_id 0
		.amdhsa_user_sgpr_private_segment_size 0
		.amdhsa_wavefront_size32 1
		.amdhsa_uses_dynamic_stack 0
		.amdhsa_enable_private_segment 0
		.amdhsa_system_sgpr_workgroup_id_x 1
		.amdhsa_system_sgpr_workgroup_id_y 0
		.amdhsa_system_sgpr_workgroup_id_z 0
		.amdhsa_system_sgpr_workgroup_info 0
		.amdhsa_system_vgpr_workitem_id 0
		.amdhsa_next_free_vgpr 48
		.amdhsa_next_free_sgpr 24
		.amdhsa_reserve_vcc 1
		.amdhsa_float_round_mode_32 0
		.amdhsa_float_round_mode_16_64 0
		.amdhsa_float_denorm_mode_32 3
		.amdhsa_float_denorm_mode_16_64 3
		.amdhsa_dx10_clamp 1
		.amdhsa_ieee_mode 1
		.amdhsa_fp16_overflow 0
		.amdhsa_workgroup_processor_mode 1
		.amdhsa_memory_ordered 1
		.amdhsa_forward_progress 0
		.amdhsa_shared_vgpr_count 0
		.amdhsa_exception_fp_ieee_invalid_op 0
		.amdhsa_exception_fp_denorm_src 0
		.amdhsa_exception_fp_ieee_div_zero 0
		.amdhsa_exception_fp_ieee_overflow 0
		.amdhsa_exception_fp_ieee_underflow 0
		.amdhsa_exception_fp_ieee_inexact 0
		.amdhsa_exception_int_div_zero 0
	.end_amdhsa_kernel
	.section	.text._ZN5aiter43moe_smooth_per_token_scaled_quant_kernel_v1IDF16_DB8_Li256ELi16ELb1ELb1ELi1024EEEvPT0_PfPT_S4_PiS7_iiiii,"axG",@progbits,_ZN5aiter43moe_smooth_per_token_scaled_quant_kernel_v1IDF16_DB8_Li256ELi16ELb1ELb1ELi1024EEEvPT0_PfPT_S4_PiS7_iiiii,comdat
.Lfunc_end162:
	.size	_ZN5aiter43moe_smooth_per_token_scaled_quant_kernel_v1IDF16_DB8_Li256ELi16ELb1ELb1ELi1024EEEvPT0_PfPT_S4_PiS7_iiiii, .Lfunc_end162-_ZN5aiter43moe_smooth_per_token_scaled_quant_kernel_v1IDF16_DB8_Li256ELi16ELb1ELb1ELi1024EEEvPT0_PfPT_S4_PiS7_iiiii
                                        ; -- End function
	.section	.AMDGPU.csdata,"",@progbits
; Kernel info:
; codeLenInByte = 1896
; NumSgprs: 26
; NumVgprs: 48
; ScratchSize: 0
; MemoryBound: 0
; FloatMode: 240
; IeeeMode: 1
; LDSByteSize: 4128 bytes/workgroup (compile time only)
; SGPRBlocks: 3
; VGPRBlocks: 5
; NumSGPRsForWavesPerEU: 26
; NumVGPRsForWavesPerEU: 48
; Occupancy: 16
; WaveLimiterHint : 0
; COMPUTE_PGM_RSRC2:SCRATCH_EN: 0
; COMPUTE_PGM_RSRC2:USER_SGPR: 15
; COMPUTE_PGM_RSRC2:TRAP_HANDLER: 0
; COMPUTE_PGM_RSRC2:TGID_X_EN: 1
; COMPUTE_PGM_RSRC2:TGID_Y_EN: 0
; COMPUTE_PGM_RSRC2:TGID_Z_EN: 0
; COMPUTE_PGM_RSRC2:TIDIG_COMP_CNT: 0
	.section	.text._ZN5aiter43moe_smooth_per_token_scaled_quant_kernel_v1ItDB8_Li256ELi16ELb1ELb1ELi1024EEEvPT0_PfPT_S4_PiS7_iiiii,"axG",@progbits,_ZN5aiter43moe_smooth_per_token_scaled_quant_kernel_v1ItDB8_Li256ELi16ELb1ELb1ELi1024EEEvPT0_PfPT_S4_PiS7_iiiii,comdat
	.protected	_ZN5aiter43moe_smooth_per_token_scaled_quant_kernel_v1ItDB8_Li256ELi16ELb1ELb1ELi1024EEEvPT0_PfPT_S4_PiS7_iiiii ; -- Begin function _ZN5aiter43moe_smooth_per_token_scaled_quant_kernel_v1ItDB8_Li256ELi16ELb1ELb1ELi1024EEEvPT0_PfPT_S4_PiS7_iiiii
	.globl	_ZN5aiter43moe_smooth_per_token_scaled_quant_kernel_v1ItDB8_Li256ELi16ELb1ELb1ELi1024EEEvPT0_PfPT_S4_PiS7_iiiii
	.p2align	8
	.type	_ZN5aiter43moe_smooth_per_token_scaled_quant_kernel_v1ItDB8_Li256ELi16ELb1ELb1ELi1024EEEvPT0_PfPT_S4_PiS7_iiiii,@function
_ZN5aiter43moe_smooth_per_token_scaled_quant_kernel_v1ItDB8_Li256ELi16ELb1ELb1ELi1024EEEvPT0_PfPT_S4_PiS7_iiiii: ; @_ZN5aiter43moe_smooth_per_token_scaled_quant_kernel_v1ItDB8_Li256ELi16ELb1ELb1ELi1024EEEvPT0_PfPT_S4_PiS7_iiiii
; %bb.0:
	s_clause 0x2
	s_load_b32 s18, s[0:1], 0x40
	s_load_b256 s[4:11], s[0:1], 0x20
	s_load_b64 s[2:3], s[0:1], 0x10
	s_mov_b32 s20, s15
	v_and_b32_e32 v20, 31, v0
	v_lshlrev_b32_e32 v10, 2, v0
	s_mov_b32 s15, -1
	s_delay_alu instid0(VALU_DEP_2)
	v_lshlrev_b32_e32 v1, 2, v20
	s_waitcnt lgkmcnt(0)
	s_lshl_b32 s14, s18, 2
	s_mul_i32 s16, s20, s9
	s_and_b32 s13, s7, 0xffff
	s_ashr_i32 s17, s16, 31
	s_mov_b32 s12, s6
	s_lshl_b64 s[16:17], s[16:17], 2
	s_clause 0x3
	buffer_load_b32 v11, v10, s[12:15], 0 offen
	buffer_load_b32 v12, v10, s[12:15], 0 offen offset:1024
	buffer_load_b32 v13, v10, s[12:15], 0 offen offset:2048
	;; [unrolled: 1-line block ×3, first 2 shown]
	s_add_u32 s12, s4, s16
	s_addc_u32 s4, s5, s17
	s_lshl_b32 s14, s9, 2
	s_and_b32 s13, s4, 0xffff
	s_mul_hi_i32 s7, s11, s20
	s_mul_i32 s6, s11, s20
	buffer_load_b32 v9, v1, s[12:15], 0 offen
	s_lshl_b64 s[4:5], s[6:7], 1
	v_lshlrev_b32_e32 v1, 5, v0
	s_add_u32 s12, s2, s4
	s_addc_u32 s2, s3, s5
	s_lshl_b32 s14, s10, 1
	s_and_b32 s13, s2, 0xffff
	s_clause 0x1
	buffer_load_b128 v[5:8], v1, s[12:15], 0 offen
	buffer_load_b128 v[1:4], v1, s[12:15], 16 offen
	v_cmp_gt_i32_e32 vcc_lo, s9, v20
	s_waitcnt vmcnt(5)
	ds_store_2addr_stride64_b32 v10, v11, v12 offset1:4
	s_waitcnt vmcnt(3)
	ds_store_2addr_stride64_b32 v10, v13, v14 offset0:8 offset1:12
	s_waitcnt vmcnt(0) expcnt(2) lgkmcnt(0)
	s_barrier
	buffer_gl0_inv
	v_cmp_gt_i32_e64 s2, s18, v9
	v_cmp_lt_i32_e64 s3, -1, v9
	s_delay_alu instid0(VALU_DEP_2)
	s_and_b32 s2, vcc_lo, s2
	s_delay_alu instid0(VALU_DEP_1) | instid1(SALU_CYCLE_1)
	s_and_b32 s3, s2, s3
	s_delay_alu instid0(SALU_CYCLE_1)
	s_and_saveexec_b32 s2, s3
	s_cbranch_execz .LBB163_2
; %bb.1:
	v_lshlrev_b32_e32 v9, 2, v9
	ds_load_b32 v9, v9
.LBB163_2:
	s_or_b32 exec_lo, exec_lo, s2
	s_cmp_lt_i32 s9, 1
	s_cbranch_scc1 .LBB163_13
; %bb.3:
	v_and_b32_e32 v10, 0xffff, v5
	s_clause 0x1
	s_load_b128 s[4:7], s[0:1], 0x0
	s_load_b64 s[22:23], s[0:1], 0x18
	v_lshrrev_b32_e32 v11, 16, v5
	v_and_b32_e32 v12, 0xffff, v6
	v_and_b32_e32 v13, 0xffff, v7
	v_lshrrev_b32_e32 v14, 16, v7
	v_cvt_f32_u32_e32 v5, v10
	v_lshrrev_b32_e32 v10, 16, v6
	v_cvt_f32_u32_e32 v6, v11
	v_cvt_f32_u32_e32 v7, v12
	;; [unrolled: 1-line block ×4, first 2 shown]
	v_and_b32_e32 v13, 0xffff, v8
	v_and_b32_e32 v14, 0xffff, v1
	v_lshrrev_b32_e32 v15, 16, v1
	v_and_b32_e32 v16, 0xffff, v2
	s_add_i32 s1, s10, 15
	v_lshrrev_b32_e32 v8, 16, v8
	s_ashr_i32 s2, s1, 31
	v_cvt_f32_u32_e32 v1, v13
	s_lshr_b32 s2, s2, 28
	v_cvt_f32_u32_e32 v13, v14
	v_cvt_f32_u32_e32 v14, v15
	;; [unrolled: 1-line block ×3, first 2 shown]
	v_lshrrev_b32_e32 v2, 16, v2
	v_and_b32_e32 v16, 0xffff, v3
	v_lshrrev_b32_e32 v17, 16, v3
	v_and_b32_e32 v18, 0xffff, v4
	v_lshrrev_b32_e32 v19, 16, v4
	v_lshrrev_b32_e32 v21, 3, v0
	v_and_b32_e32 v22, 7, v0
	s_add_i32 s11, s10, 3
	s_add_i32 s1, s1, s2
	s_ashr_i32 s2, s11, 31
	s_movk_i32 s0, 0x7c
	s_ashr_i32 s1, s1, 4
	s_lshr_b32 s2, s2, 30
	v_cvt_f32_u32_e32 v10, v10
	v_cvt_f32_u32_e32 v8, v8
	;; [unrolled: 1-line block ×7, first 2 shown]
	v_dual_mov_b32 v23, 0x43e00000 :: v_dual_lshlrev_b32 v18, 4, v0
	v_lshlrev_b32_e32 v19, 6, v0
	v_cmp_eq_u32_e32 vcc_lo, 31, v20
	v_and_or_b32 v20, v21, s0, 0x1000
	v_lshl_or_b32 v21, v22, 2, 0x1000
	v_mov_b32_e32 v22, 0xc3e00000
	v_cmp_eq_u32_e64 s0, 0, v0
	v_cmp_gt_u32_e64 s1, s1, v0
	v_mov_b32_e32 v0, 0
	s_add_i32 s11, s11, s2
	s_lshl_b32 s14, s10, 2
	s_mov_b32 s3, 0
	s_and_b32 s18, s11, -4
	s_mov_b32 s11, 0x76543210
	s_branch .LBB163_6
.LBB163_4:                              ;   in Loop: Header=BB163_6 Depth=1
	s_or_b32 exec_lo, exec_lo, s2
.LBB163_5:                              ;   in Loop: Header=BB163_6 Depth=1
	s_add_i32 s3, s3, 1
	s_add_i32 s20, s20, s8
	s_cmp_eq_u32 s9, s3
	s_cbranch_scc1 .LBB163_13
.LBB163_6:                              ; =>This Inner Loop Header: Depth=1
	s_waitcnt lgkmcnt(0)
	v_readlane_b32 s2, v9, s3
	s_delay_alu instid0(VALU_DEP_1)
	s_cmp_lt_i32 s2, 0
	s_cbranch_scc1 .LBB163_5
; %bb.7:                                ;   in Loop: Header=BB163_6 Depth=1
	s_mul_i32 s12, s2, s10
	s_delay_alu instid0(SALU_CYCLE_1) | instskip(NEXT) | instid1(SALU_CYCLE_1)
	s_ashr_i32 s13, s12, 31
	s_lshl_b64 s[12:13], s[12:13], 2
	s_delay_alu instid0(SALU_CYCLE_1) | instskip(SKIP_1) | instid1(SALU_CYCLE_1)
	s_add_u32 s12, s22, s12
	s_addc_u32 s2, s23, s13
	s_and_b32 s13, s2, 0xffff
	s_clause 0x3
	buffer_load_b128 v[24:27], v19, s[12:15], 0 offen
	buffer_load_b128 v[28:31], v19, s[12:15], 16 offen
	buffer_load_b128 v[40:43], v19, s[12:15], 32 offen
	buffer_load_b128 v[44:47], v19, s[12:15], 48 offen
	s_waitcnt vmcnt(3)
	v_dual_mul_f32 v38, v24, v5 :: v_dual_mul_f32 v39, v25, v6
	v_dual_mul_f32 v36, v26, v7 :: v_dual_mul_f32 v37, v27, v10
	s_waitcnt vmcnt(2)
	v_dual_mul_f32 v34, v28, v11 :: v_dual_mul_f32 v35, v29, v12
	s_delay_alu instid0(VALU_DEP_3) | instskip(SKIP_3) | instid1(VALU_DEP_3)
	v_max3_f32 v24, |v38|, 0x2edbe6ff, |v39|
	v_dual_mul_f32 v32, v30, v1 :: v_dual_mul_f32 v33, v31, v8
	s_waitcnt vmcnt(1)
	v_dual_mul_f32 v31, v40, v13 :: v_dual_mul_f32 v30, v41, v14
	v_max3_f32 v24, v24, |v36|, |v37|
	v_dual_mul_f32 v28, v42, v15 :: v_dual_mul_f32 v29, v43, v2
	s_waitcnt vmcnt(0)
	v_dual_mul_f32 v26, v44, v3 :: v_dual_mul_f32 v27, v45, v4
	s_delay_alu instid0(VALU_DEP_3) | instskip(SKIP_1) | instid1(VALU_DEP_2)
	v_max3_f32 v24, v24, |v34|, |v35|
	v_mul_f32_e32 v25, v47, v17
	v_max3_f32 v24, v24, |v32|, |v33|
	s_delay_alu instid0(VALU_DEP_1) | instskip(NEXT) | instid1(VALU_DEP_1)
	v_max3_f32 v24, v24, |v31|, |v30|
	v_max3_f32 v40, v24, |v28|, |v29|
	v_mul_f32_e32 v24, v46, v16
	s_delay_alu instid0(VALU_DEP_2) | instskip(NEXT) | instid1(VALU_DEP_1)
	v_max3_f32 v40, v40, |v26|, |v27|
	v_max3_f32 v40, v40, |v24|, |v25|
	s_delay_alu instid0(VALU_DEP_1) | instskip(NEXT) | instid1(VALU_DEP_1)
	v_mov_b32_dpp v41, v40 quad_perm:[1,0,3,2] row_mask:0xf bank_mask:0xf
	v_cmp_gt_f32_e64 s2, v40, v41
	s_delay_alu instid0(VALU_DEP_1) | instskip(NEXT) | instid1(VALU_DEP_1)
	v_cndmask_b32_e64 v40, v41, v40, s2
	v_mov_b32_dpp v41, v40 quad_perm:[2,3,0,1] row_mask:0xf bank_mask:0xf
	s_delay_alu instid0(VALU_DEP_1) | instskip(NEXT) | instid1(VALU_DEP_1)
	v_cmp_gt_f32_e64 s2, v40, v41
	v_cndmask_b32_e64 v40, v41, v40, s2
	s_delay_alu instid0(VALU_DEP_1) | instskip(NEXT) | instid1(VALU_DEP_1)
	v_mov_b32_dpp v41, v40 row_xmask:7 row_mask:0xf bank_mask:0xf
	v_cmp_gt_f32_e64 s2, v40, v41
	s_delay_alu instid0(VALU_DEP_1) | instskip(NEXT) | instid1(VALU_DEP_1)
	v_cndmask_b32_e64 v40, v41, v40, s2
	v_mov_b32_dpp v41, v40 row_xmask:15 row_mask:0xf bank_mask:0xf
	s_delay_alu instid0(VALU_DEP_1)
	v_cmp_gt_f32_e64 s2, v40, v41
	s_and_saveexec_b32 s12, vcc_lo
	s_cbranch_execz .LBB163_9
; %bb.8:                                ;   in Loop: Header=BB163_6 Depth=1
	s_delay_alu instid0(VALU_DEP_1) | instskip(NEXT) | instid1(VALU_DEP_1)
	v_cndmask_b32_e64 v40, v41, v40, s2
	v_permlanex16_b32 v41, v40, s11, 0xfedcba98 op_sel:[1,1]
	s_delay_alu instid0(VALU_DEP_1) | instskip(NEXT) | instid1(VALU_DEP_1)
	v_cmp_gt_f32_e64 s2, v40, v41
	v_cndmask_b32_e64 v40, v41, v40, s2
	ds_store_b32 v20, v40
.LBB163_9:                              ;   in Loop: Header=BB163_6 Depth=1
	s_or_b32 exec_lo, exec_lo, s12
	s_waitcnt lgkmcnt(0)
	s_waitcnt_vscnt null, 0x0
	s_barrier
	buffer_gl0_inv
	ds_load_b32 v40, v21
	s_waitcnt lgkmcnt(0)
	v_mov_b32_dpp v41, v40 quad_perm:[1,0,3,2] row_mask:0xf bank_mask:0xf
	s_delay_alu instid0(VALU_DEP_1) | instskip(NEXT) | instid1(VALU_DEP_1)
	v_cmp_gt_f32_e64 s2, v40, v41
	v_cndmask_b32_e64 v40, v41, v40, s2
	s_delay_alu instid0(VALU_DEP_1) | instskip(NEXT) | instid1(VALU_DEP_1)
	v_mov_b32_dpp v41, v40 quad_perm:[2,3,0,1] row_mask:0xf bank_mask:0xf
	v_cmp_gt_f32_e64 s2, v40, v41
	s_delay_alu instid0(VALU_DEP_1) | instskip(NEXT) | instid1(VALU_DEP_1)
	v_cndmask_b32_e64 v40, v41, v40, s2
	v_mov_b32_dpp v41, v40 row_xmask:7 row_mask:0xf bank_mask:0xf
	s_delay_alu instid0(VALU_DEP_1) | instskip(NEXT) | instid1(VALU_DEP_1)
	v_cmp_gt_f32_e64 s2, v40, v41
	v_cndmask_b32_e64 v40, v41, v40, s2
	s_delay_alu instid0(VALU_DEP_1)
	v_mul_f32_e32 v40, 0x3b124925, v40
	s_and_saveexec_b32 s2, s0
	s_cbranch_execz .LBB163_11
; %bb.10:                               ;   in Loop: Header=BB163_6 Depth=1
	s_ashr_i32 s21, s20, 31
	s_delay_alu instid0(SALU_CYCLE_1) | instskip(NEXT) | instid1(SALU_CYCLE_1)
	s_lshl_b64 s[12:13], s[20:21], 2
	s_add_u32 s12, s6, s12
	s_addc_u32 s13, s7, s13
	global_store_b32 v0, v40, s[12:13]
.LBB163_11:                             ;   in Loop: Header=BB163_6 Depth=1
	s_or_b32 exec_lo, exec_lo, s2
	s_and_saveexec_b32 s2, s1
	s_cbranch_execz .LBB163_4
; %bb.12:                               ;   in Loop: Header=BB163_6 Depth=1
	v_rcp_f32_e32 v40, v40
	s_mul_i32 s12, s20, s10
	s_mul_hi_i32 s13, s20, s10
	s_add_u32 s16, s4, s12
	s_addc_u32 s12, s5, s13
	s_mov_b32 s19, s15
	s_and_b32 s17, s12, 0xffff
	s_waitcnt_depctr 0xfff
	v_mul_f32_e32 v38, v38, v40
	v_mul_f32_e32 v39, v39, v40
	v_mul_f32_e32 v36, v36, v40
	v_mul_f32_e32 v37, v37, v40
	v_mul_f32_e32 v41, v31, v40
	;;#ASMSTART
	v_med3_f32 v38, v38, v22, v23
v_med3_f32 v39, v39, v22, v23
v_cvt_pk_fp8_f32 v31, v38, v39
	;;#ASMEND
	;;#ASMSTART
	v_med3_f32 v36, v36, v22, v23
v_med3_f32 v37, v37, v22, v23
v_cvt_pk_fp8_f32 v38, v36, v37
	;;#ASMEND
	v_perm_b32 v36, v38, v31, 0x5040100
	v_mul_f32_e32 v34, v34, v40
	v_mul_f32_e32 v35, v35, v40
	;; [unrolled: 1-line block ×5, first 2 shown]
	;;#ASMSTART
	v_med3_f32 v34, v34, v22, v23
v_med3_f32 v35, v35, v22, v23
v_cvt_pk_fp8_f32 v30, v34, v35
	;;#ASMEND
	;;#ASMSTART
	v_med3_f32 v32, v32, v22, v23
v_med3_f32 v33, v33, v22, v23
v_cvt_pk_fp8_f32 v31, v32, v33
	;;#ASMEND
	v_mul_f32_e32 v28, v28, v40
	v_mul_f32_e32 v29, v29, v40
	;; [unrolled: 1-line block ×4, first 2 shown]
	;;#ASMSTART
	v_med3_f32 v41, v41, v22, v23
v_med3_f32 v37, v37, v22, v23
v_cvt_pk_fp8_f32 v32, v41, v37
	;;#ASMEND
	;;#ASMSTART
	v_med3_f32 v28, v28, v22, v23
v_med3_f32 v29, v29, v22, v23
v_cvt_pk_fp8_f32 v33, v28, v29
	;;#ASMEND
	v_mul_f32_e32 v24, v24, v40
	v_mul_f32_e32 v25, v25, v40
	;;#ASMSTART
	v_med3_f32 v26, v26, v22, v23
v_med3_f32 v27, v27, v22, v23
v_cvt_pk_fp8_f32 v28, v26, v27
	;;#ASMEND
	v_perm_b32 v31, v30, v31, 0x1000504
	v_perm_b32 v30, v36, v38, 0x1060504
	;; [unrolled: 1-line block ×3, first 2 shown]
	;;#ASMSTART
	v_med3_f32 v24, v24, v22, v23
v_med3_f32 v25, v25, v22, v23
v_cvt_pk_fp8_f32 v26, v24, v25
	;;#ASMEND
	v_perm_b32 v33, v28, v26, 0x1000504
	buffer_store_b128 v[30:33], v18, s[16:19], 0 offen
	;;#ASMSTART
	s_nop 0
	;;#ASMEND
	s_branch .LBB163_4
.LBB163_13:
	s_nop 0
	s_sendmsg sendmsg(MSG_DEALLOC_VGPRS)
	s_endpgm
	.section	.rodata,"a",@progbits
	.p2align	6, 0x0
	.amdhsa_kernel _ZN5aiter43moe_smooth_per_token_scaled_quant_kernel_v1ItDB8_Li256ELi16ELb1ELb1ELi1024EEEvPT0_PfPT_S4_PiS7_iiiii
		.amdhsa_group_segment_fixed_size 4128
		.amdhsa_private_segment_fixed_size 0
		.amdhsa_kernarg_size 68
		.amdhsa_user_sgpr_count 15
		.amdhsa_user_sgpr_dispatch_ptr 0
		.amdhsa_user_sgpr_queue_ptr 0
		.amdhsa_user_sgpr_kernarg_segment_ptr 1
		.amdhsa_user_sgpr_dispatch_id 0
		.amdhsa_user_sgpr_private_segment_size 0
		.amdhsa_wavefront_size32 1
		.amdhsa_uses_dynamic_stack 0
		.amdhsa_enable_private_segment 0
		.amdhsa_system_sgpr_workgroup_id_x 1
		.amdhsa_system_sgpr_workgroup_id_y 0
		.amdhsa_system_sgpr_workgroup_id_z 0
		.amdhsa_system_sgpr_workgroup_info 0
		.amdhsa_system_vgpr_workitem_id 0
		.amdhsa_next_free_vgpr 48
		.amdhsa_next_free_sgpr 24
		.amdhsa_reserve_vcc 1
		.amdhsa_float_round_mode_32 0
		.amdhsa_float_round_mode_16_64 0
		.amdhsa_float_denorm_mode_32 3
		.amdhsa_float_denorm_mode_16_64 3
		.amdhsa_dx10_clamp 1
		.amdhsa_ieee_mode 1
		.amdhsa_fp16_overflow 0
		.amdhsa_workgroup_processor_mode 1
		.amdhsa_memory_ordered 1
		.amdhsa_forward_progress 0
		.amdhsa_shared_vgpr_count 0
		.amdhsa_exception_fp_ieee_invalid_op 0
		.amdhsa_exception_fp_denorm_src 0
		.amdhsa_exception_fp_ieee_div_zero 0
		.amdhsa_exception_fp_ieee_overflow 0
		.amdhsa_exception_fp_ieee_underflow 0
		.amdhsa_exception_fp_ieee_inexact 0
		.amdhsa_exception_int_div_zero 0
	.end_amdhsa_kernel
	.section	.text._ZN5aiter43moe_smooth_per_token_scaled_quant_kernel_v1ItDB8_Li256ELi16ELb1ELb1ELi1024EEEvPT0_PfPT_S4_PiS7_iiiii,"axG",@progbits,_ZN5aiter43moe_smooth_per_token_scaled_quant_kernel_v1ItDB8_Li256ELi16ELb1ELb1ELi1024EEEvPT0_PfPT_S4_PiS7_iiiii,comdat
.Lfunc_end163:
	.size	_ZN5aiter43moe_smooth_per_token_scaled_quant_kernel_v1ItDB8_Li256ELi16ELb1ELb1ELi1024EEEvPT0_PfPT_S4_PiS7_iiiii, .Lfunc_end163-_ZN5aiter43moe_smooth_per_token_scaled_quant_kernel_v1ItDB8_Li256ELi16ELb1ELb1ELi1024EEEvPT0_PfPT_S4_PiS7_iiiii
                                        ; -- End function
	.section	.AMDGPU.csdata,"",@progbits
; Kernel info:
; codeLenInByte = 1960
; NumSgprs: 26
; NumVgprs: 48
; ScratchSize: 0
; MemoryBound: 0
; FloatMode: 240
; IeeeMode: 1
; LDSByteSize: 4128 bytes/workgroup (compile time only)
; SGPRBlocks: 3
; VGPRBlocks: 5
; NumSGPRsForWavesPerEU: 26
; NumVGPRsForWavesPerEU: 48
; Occupancy: 16
; WaveLimiterHint : 0
; COMPUTE_PGM_RSRC2:SCRATCH_EN: 0
; COMPUTE_PGM_RSRC2:USER_SGPR: 15
; COMPUTE_PGM_RSRC2:TRAP_HANDLER: 0
; COMPUTE_PGM_RSRC2:TGID_X_EN: 1
; COMPUTE_PGM_RSRC2:TGID_Y_EN: 0
; COMPUTE_PGM_RSRC2:TGID_Z_EN: 0
; COMPUTE_PGM_RSRC2:TIDIG_COMP_CNT: 0
	.section	.text._ZN5aiter43moe_smooth_per_token_scaled_quant_kernel_v1IDF16_DB8_Li256ELi16ELb1ELb0ELi1024EEEvPT0_PfPT_S4_PiS7_iiiii,"axG",@progbits,_ZN5aiter43moe_smooth_per_token_scaled_quant_kernel_v1IDF16_DB8_Li256ELi16ELb1ELb0ELi1024EEEvPT0_PfPT_S4_PiS7_iiiii,comdat
	.protected	_ZN5aiter43moe_smooth_per_token_scaled_quant_kernel_v1IDF16_DB8_Li256ELi16ELb1ELb0ELi1024EEEvPT0_PfPT_S4_PiS7_iiiii ; -- Begin function _ZN5aiter43moe_smooth_per_token_scaled_quant_kernel_v1IDF16_DB8_Li256ELi16ELb1ELb0ELi1024EEEvPT0_PfPT_S4_PiS7_iiiii
	.globl	_ZN5aiter43moe_smooth_per_token_scaled_quant_kernel_v1IDF16_DB8_Li256ELi16ELb1ELb0ELi1024EEEvPT0_PfPT_S4_PiS7_iiiii
	.p2align	8
	.type	_ZN5aiter43moe_smooth_per_token_scaled_quant_kernel_v1IDF16_DB8_Li256ELi16ELb1ELb0ELi1024EEEvPT0_PfPT_S4_PiS7_iiiii,@function
_ZN5aiter43moe_smooth_per_token_scaled_quant_kernel_v1IDF16_DB8_Li256ELi16ELb1ELb0ELi1024EEEvPT0_PfPT_S4_PiS7_iiiii: ; @_ZN5aiter43moe_smooth_per_token_scaled_quant_kernel_v1IDF16_DB8_Li256ELi16ELb1ELb0ELi1024EEEvPT0_PfPT_S4_PiS7_iiiii
; %bb.0:
	s_clause 0x2
	s_load_b128 s[4:7], s[0:1], 0x30
	s_load_b64 s[2:3], s[0:1], 0x20
	s_load_b64 s[12:13], s[0:1], 0x10
	v_and_b32_e32 v20, 31, v0
	s_mov_b32 s20, s15
	s_mov_b32 s11, -1
	v_lshlrev_b32_e32 v1, 5, v0
	s_delay_alu instid0(VALU_DEP_2)
	v_lshlrev_b32_e32 v2, 2, v20
	s_waitcnt lgkmcnt(0)
	s_mul_i32 s8, s15, s5
	s_mul_hi_i32 s15, s7, s15
	s_ashr_i32 s9, s8, 31
	s_mul_i32 s14, s7, s20
	s_lshl_b64 s[8:9], s[8:9], 2
	s_delay_alu instid0(SALU_CYCLE_1)
	s_add_u32 s8, s2, s8
	s_addc_u32 s2, s3, s9
	s_lshl_b32 s10, s5, 2
	s_and_b32 s9, s2, 0xffff
	s_lshl_b64 s[2:3], s[14:15], 1
	buffer_load_b32 v9, v2, s[8:11], 0 offen
	s_add_u32 s8, s12, s2
	s_addc_u32 s2, s13, s3
	s_lshl_b32 s10, s6, 1
	s_and_b32 s9, s2, 0xffff
	s_clause 0x1
	buffer_load_b128 v[5:8], v1, s[8:11], 0 offen
	buffer_load_b128 v[1:4], v1, s[8:11], 16 offen
	s_mov_b32 s3, 0
	s_cmp_lt_i32 s5, 1
	s_waitcnt vmcnt(0) expcnt(2) lgkmcnt(55)
	s_barrier
	buffer_gl0_inv
	s_cbranch_scc1 .LBB164_11
; %bb.1:
	s_clause 0x1
	s_load_b128 s[12:15], s[0:1], 0x0
	s_load_b64 s[22:23], s[0:1], 0x18
	s_add_i32 s1, s6, 15
	v_lshrrev_b32_e32 v10, 16, v5
	s_ashr_i32 s2, s1, 31
	v_lshrrev_b32_e32 v11, 16, v6
	s_lshr_b32 s2, s2, 28
	v_lshrrev_b32_e32 v12, 16, v7
	v_lshrrev_b32_e32 v13, 16, v8
	;; [unrolled: 1-line block ×7, first 2 shown]
	v_and_b32_e32 v22, 7, v0
	s_add_i32 s7, s6, 3
	s_add_i32 s1, s1, s2
	s_ashr_i32 s2, s7, 31
	s_ashr_i32 s1, s1, 4
	s_lshr_b32 s2, s2, 30
	v_cvt_f32_f16_e32 v5, v5
	v_cvt_f32_f16_e32 v10, v10
	;; [unrolled: 1-line block ×16, first 2 shown]
	v_dual_mov_b32 v23, 0x43e00000 :: v_dual_lshlrev_b32 v18, 4, v0
	v_lshlrev_b32_e32 v19, 6, v0
	v_cmp_eq_u32_e32 vcc_lo, 31, v20
	v_and_b32_e32 v20, 0x7c, v21
	v_dual_mov_b32 v22, 0xc3e00000 :: v_dual_lshlrev_b32 v21, 2, v22
	v_cmp_eq_u32_e64 s0, 0, v0
	v_cmp_gt_u32_e64 s1, s1, v0
	v_mov_b32_e32 v0, 0
	s_add_i32 s7, s7, s2
	s_lshl_b32 s10, s6, 2
	s_and_b32 s18, s7, -4
	s_mov_b32 s7, 0x76543210
	s_branch .LBB164_4
.LBB164_2:                              ;   in Loop: Header=BB164_4 Depth=1
	s_or_b32 exec_lo, exec_lo, s2
.LBB164_3:                              ;   in Loop: Header=BB164_4 Depth=1
	s_add_i32 s3, s3, 1
	s_add_i32 s20, s20, s4
	s_cmp_eq_u32 s5, s3
	s_cbranch_scc1 .LBB164_11
.LBB164_4:                              ; =>This Inner Loop Header: Depth=1
	v_readlane_b32 s2, v9, s3
	s_delay_alu instid0(VALU_DEP_1)
	s_cmp_lt_i32 s2, 0
	s_cbranch_scc1 .LBB164_3
; %bb.5:                                ;   in Loop: Header=BB164_4 Depth=1
	s_mul_i32 s8, s2, s6
	s_delay_alu instid0(SALU_CYCLE_1) | instskip(NEXT) | instid1(SALU_CYCLE_1)
	s_ashr_i32 s9, s8, 31
	s_lshl_b64 s[8:9], s[8:9], 2
	s_waitcnt lgkmcnt(0)
	s_add_u32 s8, s22, s8
	s_addc_u32 s2, s23, s9
	s_delay_alu instid0(SALU_CYCLE_1)
	s_and_b32 s9, s2, 0xffff
	s_clause 0x3
	buffer_load_b128 v[24:27], v19, s[8:11], 0 offen
	buffer_load_b128 v[28:31], v19, s[8:11], 16 offen
	;; [unrolled: 1-line block ×4, first 2 shown]
	s_waitcnt vmcnt(3)
	v_dual_mul_f32 v38, v24, v5 :: v_dual_mul_f32 v39, v25, v10
	v_dual_mul_f32 v36, v26, v6 :: v_dual_mul_f32 v37, v27, v11
	s_waitcnt vmcnt(2)
	v_dual_mul_f32 v34, v28, v7 :: v_dual_mul_f32 v35, v29, v12
	s_delay_alu instid0(VALU_DEP_3) | instskip(SKIP_3) | instid1(VALU_DEP_3)
	v_max3_f32 v24, |v38|, 0x2edbe6ff, |v39|
	v_dual_mul_f32 v32, v30, v8 :: v_dual_mul_f32 v33, v31, v13
	s_waitcnt vmcnt(1)
	v_dual_mul_f32 v31, v40, v1 :: v_dual_mul_f32 v30, v41, v14
	v_max3_f32 v24, v24, |v36|, |v37|
	v_dual_mul_f32 v28, v42, v2 :: v_dual_mul_f32 v29, v43, v15
	s_waitcnt vmcnt(0)
	v_dual_mul_f32 v26, v44, v3 :: v_dual_mul_f32 v27, v45, v16
	s_delay_alu instid0(VALU_DEP_3) | instskip(SKIP_1) | instid1(VALU_DEP_2)
	v_max3_f32 v24, v24, |v34|, |v35|
	v_mul_f32_e32 v25, v47, v17
	v_max3_f32 v24, v24, |v32|, |v33|
	s_delay_alu instid0(VALU_DEP_1) | instskip(NEXT) | instid1(VALU_DEP_1)
	v_max3_f32 v24, v24, |v31|, |v30|
	v_max3_f32 v40, v24, |v28|, |v29|
	v_mul_f32_e32 v24, v46, v4
	s_delay_alu instid0(VALU_DEP_2) | instskip(NEXT) | instid1(VALU_DEP_1)
	v_max3_f32 v40, v40, |v26|, |v27|
	v_max3_f32 v40, v40, |v24|, |v25|
	s_delay_alu instid0(VALU_DEP_1) | instskip(NEXT) | instid1(VALU_DEP_1)
	v_mov_b32_dpp v41, v40 quad_perm:[1,0,3,2] row_mask:0xf bank_mask:0xf
	v_cmp_gt_f32_e64 s2, v40, v41
	s_delay_alu instid0(VALU_DEP_1) | instskip(NEXT) | instid1(VALU_DEP_1)
	v_cndmask_b32_e64 v40, v41, v40, s2
	v_mov_b32_dpp v41, v40 quad_perm:[2,3,0,1] row_mask:0xf bank_mask:0xf
	s_delay_alu instid0(VALU_DEP_1) | instskip(NEXT) | instid1(VALU_DEP_1)
	v_cmp_gt_f32_e64 s2, v40, v41
	v_cndmask_b32_e64 v40, v41, v40, s2
	s_delay_alu instid0(VALU_DEP_1) | instskip(NEXT) | instid1(VALU_DEP_1)
	v_mov_b32_dpp v41, v40 row_xmask:7 row_mask:0xf bank_mask:0xf
	v_cmp_gt_f32_e64 s2, v40, v41
	s_delay_alu instid0(VALU_DEP_1) | instskip(NEXT) | instid1(VALU_DEP_1)
	v_cndmask_b32_e64 v40, v41, v40, s2
	v_mov_b32_dpp v41, v40 row_xmask:15 row_mask:0xf bank_mask:0xf
	s_delay_alu instid0(VALU_DEP_1)
	v_cmp_gt_f32_e64 s2, v40, v41
	s_and_saveexec_b32 s8, vcc_lo
	s_cbranch_execz .LBB164_7
; %bb.6:                                ;   in Loop: Header=BB164_4 Depth=1
	s_delay_alu instid0(VALU_DEP_1) | instskip(NEXT) | instid1(VALU_DEP_1)
	v_cndmask_b32_e64 v40, v41, v40, s2
	v_permlanex16_b32 v41, v40, s7, 0xfedcba98 op_sel:[1,1]
	s_delay_alu instid0(VALU_DEP_1) | instskip(NEXT) | instid1(VALU_DEP_1)
	v_cmp_gt_f32_e64 s2, v40, v41
	v_cndmask_b32_e64 v40, v41, v40, s2
	ds_store_b32 v20, v40
.LBB164_7:                              ;   in Loop: Header=BB164_4 Depth=1
	s_or_b32 exec_lo, exec_lo, s8
	s_waitcnt lgkmcnt(0)
	s_waitcnt_vscnt null, 0x0
	s_barrier
	buffer_gl0_inv
	ds_load_b32 v40, v21
	s_waitcnt lgkmcnt(0)
	v_mov_b32_dpp v41, v40 quad_perm:[1,0,3,2] row_mask:0xf bank_mask:0xf
	s_delay_alu instid0(VALU_DEP_1) | instskip(NEXT) | instid1(VALU_DEP_1)
	v_cmp_gt_f32_e64 s2, v40, v41
	v_cndmask_b32_e64 v40, v41, v40, s2
	s_delay_alu instid0(VALU_DEP_1) | instskip(NEXT) | instid1(VALU_DEP_1)
	v_mov_b32_dpp v41, v40 quad_perm:[2,3,0,1] row_mask:0xf bank_mask:0xf
	v_cmp_gt_f32_e64 s2, v40, v41
	s_delay_alu instid0(VALU_DEP_1) | instskip(NEXT) | instid1(VALU_DEP_1)
	v_cndmask_b32_e64 v40, v41, v40, s2
	v_mov_b32_dpp v41, v40 row_xmask:7 row_mask:0xf bank_mask:0xf
	s_delay_alu instid0(VALU_DEP_1) | instskip(NEXT) | instid1(VALU_DEP_1)
	v_cmp_gt_f32_e64 s2, v40, v41
	v_cndmask_b32_e64 v40, v41, v40, s2
	s_delay_alu instid0(VALU_DEP_1)
	v_mul_f32_e32 v40, 0x3b124925, v40
	s_and_saveexec_b32 s2, s0
	s_cbranch_execz .LBB164_9
; %bb.8:                                ;   in Loop: Header=BB164_4 Depth=1
	s_ashr_i32 s21, s20, 31
	s_delay_alu instid0(SALU_CYCLE_1) | instskip(NEXT) | instid1(SALU_CYCLE_1)
	s_lshl_b64 s[8:9], s[20:21], 2
	s_add_u32 s8, s14, s8
	s_addc_u32 s9, s15, s9
	global_store_b32 v0, v40, s[8:9]
.LBB164_9:                              ;   in Loop: Header=BB164_4 Depth=1
	s_or_b32 exec_lo, exec_lo, s2
	s_and_saveexec_b32 s2, s1
	s_cbranch_execz .LBB164_2
; %bb.10:                               ;   in Loop: Header=BB164_4 Depth=1
	v_rcp_f32_e32 v40, v40
	s_mul_i32 s8, s20, s6
	s_mul_hi_i32 s9, s20, s6
	s_add_u32 s16, s12, s8
	s_addc_u32 s8, s13, s9
	s_mov_b32 s19, s11
	s_and_b32 s17, s8, 0xffff
	s_waitcnt_depctr 0xfff
	v_mul_f32_e32 v38, v38, v40
	v_mul_f32_e32 v39, v39, v40
	;; [unrolled: 1-line block ×5, first 2 shown]
	;;#ASMSTART
	v_med3_f32 v38, v38, v22, v23
v_med3_f32 v39, v39, v22, v23
v_cvt_pk_fp8_f32 v31, v38, v39
	;;#ASMEND
	;;#ASMSTART
	v_med3_f32 v36, v36, v22, v23
v_med3_f32 v37, v37, v22, v23
v_cvt_pk_fp8_f32 v38, v36, v37
	;;#ASMEND
	v_perm_b32 v36, v38, v31, 0x5040100
	v_mul_f32_e32 v34, v34, v40
	v_mul_f32_e32 v35, v35, v40
	;; [unrolled: 1-line block ×5, first 2 shown]
	;;#ASMSTART
	v_med3_f32 v34, v34, v22, v23
v_med3_f32 v35, v35, v22, v23
v_cvt_pk_fp8_f32 v30, v34, v35
	;;#ASMEND
	;;#ASMSTART
	v_med3_f32 v32, v32, v22, v23
v_med3_f32 v33, v33, v22, v23
v_cvt_pk_fp8_f32 v31, v32, v33
	;;#ASMEND
	v_mul_f32_e32 v28, v28, v40
	v_mul_f32_e32 v29, v29, v40
	;; [unrolled: 1-line block ×4, first 2 shown]
	;;#ASMSTART
	v_med3_f32 v41, v41, v22, v23
v_med3_f32 v37, v37, v22, v23
v_cvt_pk_fp8_f32 v32, v41, v37
	;;#ASMEND
	;;#ASMSTART
	v_med3_f32 v28, v28, v22, v23
v_med3_f32 v29, v29, v22, v23
v_cvt_pk_fp8_f32 v33, v28, v29
	;;#ASMEND
	v_mul_f32_e32 v24, v24, v40
	v_mul_f32_e32 v25, v25, v40
	;;#ASMSTART
	v_med3_f32 v26, v26, v22, v23
v_med3_f32 v27, v27, v22, v23
v_cvt_pk_fp8_f32 v28, v26, v27
	;;#ASMEND
	v_perm_b32 v31, v30, v31, 0x1000504
	v_perm_b32 v30, v36, v38, 0x1060504
	;; [unrolled: 1-line block ×3, first 2 shown]
	;;#ASMSTART
	v_med3_f32 v24, v24, v22, v23
v_med3_f32 v25, v25, v22, v23
v_cvt_pk_fp8_f32 v26, v24, v25
	;;#ASMEND
	v_perm_b32 v33, v28, v26, 0x1000504
	buffer_store_b128 v[30:33], v18, s[16:19], 0 offen
	;;#ASMSTART
	s_nop 0
	;;#ASMEND
	s_branch .LBB164_2
.LBB164_11:
	s_nop 0
	s_sendmsg sendmsg(MSG_DEALLOC_VGPRS)
	s_endpgm
	.section	.rodata,"a",@progbits
	.p2align	6, 0x0
	.amdhsa_kernel _ZN5aiter43moe_smooth_per_token_scaled_quant_kernel_v1IDF16_DB8_Li256ELi16ELb1ELb0ELi1024EEEvPT0_PfPT_S4_PiS7_iiiii
		.amdhsa_group_segment_fixed_size 32
		.amdhsa_private_segment_fixed_size 0
		.amdhsa_kernarg_size 68
		.amdhsa_user_sgpr_count 15
		.amdhsa_user_sgpr_dispatch_ptr 0
		.amdhsa_user_sgpr_queue_ptr 0
		.amdhsa_user_sgpr_kernarg_segment_ptr 1
		.amdhsa_user_sgpr_dispatch_id 0
		.amdhsa_user_sgpr_private_segment_size 0
		.amdhsa_wavefront_size32 1
		.amdhsa_uses_dynamic_stack 0
		.amdhsa_enable_private_segment 0
		.amdhsa_system_sgpr_workgroup_id_x 1
		.amdhsa_system_sgpr_workgroup_id_y 0
		.amdhsa_system_sgpr_workgroup_id_z 0
		.amdhsa_system_sgpr_workgroup_info 0
		.amdhsa_system_vgpr_workitem_id 0
		.amdhsa_next_free_vgpr 48
		.amdhsa_next_free_sgpr 24
		.amdhsa_reserve_vcc 1
		.amdhsa_float_round_mode_32 0
		.amdhsa_float_round_mode_16_64 0
		.amdhsa_float_denorm_mode_32 3
		.amdhsa_float_denorm_mode_16_64 3
		.amdhsa_dx10_clamp 1
		.amdhsa_ieee_mode 1
		.amdhsa_fp16_overflow 0
		.amdhsa_workgroup_processor_mode 1
		.amdhsa_memory_ordered 1
		.amdhsa_forward_progress 0
		.amdhsa_shared_vgpr_count 0
		.amdhsa_exception_fp_ieee_invalid_op 0
		.amdhsa_exception_fp_denorm_src 0
		.amdhsa_exception_fp_ieee_div_zero 0
		.amdhsa_exception_fp_ieee_overflow 0
		.amdhsa_exception_fp_ieee_underflow 0
		.amdhsa_exception_fp_ieee_inexact 0
		.amdhsa_exception_int_div_zero 0
	.end_amdhsa_kernel
	.section	.text._ZN5aiter43moe_smooth_per_token_scaled_quant_kernel_v1IDF16_DB8_Li256ELi16ELb1ELb0ELi1024EEEvPT0_PfPT_S4_PiS7_iiiii,"axG",@progbits,_ZN5aiter43moe_smooth_per_token_scaled_quant_kernel_v1IDF16_DB8_Li256ELi16ELb1ELb0ELi1024EEEvPT0_PfPT_S4_PiS7_iiiii,comdat
.Lfunc_end164:
	.size	_ZN5aiter43moe_smooth_per_token_scaled_quant_kernel_v1IDF16_DB8_Li256ELi16ELb1ELb0ELi1024EEEvPT0_PfPT_S4_PiS7_iiiii, .Lfunc_end164-_ZN5aiter43moe_smooth_per_token_scaled_quant_kernel_v1IDF16_DB8_Li256ELi16ELb1ELb0ELi1024EEEvPT0_PfPT_S4_PiS7_iiiii
                                        ; -- End function
	.section	.AMDGPU.csdata,"",@progbits
; Kernel info:
; codeLenInByte = 1740
; NumSgprs: 26
; NumVgprs: 48
; ScratchSize: 0
; MemoryBound: 0
; FloatMode: 240
; IeeeMode: 1
; LDSByteSize: 32 bytes/workgroup (compile time only)
; SGPRBlocks: 3
; VGPRBlocks: 5
; NumSGPRsForWavesPerEU: 26
; NumVGPRsForWavesPerEU: 48
; Occupancy: 16
; WaveLimiterHint : 0
; COMPUTE_PGM_RSRC2:SCRATCH_EN: 0
; COMPUTE_PGM_RSRC2:USER_SGPR: 15
; COMPUTE_PGM_RSRC2:TRAP_HANDLER: 0
; COMPUTE_PGM_RSRC2:TGID_X_EN: 1
; COMPUTE_PGM_RSRC2:TGID_Y_EN: 0
; COMPUTE_PGM_RSRC2:TGID_Z_EN: 0
; COMPUTE_PGM_RSRC2:TIDIG_COMP_CNT: 0
	.section	.text._ZN5aiter43moe_smooth_per_token_scaled_quant_kernel_v1ItDB8_Li256ELi16ELb1ELb0ELi1024EEEvPT0_PfPT_S4_PiS7_iiiii,"axG",@progbits,_ZN5aiter43moe_smooth_per_token_scaled_quant_kernel_v1ItDB8_Li256ELi16ELb1ELb0ELi1024EEEvPT0_PfPT_S4_PiS7_iiiii,comdat
	.protected	_ZN5aiter43moe_smooth_per_token_scaled_quant_kernel_v1ItDB8_Li256ELi16ELb1ELb0ELi1024EEEvPT0_PfPT_S4_PiS7_iiiii ; -- Begin function _ZN5aiter43moe_smooth_per_token_scaled_quant_kernel_v1ItDB8_Li256ELi16ELb1ELb0ELi1024EEEvPT0_PfPT_S4_PiS7_iiiii
	.globl	_ZN5aiter43moe_smooth_per_token_scaled_quant_kernel_v1ItDB8_Li256ELi16ELb1ELb0ELi1024EEEvPT0_PfPT_S4_PiS7_iiiii
	.p2align	8
	.type	_ZN5aiter43moe_smooth_per_token_scaled_quant_kernel_v1ItDB8_Li256ELi16ELb1ELb0ELi1024EEEvPT0_PfPT_S4_PiS7_iiiii,@function
_ZN5aiter43moe_smooth_per_token_scaled_quant_kernel_v1ItDB8_Li256ELi16ELb1ELb0ELi1024EEEvPT0_PfPT_S4_PiS7_iiiii: ; @_ZN5aiter43moe_smooth_per_token_scaled_quant_kernel_v1ItDB8_Li256ELi16ELb1ELb0ELi1024EEEvPT0_PfPT_S4_PiS7_iiiii
; %bb.0:
	s_clause 0x2
	s_load_b128 s[4:7], s[0:1], 0x30
	s_load_b64 s[2:3], s[0:1], 0x20
	s_load_b64 s[12:13], s[0:1], 0x10
	v_and_b32_e32 v20, 31, v0
	s_mov_b32 s20, s15
	s_mov_b32 s11, -1
	v_lshlrev_b32_e32 v1, 5, v0
	s_delay_alu instid0(VALU_DEP_2)
	v_lshlrev_b32_e32 v2, 2, v20
	s_waitcnt lgkmcnt(0)
	s_mul_i32 s8, s15, s5
	s_mul_hi_i32 s15, s7, s15
	s_ashr_i32 s9, s8, 31
	s_mul_i32 s14, s7, s20
	s_lshl_b64 s[8:9], s[8:9], 2
	s_delay_alu instid0(SALU_CYCLE_1)
	s_add_u32 s8, s2, s8
	s_addc_u32 s2, s3, s9
	s_lshl_b32 s10, s5, 2
	s_and_b32 s9, s2, 0xffff
	s_lshl_b64 s[2:3], s[14:15], 1
	buffer_load_b32 v9, v2, s[8:11], 0 offen
	s_add_u32 s8, s12, s2
	s_addc_u32 s2, s13, s3
	s_lshl_b32 s10, s6, 1
	s_and_b32 s9, s2, 0xffff
	s_clause 0x1
	buffer_load_b128 v[5:8], v1, s[8:11], 0 offen
	buffer_load_b128 v[1:4], v1, s[8:11], 16 offen
	s_mov_b32 s3, 0
	s_cmp_lt_i32 s5, 1
	s_waitcnt vmcnt(0) expcnt(2) lgkmcnt(55)
	s_barrier
	buffer_gl0_inv
	s_cbranch_scc1 .LBB165_11
; %bb.1:
	v_and_b32_e32 v10, 0xffff, v5
	s_clause 0x1
	s_load_b128 s[12:15], s[0:1], 0x0
	s_load_b64 s[22:23], s[0:1], 0x18
	v_lshrrev_b32_e32 v11, 16, v5
	v_and_b32_e32 v12, 0xffff, v6
	v_and_b32_e32 v13, 0xffff, v7
	v_lshrrev_b32_e32 v14, 16, v7
	v_cvt_f32_u32_e32 v5, v10
	v_lshrrev_b32_e32 v10, 16, v6
	v_cvt_f32_u32_e32 v6, v11
	v_cvt_f32_u32_e32 v7, v12
	;; [unrolled: 1-line block ×4, first 2 shown]
	v_and_b32_e32 v13, 0xffff, v8
	v_and_b32_e32 v14, 0xffff, v1
	v_lshrrev_b32_e32 v15, 16, v1
	v_and_b32_e32 v16, 0xffff, v2
	s_add_i32 s1, s6, 15
	v_lshrrev_b32_e32 v8, 16, v8
	s_ashr_i32 s2, s1, 31
	v_cvt_f32_u32_e32 v1, v13
	s_lshr_b32 s2, s2, 28
	v_cvt_f32_u32_e32 v13, v14
	v_cvt_f32_u32_e32 v14, v15
	;; [unrolled: 1-line block ×3, first 2 shown]
	v_lshrrev_b32_e32 v2, 16, v2
	v_and_b32_e32 v16, 0xffff, v3
	v_lshrrev_b32_e32 v17, 16, v3
	v_and_b32_e32 v18, 0xffff, v4
	v_lshrrev_b32_e32 v19, 16, v4
	v_lshrrev_b32_e32 v21, 3, v0
	v_and_b32_e32 v22, 7, v0
	s_add_i32 s7, s6, 3
	s_add_i32 s1, s1, s2
	s_ashr_i32 s2, s7, 31
	s_ashr_i32 s1, s1, 4
	s_lshr_b32 s2, s2, 30
	v_cvt_f32_u32_e32 v10, v10
	v_cvt_f32_u32_e32 v8, v8
	;; [unrolled: 1-line block ×7, first 2 shown]
	v_dual_mov_b32 v23, 0x43e00000 :: v_dual_lshlrev_b32 v18, 4, v0
	v_lshlrev_b32_e32 v19, 6, v0
	v_cmp_eq_u32_e32 vcc_lo, 31, v20
	v_and_b32_e32 v20, 0x7c, v21
	v_dual_mov_b32 v22, 0xc3e00000 :: v_dual_lshlrev_b32 v21, 2, v22
	v_cmp_eq_u32_e64 s0, 0, v0
	v_cmp_gt_u32_e64 s1, s1, v0
	v_mov_b32_e32 v0, 0
	s_add_i32 s7, s7, s2
	s_lshl_b32 s10, s6, 2
	s_and_b32 s18, s7, -4
	s_mov_b32 s7, 0x76543210
	s_branch .LBB165_4
.LBB165_2:                              ;   in Loop: Header=BB165_4 Depth=1
	s_or_b32 exec_lo, exec_lo, s2
.LBB165_3:                              ;   in Loop: Header=BB165_4 Depth=1
	s_add_i32 s3, s3, 1
	s_add_i32 s20, s20, s4
	s_cmp_eq_u32 s5, s3
	s_cbranch_scc1 .LBB165_11
.LBB165_4:                              ; =>This Inner Loop Header: Depth=1
	v_readlane_b32 s2, v9, s3
	s_delay_alu instid0(VALU_DEP_1)
	s_cmp_lt_i32 s2, 0
	s_cbranch_scc1 .LBB165_3
; %bb.5:                                ;   in Loop: Header=BB165_4 Depth=1
	s_mul_i32 s8, s2, s6
	s_delay_alu instid0(SALU_CYCLE_1) | instskip(NEXT) | instid1(SALU_CYCLE_1)
	s_ashr_i32 s9, s8, 31
	s_lshl_b64 s[8:9], s[8:9], 2
	s_waitcnt lgkmcnt(0)
	s_add_u32 s8, s22, s8
	s_addc_u32 s2, s23, s9
	s_delay_alu instid0(SALU_CYCLE_1)
	s_and_b32 s9, s2, 0xffff
	s_clause 0x3
	buffer_load_b128 v[24:27], v19, s[8:11], 0 offen
	buffer_load_b128 v[28:31], v19, s[8:11], 16 offen
	;; [unrolled: 1-line block ×4, first 2 shown]
	s_waitcnt vmcnt(3)
	v_dual_mul_f32 v38, v24, v5 :: v_dual_mul_f32 v39, v25, v6
	v_dual_mul_f32 v36, v26, v7 :: v_dual_mul_f32 v37, v27, v10
	s_waitcnt vmcnt(2)
	v_dual_mul_f32 v34, v28, v11 :: v_dual_mul_f32 v35, v29, v12
	s_delay_alu instid0(VALU_DEP_3) | instskip(SKIP_3) | instid1(VALU_DEP_3)
	v_max3_f32 v24, |v38|, 0x2edbe6ff, |v39|
	v_dual_mul_f32 v32, v30, v1 :: v_dual_mul_f32 v33, v31, v8
	s_waitcnt vmcnt(1)
	v_dual_mul_f32 v31, v40, v13 :: v_dual_mul_f32 v30, v41, v14
	v_max3_f32 v24, v24, |v36|, |v37|
	v_dual_mul_f32 v28, v42, v15 :: v_dual_mul_f32 v29, v43, v2
	s_waitcnt vmcnt(0)
	v_dual_mul_f32 v26, v44, v3 :: v_dual_mul_f32 v27, v45, v4
	s_delay_alu instid0(VALU_DEP_3) | instskip(SKIP_1) | instid1(VALU_DEP_2)
	v_max3_f32 v24, v24, |v34|, |v35|
	v_mul_f32_e32 v25, v47, v17
	v_max3_f32 v24, v24, |v32|, |v33|
	s_delay_alu instid0(VALU_DEP_1) | instskip(NEXT) | instid1(VALU_DEP_1)
	v_max3_f32 v24, v24, |v31|, |v30|
	v_max3_f32 v40, v24, |v28|, |v29|
	v_mul_f32_e32 v24, v46, v16
	s_delay_alu instid0(VALU_DEP_2) | instskip(NEXT) | instid1(VALU_DEP_1)
	v_max3_f32 v40, v40, |v26|, |v27|
	v_max3_f32 v40, v40, |v24|, |v25|
	s_delay_alu instid0(VALU_DEP_1) | instskip(NEXT) | instid1(VALU_DEP_1)
	v_mov_b32_dpp v41, v40 quad_perm:[1,0,3,2] row_mask:0xf bank_mask:0xf
	v_cmp_gt_f32_e64 s2, v40, v41
	s_delay_alu instid0(VALU_DEP_1) | instskip(NEXT) | instid1(VALU_DEP_1)
	v_cndmask_b32_e64 v40, v41, v40, s2
	v_mov_b32_dpp v41, v40 quad_perm:[2,3,0,1] row_mask:0xf bank_mask:0xf
	s_delay_alu instid0(VALU_DEP_1) | instskip(NEXT) | instid1(VALU_DEP_1)
	v_cmp_gt_f32_e64 s2, v40, v41
	v_cndmask_b32_e64 v40, v41, v40, s2
	s_delay_alu instid0(VALU_DEP_1) | instskip(NEXT) | instid1(VALU_DEP_1)
	v_mov_b32_dpp v41, v40 row_xmask:7 row_mask:0xf bank_mask:0xf
	v_cmp_gt_f32_e64 s2, v40, v41
	s_delay_alu instid0(VALU_DEP_1) | instskip(NEXT) | instid1(VALU_DEP_1)
	v_cndmask_b32_e64 v40, v41, v40, s2
	v_mov_b32_dpp v41, v40 row_xmask:15 row_mask:0xf bank_mask:0xf
	s_delay_alu instid0(VALU_DEP_1)
	v_cmp_gt_f32_e64 s2, v40, v41
	s_and_saveexec_b32 s8, vcc_lo
	s_cbranch_execz .LBB165_7
; %bb.6:                                ;   in Loop: Header=BB165_4 Depth=1
	s_delay_alu instid0(VALU_DEP_1) | instskip(NEXT) | instid1(VALU_DEP_1)
	v_cndmask_b32_e64 v40, v41, v40, s2
	v_permlanex16_b32 v41, v40, s7, 0xfedcba98 op_sel:[1,1]
	s_delay_alu instid0(VALU_DEP_1) | instskip(NEXT) | instid1(VALU_DEP_1)
	v_cmp_gt_f32_e64 s2, v40, v41
	v_cndmask_b32_e64 v40, v41, v40, s2
	ds_store_b32 v20, v40
.LBB165_7:                              ;   in Loop: Header=BB165_4 Depth=1
	s_or_b32 exec_lo, exec_lo, s8
	s_waitcnt lgkmcnt(0)
	s_waitcnt_vscnt null, 0x0
	s_barrier
	buffer_gl0_inv
	ds_load_b32 v40, v21
	s_waitcnt lgkmcnt(0)
	v_mov_b32_dpp v41, v40 quad_perm:[1,0,3,2] row_mask:0xf bank_mask:0xf
	s_delay_alu instid0(VALU_DEP_1) | instskip(NEXT) | instid1(VALU_DEP_1)
	v_cmp_gt_f32_e64 s2, v40, v41
	v_cndmask_b32_e64 v40, v41, v40, s2
	s_delay_alu instid0(VALU_DEP_1) | instskip(NEXT) | instid1(VALU_DEP_1)
	v_mov_b32_dpp v41, v40 quad_perm:[2,3,0,1] row_mask:0xf bank_mask:0xf
	v_cmp_gt_f32_e64 s2, v40, v41
	s_delay_alu instid0(VALU_DEP_1) | instskip(NEXT) | instid1(VALU_DEP_1)
	v_cndmask_b32_e64 v40, v41, v40, s2
	v_mov_b32_dpp v41, v40 row_xmask:7 row_mask:0xf bank_mask:0xf
	s_delay_alu instid0(VALU_DEP_1) | instskip(NEXT) | instid1(VALU_DEP_1)
	v_cmp_gt_f32_e64 s2, v40, v41
	v_cndmask_b32_e64 v40, v41, v40, s2
	s_delay_alu instid0(VALU_DEP_1)
	v_mul_f32_e32 v40, 0x3b124925, v40
	s_and_saveexec_b32 s2, s0
	s_cbranch_execz .LBB165_9
; %bb.8:                                ;   in Loop: Header=BB165_4 Depth=1
	s_ashr_i32 s21, s20, 31
	s_delay_alu instid0(SALU_CYCLE_1) | instskip(NEXT) | instid1(SALU_CYCLE_1)
	s_lshl_b64 s[8:9], s[20:21], 2
	s_add_u32 s8, s14, s8
	s_addc_u32 s9, s15, s9
	global_store_b32 v0, v40, s[8:9]
.LBB165_9:                              ;   in Loop: Header=BB165_4 Depth=1
	s_or_b32 exec_lo, exec_lo, s2
	s_and_saveexec_b32 s2, s1
	s_cbranch_execz .LBB165_2
; %bb.10:                               ;   in Loop: Header=BB165_4 Depth=1
	v_rcp_f32_e32 v40, v40
	s_mul_i32 s8, s20, s6
	s_mul_hi_i32 s9, s20, s6
	s_add_u32 s16, s12, s8
	s_addc_u32 s8, s13, s9
	s_mov_b32 s19, s11
	s_and_b32 s17, s8, 0xffff
	s_waitcnt_depctr 0xfff
	v_mul_f32_e32 v38, v38, v40
	v_mul_f32_e32 v39, v39, v40
	;; [unrolled: 1-line block ×5, first 2 shown]
	;;#ASMSTART
	v_med3_f32 v38, v38, v22, v23
v_med3_f32 v39, v39, v22, v23
v_cvt_pk_fp8_f32 v31, v38, v39
	;;#ASMEND
	;;#ASMSTART
	v_med3_f32 v36, v36, v22, v23
v_med3_f32 v37, v37, v22, v23
v_cvt_pk_fp8_f32 v38, v36, v37
	;;#ASMEND
	v_perm_b32 v36, v38, v31, 0x5040100
	v_mul_f32_e32 v34, v34, v40
	v_mul_f32_e32 v35, v35, v40
	;; [unrolled: 1-line block ×5, first 2 shown]
	;;#ASMSTART
	v_med3_f32 v34, v34, v22, v23
v_med3_f32 v35, v35, v22, v23
v_cvt_pk_fp8_f32 v30, v34, v35
	;;#ASMEND
	;;#ASMSTART
	v_med3_f32 v32, v32, v22, v23
v_med3_f32 v33, v33, v22, v23
v_cvt_pk_fp8_f32 v31, v32, v33
	;;#ASMEND
	v_mul_f32_e32 v28, v28, v40
	v_mul_f32_e32 v29, v29, v40
	;; [unrolled: 1-line block ×4, first 2 shown]
	;;#ASMSTART
	v_med3_f32 v41, v41, v22, v23
v_med3_f32 v37, v37, v22, v23
v_cvt_pk_fp8_f32 v32, v41, v37
	;;#ASMEND
	;;#ASMSTART
	v_med3_f32 v28, v28, v22, v23
v_med3_f32 v29, v29, v22, v23
v_cvt_pk_fp8_f32 v33, v28, v29
	;;#ASMEND
	v_mul_f32_e32 v24, v24, v40
	v_mul_f32_e32 v25, v25, v40
	;;#ASMSTART
	v_med3_f32 v26, v26, v22, v23
v_med3_f32 v27, v27, v22, v23
v_cvt_pk_fp8_f32 v28, v26, v27
	;;#ASMEND
	v_perm_b32 v31, v30, v31, 0x1000504
	v_perm_b32 v30, v36, v38, 0x1060504
	;; [unrolled: 1-line block ×3, first 2 shown]
	;;#ASMSTART
	v_med3_f32 v24, v24, v22, v23
v_med3_f32 v25, v25, v22, v23
v_cvt_pk_fp8_f32 v26, v24, v25
	;;#ASMEND
	v_perm_b32 v33, v28, v26, 0x1000504
	buffer_store_b128 v[30:33], v18, s[16:19], 0 offen
	;;#ASMSTART
	s_nop 0
	;;#ASMEND
	s_branch .LBB165_2
.LBB165_11:
	s_nop 0
	s_sendmsg sendmsg(MSG_DEALLOC_VGPRS)
	s_endpgm
	.section	.rodata,"a",@progbits
	.p2align	6, 0x0
	.amdhsa_kernel _ZN5aiter43moe_smooth_per_token_scaled_quant_kernel_v1ItDB8_Li256ELi16ELb1ELb0ELi1024EEEvPT0_PfPT_S4_PiS7_iiiii
		.amdhsa_group_segment_fixed_size 32
		.amdhsa_private_segment_fixed_size 0
		.amdhsa_kernarg_size 68
		.amdhsa_user_sgpr_count 15
		.amdhsa_user_sgpr_dispatch_ptr 0
		.amdhsa_user_sgpr_queue_ptr 0
		.amdhsa_user_sgpr_kernarg_segment_ptr 1
		.amdhsa_user_sgpr_dispatch_id 0
		.amdhsa_user_sgpr_private_segment_size 0
		.amdhsa_wavefront_size32 1
		.amdhsa_uses_dynamic_stack 0
		.amdhsa_enable_private_segment 0
		.amdhsa_system_sgpr_workgroup_id_x 1
		.amdhsa_system_sgpr_workgroup_id_y 0
		.amdhsa_system_sgpr_workgroup_id_z 0
		.amdhsa_system_sgpr_workgroup_info 0
		.amdhsa_system_vgpr_workitem_id 0
		.amdhsa_next_free_vgpr 48
		.amdhsa_next_free_sgpr 24
		.amdhsa_reserve_vcc 1
		.amdhsa_float_round_mode_32 0
		.amdhsa_float_round_mode_16_64 0
		.amdhsa_float_denorm_mode_32 3
		.amdhsa_float_denorm_mode_16_64 3
		.amdhsa_dx10_clamp 1
		.amdhsa_ieee_mode 1
		.amdhsa_fp16_overflow 0
		.amdhsa_workgroup_processor_mode 1
		.amdhsa_memory_ordered 1
		.amdhsa_forward_progress 0
		.amdhsa_shared_vgpr_count 0
		.amdhsa_exception_fp_ieee_invalid_op 0
		.amdhsa_exception_fp_denorm_src 0
		.amdhsa_exception_fp_ieee_div_zero 0
		.amdhsa_exception_fp_ieee_overflow 0
		.amdhsa_exception_fp_ieee_underflow 0
		.amdhsa_exception_fp_ieee_inexact 0
		.amdhsa_exception_int_div_zero 0
	.end_amdhsa_kernel
	.section	.text._ZN5aiter43moe_smooth_per_token_scaled_quant_kernel_v1ItDB8_Li256ELi16ELb1ELb0ELi1024EEEvPT0_PfPT_S4_PiS7_iiiii,"axG",@progbits,_ZN5aiter43moe_smooth_per_token_scaled_quant_kernel_v1ItDB8_Li256ELi16ELb1ELb0ELi1024EEEvPT0_PfPT_S4_PiS7_iiiii,comdat
.Lfunc_end165:
	.size	_ZN5aiter43moe_smooth_per_token_scaled_quant_kernel_v1ItDB8_Li256ELi16ELb1ELb0ELi1024EEEvPT0_PfPT_S4_PiS7_iiiii, .Lfunc_end165-_ZN5aiter43moe_smooth_per_token_scaled_quant_kernel_v1ItDB8_Li256ELi16ELb1ELb0ELi1024EEEvPT0_PfPT_S4_PiS7_iiiii
                                        ; -- End function
	.section	.AMDGPU.csdata,"",@progbits
; Kernel info:
; codeLenInByte = 1804
; NumSgprs: 26
; NumVgprs: 48
; ScratchSize: 0
; MemoryBound: 0
; FloatMode: 240
; IeeeMode: 1
; LDSByteSize: 32 bytes/workgroup (compile time only)
; SGPRBlocks: 3
; VGPRBlocks: 5
; NumSGPRsForWavesPerEU: 26
; NumVGPRsForWavesPerEU: 48
; Occupancy: 16
; WaveLimiterHint : 0
; COMPUTE_PGM_RSRC2:SCRATCH_EN: 0
; COMPUTE_PGM_RSRC2:USER_SGPR: 15
; COMPUTE_PGM_RSRC2:TRAP_HANDLER: 0
; COMPUTE_PGM_RSRC2:TGID_X_EN: 1
; COMPUTE_PGM_RSRC2:TGID_Y_EN: 0
; COMPUTE_PGM_RSRC2:TGID_Z_EN: 0
; COMPUTE_PGM_RSRC2:TIDIG_COMP_CNT: 0
	.section	.text._ZN5aiter43moe_smooth_per_token_scaled_quant_kernel_v1IDF16_DB8_Li256ELi16ELb0ELb1ELi1024EEEvPT0_PfPT_S4_PiS7_iiiii,"axG",@progbits,_ZN5aiter43moe_smooth_per_token_scaled_quant_kernel_v1IDF16_DB8_Li256ELi16ELb0ELb1ELi1024EEEvPT0_PfPT_S4_PiS7_iiiii,comdat
	.protected	_ZN5aiter43moe_smooth_per_token_scaled_quant_kernel_v1IDF16_DB8_Li256ELi16ELb0ELb1ELi1024EEEvPT0_PfPT_S4_PiS7_iiiii ; -- Begin function _ZN5aiter43moe_smooth_per_token_scaled_quant_kernel_v1IDF16_DB8_Li256ELi16ELb0ELb1ELi1024EEEvPT0_PfPT_S4_PiS7_iiiii
	.globl	_ZN5aiter43moe_smooth_per_token_scaled_quant_kernel_v1IDF16_DB8_Li256ELi16ELb0ELb1ELi1024EEEvPT0_PfPT_S4_PiS7_iiiii
	.p2align	8
	.type	_ZN5aiter43moe_smooth_per_token_scaled_quant_kernel_v1IDF16_DB8_Li256ELi16ELb0ELb1ELi1024EEEvPT0_PfPT_S4_PiS7_iiiii,@function
_ZN5aiter43moe_smooth_per_token_scaled_quant_kernel_v1IDF16_DB8_Li256ELi16ELb0ELb1ELi1024EEEvPT0_PfPT_S4_PiS7_iiiii: ; @_ZN5aiter43moe_smooth_per_token_scaled_quant_kernel_v1IDF16_DB8_Li256ELi16ELb0ELb1ELi1024EEEvPT0_PfPT_S4_PiS7_iiiii
; %bb.0:
	s_clause 0x2
	s_load_b128 s[4:7], s[0:1], 0x34
	s_load_b128 s[8:11], s[0:1], 0x20
	s_load_b64 s[2:3], s[0:1], 0x10
	v_and_b32_e32 v20, 31, v0
	v_lshlrev_b32_e32 v10, 2, v0
	s_mov_b32 s19, -1
	s_delay_alu instid0(VALU_DEP_2)
	v_lshlrev_b32_e32 v1, 2, v20
	s_waitcnt lgkmcnt(0)
	s_mul_i32 s20, s15, s4
	s_lshl_b32 s18, s7, 2
	s_ashr_i32 s21, s20, 31
	s_and_b32 s17, s11, 0xffff
	s_mov_b32 s16, s10
	s_lshl_b64 s[12:13], s[20:21], 2
	s_clause 0x3
	buffer_load_b32 v11, v10, s[16:19], 0 offen
	buffer_load_b32 v12, v10, s[16:19], 0 offen offset:1024
	buffer_load_b32 v13, v10, s[16:19], 0 offen offset:2048
	;; [unrolled: 1-line block ×3, first 2 shown]
	s_add_u32 s16, s8, s12
	s_addc_u32 s8, s9, s13
	s_lshl_b32 s18, s4, 2
	s_and_b32 s17, s8, 0xffff
	s_mul_hi_i32 s11, s6, s15
	s_mul_i32 s10, s6, s15
	buffer_load_b32 v9, v1, s[16:19], 0 offen
	s_lshl_b64 s[8:9], s[10:11], 1
	v_lshlrev_b32_e32 v1, 5, v0
	s_add_u32 s16, s2, s8
	s_addc_u32 s2, s3, s9
	s_lshl_b32 s18, s5, 1
	s_and_b32 s17, s2, 0xffff
	s_clause 0x1
	buffer_load_b128 v[5:8], v1, s[16:19], 0 offen
	buffer_load_b128 v[1:4], v1, s[16:19], 16 offen
	v_cmp_gt_i32_e32 vcc_lo, s4, v20
	s_waitcnt vmcnt(5)
	ds_store_2addr_stride64_b32 v10, v11, v12 offset1:4
	s_waitcnt vmcnt(3)
	ds_store_2addr_stride64_b32 v10, v13, v14 offset0:8 offset1:12
	s_waitcnt vmcnt(0) expcnt(2) lgkmcnt(0)
	s_barrier
	buffer_gl0_inv
	v_cmp_gt_i32_e64 s2, s7, v9
	v_cmp_lt_i32_e64 s3, -1, v9
	s_delay_alu instid0(VALU_DEP_2)
	s_and_b32 s2, vcc_lo, s2
	s_delay_alu instid0(VALU_DEP_1) | instid1(SALU_CYCLE_1)
	s_and_b32 s3, s2, s3
	s_delay_alu instid0(SALU_CYCLE_1)
	s_and_saveexec_b32 s2, s3
	s_cbranch_execz .LBB166_2
; %bb.1:
	v_lshlrev_b32_e32 v9, 2, v9
	ds_load_b32 v9, v9
.LBB166_2:
	s_or_b32 exec_lo, exec_lo, s2
	s_cmp_lt_i32 s4, 1
	s_cbranch_scc1 .LBB166_13
; %bb.3:
	s_clause 0x1
	s_load_b128 s[8:11], s[0:1], 0x0
	s_load_b64 s[6:7], s[0:1], 0x18
	s_add_i32 s1, s5, 15
	v_lshrrev_b32_e32 v10, 16, v5
	s_ashr_i32 s2, s1, 31
	v_lshrrev_b32_e32 v11, 16, v6
	s_lshr_b32 s2, s2, 28
	v_lshrrev_b32_e32 v12, 16, v7
	v_lshrrev_b32_e32 v13, 16, v8
	;; [unrolled: 1-line block ×7, first 2 shown]
	v_and_b32_e32 v22, 7, v0
	s_add_i32 s3, s5, 3
	s_add_i32 s1, s1, s2
	s_ashr_i32 s2, s3, 31
	s_movk_i32 s0, 0x7c
	s_ashr_i32 s1, s1, 4
	s_lshr_b32 s2, s2, 30
	v_cvt_f32_f16_e32 v5, v5
	v_cvt_f32_f16_e32 v10, v10
	;; [unrolled: 1-line block ×16, first 2 shown]
	v_dual_mov_b32 v23, 0x43e00000 :: v_dual_lshlrev_b32 v18, 4, v0
	v_lshlrev_b32_e32 v19, 6, v0
	v_cmp_eq_u32_e32 vcc_lo, 31, v20
	v_and_or_b32 v20, v21, s0, 0x1000
	v_lshl_or_b32 v21, v22, 2, 0x1000
	v_cmp_eq_u32_e64 s0, 0, v0
	v_cmp_gt_u32_e64 s1, s1, v0
	v_mov_b32_e32 v0, 0
	v_mov_b32_e32 v22, 0xc3e00000
	s_add_i32 s3, s3, s2
	s_mov_b32 s21, s5
	s_lshl_b32 s14, s5, 2
	s_mov_b32 s22, 0
	s_and_b32 s18, s3, -4
	s_mov_b32 s15, -1
	s_mov_b32 s5, 0x76543210
	s_branch .LBB166_6
.LBB166_4:                              ;   in Loop: Header=BB166_6 Depth=1
	s_or_b32 exec_lo, exec_lo, s3
.LBB166_5:                              ;   in Loop: Header=BB166_6 Depth=1
	s_add_i32 s22, s22, 1
	s_delay_alu instid0(SALU_CYCLE_1)
	s_cmp_eq_u32 s4, s22
	s_cbranch_scc1 .LBB166_13
.LBB166_6:                              ; =>This Inner Loop Header: Depth=1
	s_waitcnt lgkmcnt(0)
	v_readlane_b32 s2, v9, s22
	s_delay_alu instid0(VALU_DEP_1)
	s_cmp_lt_i32 s2, 0
	s_cbranch_scc1 .LBB166_5
; %bb.7:                                ;   in Loop: Header=BB166_6 Depth=1
	s_mul_i32 s2, s2, s21
	s_delay_alu instid0(SALU_CYCLE_1) | instskip(NEXT) | instid1(SALU_CYCLE_1)
	s_ashr_i32 s3, s2, 31
	s_lshl_b64 s[2:3], s[2:3], 2
	s_delay_alu instid0(SALU_CYCLE_1) | instskip(SKIP_1) | instid1(SALU_CYCLE_1)
	s_add_u32 s12, s6, s2
	s_addc_u32 s2, s7, s3
	s_and_b32 s13, s2, 0xffff
	s_clause 0x3
	buffer_load_b128 v[24:27], v19, s[12:15], 0 offen
	buffer_load_b128 v[28:31], v19, s[12:15], 16 offen
	;; [unrolled: 1-line block ×4, first 2 shown]
	s_waitcnt vmcnt(3)
	v_dual_mul_f32 v38, v24, v5 :: v_dual_mul_f32 v39, v25, v10
	v_dual_mul_f32 v36, v26, v6 :: v_dual_mul_f32 v37, v27, v11
	s_waitcnt vmcnt(2)
	v_dual_mul_f32 v34, v28, v7 :: v_dual_mul_f32 v35, v29, v12
	s_delay_alu instid0(VALU_DEP_3) | instskip(SKIP_3) | instid1(VALU_DEP_3)
	v_max3_f32 v24, |v38|, 0x2edbe6ff, |v39|
	v_dual_mul_f32 v32, v30, v8 :: v_dual_mul_f32 v33, v31, v13
	s_waitcnt vmcnt(1)
	v_dual_mul_f32 v31, v40, v1 :: v_dual_mul_f32 v30, v41, v14
	v_max3_f32 v24, v24, |v36|, |v37|
	v_dual_mul_f32 v28, v42, v2 :: v_dual_mul_f32 v29, v43, v15
	s_waitcnt vmcnt(0)
	v_dual_mul_f32 v26, v44, v3 :: v_dual_mul_f32 v27, v45, v16
	s_delay_alu instid0(VALU_DEP_3) | instskip(SKIP_1) | instid1(VALU_DEP_2)
	v_max3_f32 v24, v24, |v34|, |v35|
	v_mul_f32_e32 v25, v47, v17
	v_max3_f32 v24, v24, |v32|, |v33|
	s_delay_alu instid0(VALU_DEP_1) | instskip(NEXT) | instid1(VALU_DEP_1)
	v_max3_f32 v24, v24, |v31|, |v30|
	v_max3_f32 v40, v24, |v28|, |v29|
	v_mul_f32_e32 v24, v46, v4
	s_delay_alu instid0(VALU_DEP_2) | instskip(NEXT) | instid1(VALU_DEP_1)
	v_max3_f32 v40, v40, |v26|, |v27|
	v_max3_f32 v40, v40, |v24|, |v25|
	s_delay_alu instid0(VALU_DEP_1) | instskip(NEXT) | instid1(VALU_DEP_1)
	v_mov_b32_dpp v41, v40 quad_perm:[1,0,3,2] row_mask:0xf bank_mask:0xf
	v_cmp_gt_f32_e64 s2, v40, v41
	s_delay_alu instid0(VALU_DEP_1) | instskip(NEXT) | instid1(VALU_DEP_1)
	v_cndmask_b32_e64 v40, v41, v40, s2
	v_mov_b32_dpp v41, v40 quad_perm:[2,3,0,1] row_mask:0xf bank_mask:0xf
	s_delay_alu instid0(VALU_DEP_1) | instskip(NEXT) | instid1(VALU_DEP_1)
	v_cmp_gt_f32_e64 s2, v40, v41
	v_cndmask_b32_e64 v40, v41, v40, s2
	s_delay_alu instid0(VALU_DEP_1) | instskip(NEXT) | instid1(VALU_DEP_1)
	v_mov_b32_dpp v41, v40 row_xmask:7 row_mask:0xf bank_mask:0xf
	v_cmp_gt_f32_e64 s2, v40, v41
	s_delay_alu instid0(VALU_DEP_1) | instskip(NEXT) | instid1(VALU_DEP_1)
	v_cndmask_b32_e64 v40, v41, v40, s2
	v_mov_b32_dpp v41, v40 row_xmask:15 row_mask:0xf bank_mask:0xf
	s_delay_alu instid0(VALU_DEP_1)
	v_cmp_gt_f32_e64 s2, v40, v41
	s_and_saveexec_b32 s3, vcc_lo
	s_cbranch_execz .LBB166_9
; %bb.8:                                ;   in Loop: Header=BB166_6 Depth=1
	s_delay_alu instid0(VALU_DEP_1) | instskip(NEXT) | instid1(VALU_DEP_1)
	v_cndmask_b32_e64 v40, v41, v40, s2
	v_permlanex16_b32 v41, v40, s5, 0xfedcba98 op_sel:[1,1]
	s_delay_alu instid0(VALU_DEP_1) | instskip(NEXT) | instid1(VALU_DEP_1)
	v_cmp_gt_f32_e64 s2, v40, v41
	v_cndmask_b32_e64 v40, v41, v40, s2
	ds_store_b32 v20, v40
.LBB166_9:                              ;   in Loop: Header=BB166_6 Depth=1
	s_or_b32 exec_lo, exec_lo, s3
	s_waitcnt lgkmcnt(0)
	s_waitcnt_vscnt null, 0x0
	s_barrier
	buffer_gl0_inv
	ds_load_b32 v40, v21
	s_waitcnt lgkmcnt(0)
	v_mov_b32_dpp v41, v40 quad_perm:[1,0,3,2] row_mask:0xf bank_mask:0xf
	s_delay_alu instid0(VALU_DEP_1) | instskip(NEXT) | instid1(VALU_DEP_1)
	v_cmp_gt_f32_e64 s2, v40, v41
	v_cndmask_b32_e64 v40, v41, v40, s2
	s_delay_alu instid0(VALU_DEP_1) | instskip(NEXT) | instid1(VALU_DEP_1)
	v_mov_b32_dpp v41, v40 quad_perm:[2,3,0,1] row_mask:0xf bank_mask:0xf
	v_cmp_gt_f32_e64 s2, v40, v41
	s_delay_alu instid0(VALU_DEP_1) | instskip(NEXT) | instid1(VALU_DEP_1)
	v_cndmask_b32_e64 v40, v41, v40, s2
	v_mov_b32_dpp v41, v40 row_xmask:7 row_mask:0xf bank_mask:0xf
	s_delay_alu instid0(VALU_DEP_1) | instskip(NEXT) | instid1(VALU_DEP_1)
	v_cmp_gt_f32_e64 s2, v40, v41
	v_cndmask_b32_e64 v40, v41, v40, s2
	s_add_i32 s2, s20, s22
	s_delay_alu instid0(VALU_DEP_1)
	v_mul_f32_e32 v40, 0x3b124925, v40
	s_and_saveexec_b32 s12, s0
	s_cbranch_execz .LBB166_11
; %bb.10:                               ;   in Loop: Header=BB166_6 Depth=1
	s_ashr_i32 s3, s2, 31
	s_delay_alu instid0(SALU_CYCLE_1) | instskip(NEXT) | instid1(SALU_CYCLE_1)
	s_lshl_b64 s[16:17], s[2:3], 2
	s_add_u32 s16, s10, s16
	s_addc_u32 s17, s11, s17
	global_store_b32 v0, v40, s[16:17]
.LBB166_11:                             ;   in Loop: Header=BB166_6 Depth=1
	s_or_b32 exec_lo, exec_lo, s12
	s_and_saveexec_b32 s3, s1
	s_cbranch_execz .LBB166_4
; %bb.12:                               ;   in Loop: Header=BB166_6 Depth=1
	v_rcp_f32_e32 v40, v40
	s_mul_i32 s12, s2, s21
	s_mul_hi_i32 s2, s2, s21
	s_add_u32 s16, s8, s12
	s_addc_u32 s2, s9, s2
	s_mov_b32 s19, s15
	s_and_b32 s17, s2, 0xffff
	s_waitcnt_depctr 0xfff
	v_mul_f32_e32 v38, v38, v40
	v_mul_f32_e32 v39, v39, v40
	v_mul_f32_e32 v36, v36, v40
	v_mul_f32_e32 v37, v37, v40
	v_mul_f32_e32 v41, v31, v40
	;;#ASMSTART
	v_med3_f32 v38, v38, v22, v23
v_med3_f32 v39, v39, v22, v23
v_cvt_pk_fp8_f32 v31, v38, v39
	;;#ASMEND
	;;#ASMSTART
	v_med3_f32 v36, v36, v22, v23
v_med3_f32 v37, v37, v22, v23
v_cvt_pk_fp8_f32 v38, v36, v37
	;;#ASMEND
	v_perm_b32 v36, v38, v31, 0x5040100
	v_mul_f32_e32 v34, v34, v40
	v_mul_f32_e32 v35, v35, v40
	;; [unrolled: 1-line block ×5, first 2 shown]
	;;#ASMSTART
	v_med3_f32 v34, v34, v22, v23
v_med3_f32 v35, v35, v22, v23
v_cvt_pk_fp8_f32 v30, v34, v35
	;;#ASMEND
	;;#ASMSTART
	v_med3_f32 v32, v32, v22, v23
v_med3_f32 v33, v33, v22, v23
v_cvt_pk_fp8_f32 v31, v32, v33
	;;#ASMEND
	v_mul_f32_e32 v28, v28, v40
	v_mul_f32_e32 v29, v29, v40
	;; [unrolled: 1-line block ×4, first 2 shown]
	;;#ASMSTART
	v_med3_f32 v41, v41, v22, v23
v_med3_f32 v37, v37, v22, v23
v_cvt_pk_fp8_f32 v32, v41, v37
	;;#ASMEND
	;;#ASMSTART
	v_med3_f32 v28, v28, v22, v23
v_med3_f32 v29, v29, v22, v23
v_cvt_pk_fp8_f32 v33, v28, v29
	;;#ASMEND
	v_mul_f32_e32 v24, v24, v40
	v_mul_f32_e32 v25, v25, v40
	;;#ASMSTART
	v_med3_f32 v26, v26, v22, v23
v_med3_f32 v27, v27, v22, v23
v_cvt_pk_fp8_f32 v28, v26, v27
	;;#ASMEND
	v_perm_b32 v31, v30, v31, 0x1000504
	v_perm_b32 v30, v36, v38, 0x1060504
	;; [unrolled: 1-line block ×3, first 2 shown]
	;;#ASMSTART
	v_med3_f32 v24, v24, v22, v23
v_med3_f32 v25, v25, v22, v23
v_cvt_pk_fp8_f32 v26, v24, v25
	;;#ASMEND
	v_perm_b32 v33, v28, v26, 0x1000504
	buffer_store_b128 v[30:33], v18, s[16:19], 0 offen
	;;#ASMSTART
	s_nop 0
	;;#ASMEND
	s_branch .LBB166_4
.LBB166_13:
	s_nop 0
	s_sendmsg sendmsg(MSG_DEALLOC_VGPRS)
	s_endpgm
	.section	.rodata,"a",@progbits
	.p2align	6, 0x0
	.amdhsa_kernel _ZN5aiter43moe_smooth_per_token_scaled_quant_kernel_v1IDF16_DB8_Li256ELi16ELb0ELb1ELi1024EEEvPT0_PfPT_S4_PiS7_iiiii
		.amdhsa_group_segment_fixed_size 4128
		.amdhsa_private_segment_fixed_size 0
		.amdhsa_kernarg_size 68
		.amdhsa_user_sgpr_count 15
		.amdhsa_user_sgpr_dispatch_ptr 0
		.amdhsa_user_sgpr_queue_ptr 0
		.amdhsa_user_sgpr_kernarg_segment_ptr 1
		.amdhsa_user_sgpr_dispatch_id 0
		.amdhsa_user_sgpr_private_segment_size 0
		.amdhsa_wavefront_size32 1
		.amdhsa_uses_dynamic_stack 0
		.amdhsa_enable_private_segment 0
		.amdhsa_system_sgpr_workgroup_id_x 1
		.amdhsa_system_sgpr_workgroup_id_y 0
		.amdhsa_system_sgpr_workgroup_id_z 0
		.amdhsa_system_sgpr_workgroup_info 0
		.amdhsa_system_vgpr_workitem_id 0
		.amdhsa_next_free_vgpr 48
		.amdhsa_next_free_sgpr 23
		.amdhsa_reserve_vcc 1
		.amdhsa_float_round_mode_32 0
		.amdhsa_float_round_mode_16_64 0
		.amdhsa_float_denorm_mode_32 3
		.amdhsa_float_denorm_mode_16_64 3
		.amdhsa_dx10_clamp 1
		.amdhsa_ieee_mode 1
		.amdhsa_fp16_overflow 0
		.amdhsa_workgroup_processor_mode 1
		.amdhsa_memory_ordered 1
		.amdhsa_forward_progress 0
		.amdhsa_shared_vgpr_count 0
		.amdhsa_exception_fp_ieee_invalid_op 0
		.amdhsa_exception_fp_denorm_src 0
		.amdhsa_exception_fp_ieee_div_zero 0
		.amdhsa_exception_fp_ieee_overflow 0
		.amdhsa_exception_fp_ieee_underflow 0
		.amdhsa_exception_fp_ieee_inexact 0
		.amdhsa_exception_int_div_zero 0
	.end_amdhsa_kernel
	.section	.text._ZN5aiter43moe_smooth_per_token_scaled_quant_kernel_v1IDF16_DB8_Li256ELi16ELb0ELb1ELi1024EEEvPT0_PfPT_S4_PiS7_iiiii,"axG",@progbits,_ZN5aiter43moe_smooth_per_token_scaled_quant_kernel_v1IDF16_DB8_Li256ELi16ELb0ELb1ELi1024EEEvPT0_PfPT_S4_PiS7_iiiii,comdat
.Lfunc_end166:
	.size	_ZN5aiter43moe_smooth_per_token_scaled_quant_kernel_v1IDF16_DB8_Li256ELi16ELb0ELb1ELi1024EEEvPT0_PfPT_S4_PiS7_iiiii, .Lfunc_end166-_ZN5aiter43moe_smooth_per_token_scaled_quant_kernel_v1IDF16_DB8_Li256ELi16ELb0ELb1ELi1024EEEvPT0_PfPT_S4_PiS7_iiiii
                                        ; -- End function
	.section	.AMDGPU.csdata,"",@progbits
; Kernel info:
; codeLenInByte = 1904
; NumSgprs: 25
; NumVgprs: 48
; ScratchSize: 0
; MemoryBound: 0
; FloatMode: 240
; IeeeMode: 1
; LDSByteSize: 4128 bytes/workgroup (compile time only)
; SGPRBlocks: 3
; VGPRBlocks: 5
; NumSGPRsForWavesPerEU: 25
; NumVGPRsForWavesPerEU: 48
; Occupancy: 16
; WaveLimiterHint : 0
; COMPUTE_PGM_RSRC2:SCRATCH_EN: 0
; COMPUTE_PGM_RSRC2:USER_SGPR: 15
; COMPUTE_PGM_RSRC2:TRAP_HANDLER: 0
; COMPUTE_PGM_RSRC2:TGID_X_EN: 1
; COMPUTE_PGM_RSRC2:TGID_Y_EN: 0
; COMPUTE_PGM_RSRC2:TGID_Z_EN: 0
; COMPUTE_PGM_RSRC2:TIDIG_COMP_CNT: 0
	.section	.text._ZN5aiter43moe_smooth_per_token_scaled_quant_kernel_v1ItDB8_Li256ELi16ELb0ELb1ELi1024EEEvPT0_PfPT_S4_PiS7_iiiii,"axG",@progbits,_ZN5aiter43moe_smooth_per_token_scaled_quant_kernel_v1ItDB8_Li256ELi16ELb0ELb1ELi1024EEEvPT0_PfPT_S4_PiS7_iiiii,comdat
	.protected	_ZN5aiter43moe_smooth_per_token_scaled_quant_kernel_v1ItDB8_Li256ELi16ELb0ELb1ELi1024EEEvPT0_PfPT_S4_PiS7_iiiii ; -- Begin function _ZN5aiter43moe_smooth_per_token_scaled_quant_kernel_v1ItDB8_Li256ELi16ELb0ELb1ELi1024EEEvPT0_PfPT_S4_PiS7_iiiii
	.globl	_ZN5aiter43moe_smooth_per_token_scaled_quant_kernel_v1ItDB8_Li256ELi16ELb0ELb1ELi1024EEEvPT0_PfPT_S4_PiS7_iiiii
	.p2align	8
	.type	_ZN5aiter43moe_smooth_per_token_scaled_quant_kernel_v1ItDB8_Li256ELi16ELb0ELb1ELi1024EEEvPT0_PfPT_S4_PiS7_iiiii,@function
_ZN5aiter43moe_smooth_per_token_scaled_quant_kernel_v1ItDB8_Li256ELi16ELb0ELb1ELi1024EEEvPT0_PfPT_S4_PiS7_iiiii: ; @_ZN5aiter43moe_smooth_per_token_scaled_quant_kernel_v1ItDB8_Li256ELi16ELb0ELb1ELi1024EEEvPT0_PfPT_S4_PiS7_iiiii
; %bb.0:
	s_clause 0x2
	s_load_b128 s[4:7], s[0:1], 0x34
	s_load_b128 s[8:11], s[0:1], 0x20
	s_load_b64 s[2:3], s[0:1], 0x10
	v_and_b32_e32 v20, 31, v0
	v_lshlrev_b32_e32 v10, 2, v0
	s_mov_b32 s19, -1
	s_delay_alu instid0(VALU_DEP_2)
	v_lshlrev_b32_e32 v1, 2, v20
	s_waitcnt lgkmcnt(0)
	s_mul_i32 s20, s15, s4
	s_lshl_b32 s18, s7, 2
	s_ashr_i32 s21, s20, 31
	s_and_b32 s17, s11, 0xffff
	s_mov_b32 s16, s10
	s_lshl_b64 s[12:13], s[20:21], 2
	s_clause 0x3
	buffer_load_b32 v11, v10, s[16:19], 0 offen
	buffer_load_b32 v12, v10, s[16:19], 0 offen offset:1024
	buffer_load_b32 v13, v10, s[16:19], 0 offen offset:2048
	;; [unrolled: 1-line block ×3, first 2 shown]
	s_add_u32 s16, s8, s12
	s_addc_u32 s8, s9, s13
	s_lshl_b32 s18, s4, 2
	s_and_b32 s17, s8, 0xffff
	s_mul_hi_i32 s11, s6, s15
	s_mul_i32 s10, s6, s15
	buffer_load_b32 v9, v1, s[16:19], 0 offen
	s_lshl_b64 s[8:9], s[10:11], 1
	v_lshlrev_b32_e32 v1, 5, v0
	s_add_u32 s16, s2, s8
	s_addc_u32 s2, s3, s9
	s_lshl_b32 s18, s5, 1
	s_and_b32 s17, s2, 0xffff
	s_clause 0x1
	buffer_load_b128 v[5:8], v1, s[16:19], 0 offen
	buffer_load_b128 v[1:4], v1, s[16:19], 16 offen
	v_cmp_gt_i32_e32 vcc_lo, s4, v20
	s_waitcnt vmcnt(5)
	ds_store_2addr_stride64_b32 v10, v11, v12 offset1:4
	s_waitcnt vmcnt(3)
	ds_store_2addr_stride64_b32 v10, v13, v14 offset0:8 offset1:12
	s_waitcnt vmcnt(0) expcnt(2) lgkmcnt(0)
	s_barrier
	buffer_gl0_inv
	v_cmp_gt_i32_e64 s2, s7, v9
	v_cmp_lt_i32_e64 s3, -1, v9
	s_delay_alu instid0(VALU_DEP_2)
	s_and_b32 s2, vcc_lo, s2
	s_delay_alu instid0(VALU_DEP_1) | instid1(SALU_CYCLE_1)
	s_and_b32 s3, s2, s3
	s_delay_alu instid0(SALU_CYCLE_1)
	s_and_saveexec_b32 s2, s3
	s_cbranch_execz .LBB167_2
; %bb.1:
	v_lshlrev_b32_e32 v9, 2, v9
	ds_load_b32 v9, v9
.LBB167_2:
	s_or_b32 exec_lo, exec_lo, s2
	s_cmp_lt_i32 s4, 1
	s_cbranch_scc1 .LBB167_13
; %bb.3:
	v_and_b32_e32 v10, 0xffff, v5
	s_clause 0x1
	s_load_b128 s[8:11], s[0:1], 0x0
	s_load_b64 s[6:7], s[0:1], 0x18
	v_lshrrev_b32_e32 v11, 16, v5
	v_and_b32_e32 v12, 0xffff, v6
	v_and_b32_e32 v13, 0xffff, v7
	v_lshrrev_b32_e32 v14, 16, v7
	v_cvt_f32_u32_e32 v5, v10
	v_lshrrev_b32_e32 v10, 16, v6
	v_cvt_f32_u32_e32 v6, v11
	v_cvt_f32_u32_e32 v7, v12
	;; [unrolled: 1-line block ×4, first 2 shown]
	v_and_b32_e32 v13, 0xffff, v8
	v_and_b32_e32 v14, 0xffff, v1
	v_lshrrev_b32_e32 v15, 16, v1
	v_and_b32_e32 v16, 0xffff, v2
	s_add_i32 s1, s5, 15
	v_lshrrev_b32_e32 v8, 16, v8
	s_ashr_i32 s2, s1, 31
	v_cvt_f32_u32_e32 v1, v13
	s_lshr_b32 s2, s2, 28
	v_cvt_f32_u32_e32 v13, v14
	v_cvt_f32_u32_e32 v14, v15
	;; [unrolled: 1-line block ×3, first 2 shown]
	v_lshrrev_b32_e32 v2, 16, v2
	v_and_b32_e32 v16, 0xffff, v3
	v_lshrrev_b32_e32 v17, 16, v3
	v_and_b32_e32 v18, 0xffff, v4
	v_lshrrev_b32_e32 v19, 16, v4
	v_lshrrev_b32_e32 v21, 3, v0
	v_and_b32_e32 v22, 7, v0
	s_add_i32 s3, s5, 3
	s_add_i32 s1, s1, s2
	s_ashr_i32 s2, s3, 31
	s_movk_i32 s0, 0x7c
	s_ashr_i32 s1, s1, 4
	s_lshr_b32 s2, s2, 30
	v_cvt_f32_u32_e32 v10, v10
	v_cvt_f32_u32_e32 v8, v8
	v_cvt_f32_u32_e32 v2, v2
	v_cvt_f32_u32_e32 v3, v16
	v_cvt_f32_u32_e32 v4, v17
	v_cvt_f32_u32_e32 v16, v18
	v_cvt_f32_u32_e32 v17, v19
	v_dual_mov_b32 v23, 0x43e00000 :: v_dual_lshlrev_b32 v18, 4, v0
	v_lshlrev_b32_e32 v19, 6, v0
	v_cmp_eq_u32_e32 vcc_lo, 31, v20
	v_and_or_b32 v20, v21, s0, 0x1000
	v_lshl_or_b32 v21, v22, 2, 0x1000
	v_mov_b32_e32 v22, 0xc3e00000
	v_cmp_eq_u32_e64 s0, 0, v0
	v_cmp_gt_u32_e64 s1, s1, v0
	v_mov_b32_e32 v0, 0
	s_add_i32 s3, s3, s2
	s_mov_b32 s21, s5
	s_lshl_b32 s14, s5, 2
	s_mov_b32 s22, 0
	s_and_b32 s18, s3, -4
	s_mov_b32 s15, -1
	s_mov_b32 s5, 0x76543210
	s_branch .LBB167_6
.LBB167_4:                              ;   in Loop: Header=BB167_6 Depth=1
	s_or_b32 exec_lo, exec_lo, s3
.LBB167_5:                              ;   in Loop: Header=BB167_6 Depth=1
	s_add_i32 s22, s22, 1
	s_delay_alu instid0(SALU_CYCLE_1)
	s_cmp_eq_u32 s4, s22
	s_cbranch_scc1 .LBB167_13
.LBB167_6:                              ; =>This Inner Loop Header: Depth=1
	s_waitcnt lgkmcnt(0)
	v_readlane_b32 s2, v9, s22
	s_delay_alu instid0(VALU_DEP_1)
	s_cmp_lt_i32 s2, 0
	s_cbranch_scc1 .LBB167_5
; %bb.7:                                ;   in Loop: Header=BB167_6 Depth=1
	s_mul_i32 s2, s2, s21
	s_delay_alu instid0(SALU_CYCLE_1) | instskip(NEXT) | instid1(SALU_CYCLE_1)
	s_ashr_i32 s3, s2, 31
	s_lshl_b64 s[2:3], s[2:3], 2
	s_delay_alu instid0(SALU_CYCLE_1) | instskip(SKIP_1) | instid1(SALU_CYCLE_1)
	s_add_u32 s12, s6, s2
	s_addc_u32 s2, s7, s3
	s_and_b32 s13, s2, 0xffff
	s_clause 0x3
	buffer_load_b128 v[24:27], v19, s[12:15], 0 offen
	buffer_load_b128 v[28:31], v19, s[12:15], 16 offen
	;; [unrolled: 1-line block ×4, first 2 shown]
	s_waitcnt vmcnt(3)
	v_dual_mul_f32 v38, v24, v5 :: v_dual_mul_f32 v39, v25, v6
	v_dual_mul_f32 v36, v26, v7 :: v_dual_mul_f32 v37, v27, v10
	s_waitcnt vmcnt(2)
	v_dual_mul_f32 v34, v28, v11 :: v_dual_mul_f32 v35, v29, v12
	s_delay_alu instid0(VALU_DEP_3) | instskip(SKIP_3) | instid1(VALU_DEP_3)
	v_max3_f32 v24, |v38|, 0x2edbe6ff, |v39|
	v_dual_mul_f32 v32, v30, v1 :: v_dual_mul_f32 v33, v31, v8
	s_waitcnt vmcnt(1)
	v_dual_mul_f32 v31, v40, v13 :: v_dual_mul_f32 v30, v41, v14
	v_max3_f32 v24, v24, |v36|, |v37|
	v_dual_mul_f32 v28, v42, v15 :: v_dual_mul_f32 v29, v43, v2
	s_waitcnt vmcnt(0)
	v_dual_mul_f32 v26, v44, v3 :: v_dual_mul_f32 v27, v45, v4
	s_delay_alu instid0(VALU_DEP_3) | instskip(SKIP_1) | instid1(VALU_DEP_2)
	v_max3_f32 v24, v24, |v34|, |v35|
	v_mul_f32_e32 v25, v47, v17
	v_max3_f32 v24, v24, |v32|, |v33|
	s_delay_alu instid0(VALU_DEP_1) | instskip(NEXT) | instid1(VALU_DEP_1)
	v_max3_f32 v24, v24, |v31|, |v30|
	v_max3_f32 v40, v24, |v28|, |v29|
	v_mul_f32_e32 v24, v46, v16
	s_delay_alu instid0(VALU_DEP_2) | instskip(NEXT) | instid1(VALU_DEP_1)
	v_max3_f32 v40, v40, |v26|, |v27|
	v_max3_f32 v40, v40, |v24|, |v25|
	s_delay_alu instid0(VALU_DEP_1) | instskip(NEXT) | instid1(VALU_DEP_1)
	v_mov_b32_dpp v41, v40 quad_perm:[1,0,3,2] row_mask:0xf bank_mask:0xf
	v_cmp_gt_f32_e64 s2, v40, v41
	s_delay_alu instid0(VALU_DEP_1) | instskip(NEXT) | instid1(VALU_DEP_1)
	v_cndmask_b32_e64 v40, v41, v40, s2
	v_mov_b32_dpp v41, v40 quad_perm:[2,3,0,1] row_mask:0xf bank_mask:0xf
	s_delay_alu instid0(VALU_DEP_1) | instskip(NEXT) | instid1(VALU_DEP_1)
	v_cmp_gt_f32_e64 s2, v40, v41
	v_cndmask_b32_e64 v40, v41, v40, s2
	s_delay_alu instid0(VALU_DEP_1) | instskip(NEXT) | instid1(VALU_DEP_1)
	v_mov_b32_dpp v41, v40 row_xmask:7 row_mask:0xf bank_mask:0xf
	v_cmp_gt_f32_e64 s2, v40, v41
	s_delay_alu instid0(VALU_DEP_1) | instskip(NEXT) | instid1(VALU_DEP_1)
	v_cndmask_b32_e64 v40, v41, v40, s2
	v_mov_b32_dpp v41, v40 row_xmask:15 row_mask:0xf bank_mask:0xf
	s_delay_alu instid0(VALU_DEP_1)
	v_cmp_gt_f32_e64 s2, v40, v41
	s_and_saveexec_b32 s3, vcc_lo
	s_cbranch_execz .LBB167_9
; %bb.8:                                ;   in Loop: Header=BB167_6 Depth=1
	s_delay_alu instid0(VALU_DEP_1) | instskip(NEXT) | instid1(VALU_DEP_1)
	v_cndmask_b32_e64 v40, v41, v40, s2
	v_permlanex16_b32 v41, v40, s5, 0xfedcba98 op_sel:[1,1]
	s_delay_alu instid0(VALU_DEP_1) | instskip(NEXT) | instid1(VALU_DEP_1)
	v_cmp_gt_f32_e64 s2, v40, v41
	v_cndmask_b32_e64 v40, v41, v40, s2
	ds_store_b32 v20, v40
.LBB167_9:                              ;   in Loop: Header=BB167_6 Depth=1
	s_or_b32 exec_lo, exec_lo, s3
	s_waitcnt lgkmcnt(0)
	s_waitcnt_vscnt null, 0x0
	s_barrier
	buffer_gl0_inv
	ds_load_b32 v40, v21
	s_waitcnt lgkmcnt(0)
	v_mov_b32_dpp v41, v40 quad_perm:[1,0,3,2] row_mask:0xf bank_mask:0xf
	s_delay_alu instid0(VALU_DEP_1) | instskip(NEXT) | instid1(VALU_DEP_1)
	v_cmp_gt_f32_e64 s2, v40, v41
	v_cndmask_b32_e64 v40, v41, v40, s2
	s_delay_alu instid0(VALU_DEP_1) | instskip(NEXT) | instid1(VALU_DEP_1)
	v_mov_b32_dpp v41, v40 quad_perm:[2,3,0,1] row_mask:0xf bank_mask:0xf
	v_cmp_gt_f32_e64 s2, v40, v41
	s_delay_alu instid0(VALU_DEP_1) | instskip(NEXT) | instid1(VALU_DEP_1)
	v_cndmask_b32_e64 v40, v41, v40, s2
	v_mov_b32_dpp v41, v40 row_xmask:7 row_mask:0xf bank_mask:0xf
	s_delay_alu instid0(VALU_DEP_1) | instskip(NEXT) | instid1(VALU_DEP_1)
	v_cmp_gt_f32_e64 s2, v40, v41
	v_cndmask_b32_e64 v40, v41, v40, s2
	s_add_i32 s2, s20, s22
	s_delay_alu instid0(VALU_DEP_1)
	v_mul_f32_e32 v40, 0x3b124925, v40
	s_and_saveexec_b32 s12, s0
	s_cbranch_execz .LBB167_11
; %bb.10:                               ;   in Loop: Header=BB167_6 Depth=1
	s_ashr_i32 s3, s2, 31
	s_delay_alu instid0(SALU_CYCLE_1) | instskip(NEXT) | instid1(SALU_CYCLE_1)
	s_lshl_b64 s[16:17], s[2:3], 2
	s_add_u32 s16, s10, s16
	s_addc_u32 s17, s11, s17
	global_store_b32 v0, v40, s[16:17]
.LBB167_11:                             ;   in Loop: Header=BB167_6 Depth=1
	s_or_b32 exec_lo, exec_lo, s12
	s_and_saveexec_b32 s3, s1
	s_cbranch_execz .LBB167_4
; %bb.12:                               ;   in Loop: Header=BB167_6 Depth=1
	v_rcp_f32_e32 v40, v40
	s_mul_i32 s12, s2, s21
	s_mul_hi_i32 s2, s2, s21
	s_add_u32 s16, s8, s12
	s_addc_u32 s2, s9, s2
	s_mov_b32 s19, s15
	s_and_b32 s17, s2, 0xffff
	s_waitcnt_depctr 0xfff
	v_mul_f32_e32 v38, v38, v40
	v_mul_f32_e32 v39, v39, v40
	;; [unrolled: 1-line block ×5, first 2 shown]
	;;#ASMSTART
	v_med3_f32 v38, v38, v22, v23
v_med3_f32 v39, v39, v22, v23
v_cvt_pk_fp8_f32 v31, v38, v39
	;;#ASMEND
	;;#ASMSTART
	v_med3_f32 v36, v36, v22, v23
v_med3_f32 v37, v37, v22, v23
v_cvt_pk_fp8_f32 v38, v36, v37
	;;#ASMEND
	v_perm_b32 v36, v38, v31, 0x5040100
	v_mul_f32_e32 v34, v34, v40
	v_mul_f32_e32 v35, v35, v40
	;; [unrolled: 1-line block ×5, first 2 shown]
	;;#ASMSTART
	v_med3_f32 v34, v34, v22, v23
v_med3_f32 v35, v35, v22, v23
v_cvt_pk_fp8_f32 v30, v34, v35
	;;#ASMEND
	;;#ASMSTART
	v_med3_f32 v32, v32, v22, v23
v_med3_f32 v33, v33, v22, v23
v_cvt_pk_fp8_f32 v31, v32, v33
	;;#ASMEND
	v_mul_f32_e32 v28, v28, v40
	v_mul_f32_e32 v29, v29, v40
	;; [unrolled: 1-line block ×4, first 2 shown]
	;;#ASMSTART
	v_med3_f32 v41, v41, v22, v23
v_med3_f32 v37, v37, v22, v23
v_cvt_pk_fp8_f32 v32, v41, v37
	;;#ASMEND
	;;#ASMSTART
	v_med3_f32 v28, v28, v22, v23
v_med3_f32 v29, v29, v22, v23
v_cvt_pk_fp8_f32 v33, v28, v29
	;;#ASMEND
	v_mul_f32_e32 v24, v24, v40
	v_mul_f32_e32 v25, v25, v40
	;;#ASMSTART
	v_med3_f32 v26, v26, v22, v23
v_med3_f32 v27, v27, v22, v23
v_cvt_pk_fp8_f32 v28, v26, v27
	;;#ASMEND
	v_perm_b32 v31, v30, v31, 0x1000504
	v_perm_b32 v30, v36, v38, 0x1060504
	;; [unrolled: 1-line block ×3, first 2 shown]
	;;#ASMSTART
	v_med3_f32 v24, v24, v22, v23
v_med3_f32 v25, v25, v22, v23
v_cvt_pk_fp8_f32 v26, v24, v25
	;;#ASMEND
	v_perm_b32 v33, v28, v26, 0x1000504
	buffer_store_b128 v[30:33], v18, s[16:19], 0 offen
	;;#ASMSTART
	s_nop 0
	;;#ASMEND
	s_branch .LBB167_4
.LBB167_13:
	s_nop 0
	s_sendmsg sendmsg(MSG_DEALLOC_VGPRS)
	s_endpgm
	.section	.rodata,"a",@progbits
	.p2align	6, 0x0
	.amdhsa_kernel _ZN5aiter43moe_smooth_per_token_scaled_quant_kernel_v1ItDB8_Li256ELi16ELb0ELb1ELi1024EEEvPT0_PfPT_S4_PiS7_iiiii
		.amdhsa_group_segment_fixed_size 4128
		.amdhsa_private_segment_fixed_size 0
		.amdhsa_kernarg_size 68
		.amdhsa_user_sgpr_count 15
		.amdhsa_user_sgpr_dispatch_ptr 0
		.amdhsa_user_sgpr_queue_ptr 0
		.amdhsa_user_sgpr_kernarg_segment_ptr 1
		.amdhsa_user_sgpr_dispatch_id 0
		.amdhsa_user_sgpr_private_segment_size 0
		.amdhsa_wavefront_size32 1
		.amdhsa_uses_dynamic_stack 0
		.amdhsa_enable_private_segment 0
		.amdhsa_system_sgpr_workgroup_id_x 1
		.amdhsa_system_sgpr_workgroup_id_y 0
		.amdhsa_system_sgpr_workgroup_id_z 0
		.amdhsa_system_sgpr_workgroup_info 0
		.amdhsa_system_vgpr_workitem_id 0
		.amdhsa_next_free_vgpr 48
		.amdhsa_next_free_sgpr 23
		.amdhsa_reserve_vcc 1
		.amdhsa_float_round_mode_32 0
		.amdhsa_float_round_mode_16_64 0
		.amdhsa_float_denorm_mode_32 3
		.amdhsa_float_denorm_mode_16_64 3
		.amdhsa_dx10_clamp 1
		.amdhsa_ieee_mode 1
		.amdhsa_fp16_overflow 0
		.amdhsa_workgroup_processor_mode 1
		.amdhsa_memory_ordered 1
		.amdhsa_forward_progress 0
		.amdhsa_shared_vgpr_count 0
		.amdhsa_exception_fp_ieee_invalid_op 0
		.amdhsa_exception_fp_denorm_src 0
		.amdhsa_exception_fp_ieee_div_zero 0
		.amdhsa_exception_fp_ieee_overflow 0
		.amdhsa_exception_fp_ieee_underflow 0
		.amdhsa_exception_fp_ieee_inexact 0
		.amdhsa_exception_int_div_zero 0
	.end_amdhsa_kernel
	.section	.text._ZN5aiter43moe_smooth_per_token_scaled_quant_kernel_v1ItDB8_Li256ELi16ELb0ELb1ELi1024EEEvPT0_PfPT_S4_PiS7_iiiii,"axG",@progbits,_ZN5aiter43moe_smooth_per_token_scaled_quant_kernel_v1ItDB8_Li256ELi16ELb0ELb1ELi1024EEEvPT0_PfPT_S4_PiS7_iiiii,comdat
.Lfunc_end167:
	.size	_ZN5aiter43moe_smooth_per_token_scaled_quant_kernel_v1ItDB8_Li256ELi16ELb0ELb1ELi1024EEEvPT0_PfPT_S4_PiS7_iiiii, .Lfunc_end167-_ZN5aiter43moe_smooth_per_token_scaled_quant_kernel_v1ItDB8_Li256ELi16ELb0ELb1ELi1024EEEvPT0_PfPT_S4_PiS7_iiiii
                                        ; -- End function
	.section	.AMDGPU.csdata,"",@progbits
; Kernel info:
; codeLenInByte = 1968
; NumSgprs: 25
; NumVgprs: 48
; ScratchSize: 0
; MemoryBound: 0
; FloatMode: 240
; IeeeMode: 1
; LDSByteSize: 4128 bytes/workgroup (compile time only)
; SGPRBlocks: 3
; VGPRBlocks: 5
; NumSGPRsForWavesPerEU: 25
; NumVGPRsForWavesPerEU: 48
; Occupancy: 16
; WaveLimiterHint : 0
; COMPUTE_PGM_RSRC2:SCRATCH_EN: 0
; COMPUTE_PGM_RSRC2:USER_SGPR: 15
; COMPUTE_PGM_RSRC2:TRAP_HANDLER: 0
; COMPUTE_PGM_RSRC2:TGID_X_EN: 1
; COMPUTE_PGM_RSRC2:TGID_Y_EN: 0
; COMPUTE_PGM_RSRC2:TGID_Z_EN: 0
; COMPUTE_PGM_RSRC2:TIDIG_COMP_CNT: 0
	.section	.text._ZN5aiter43moe_smooth_per_token_scaled_quant_kernel_v1IDF16_DB8_Li256ELi16ELb0ELb0ELi1024EEEvPT0_PfPT_S4_PiS7_iiiii,"axG",@progbits,_ZN5aiter43moe_smooth_per_token_scaled_quant_kernel_v1IDF16_DB8_Li256ELi16ELb0ELb0ELi1024EEEvPT0_PfPT_S4_PiS7_iiiii,comdat
	.protected	_ZN5aiter43moe_smooth_per_token_scaled_quant_kernel_v1IDF16_DB8_Li256ELi16ELb0ELb0ELi1024EEEvPT0_PfPT_S4_PiS7_iiiii ; -- Begin function _ZN5aiter43moe_smooth_per_token_scaled_quant_kernel_v1IDF16_DB8_Li256ELi16ELb0ELb0ELi1024EEEvPT0_PfPT_S4_PiS7_iiiii
	.globl	_ZN5aiter43moe_smooth_per_token_scaled_quant_kernel_v1IDF16_DB8_Li256ELi16ELb0ELb0ELi1024EEEvPT0_PfPT_S4_PiS7_iiiii
	.p2align	8
	.type	_ZN5aiter43moe_smooth_per_token_scaled_quant_kernel_v1IDF16_DB8_Li256ELi16ELb0ELb0ELi1024EEEvPT0_PfPT_S4_PiS7_iiiii,@function
_ZN5aiter43moe_smooth_per_token_scaled_quant_kernel_v1IDF16_DB8_Li256ELi16ELb0ELb0ELi1024EEEvPT0_PfPT_S4_PiS7_iiiii: ; @_ZN5aiter43moe_smooth_per_token_scaled_quant_kernel_v1IDF16_DB8_Li256ELi16ELb0ELb0ELi1024EEEvPT0_PfPT_S4_PiS7_iiiii
; %bb.0:
	s_clause 0x2
	s_load_b128 s[4:7], s[0:1], 0x34
	s_load_b64 s[2:3], s[0:1], 0x20
	s_load_b64 s[12:13], s[0:1], 0x10
	v_and_b32_e32 v20, 31, v0
	s_mov_b32 s11, -1
	v_lshlrev_b32_e32 v1, 5, v0
	s_delay_alu instid0(VALU_DEP_2)
	v_lshlrev_b32_e32 v2, 2, v20
	s_waitcnt lgkmcnt(0)
	s_mul_i32 s20, s15, s4
	s_mul_hi_i32 s7, s6, s15
	s_ashr_i32 s21, s20, 31
	s_mul_i32 s6, s6, s15
	s_lshl_b64 s[8:9], s[20:21], 2
	s_mov_b32 s21, 0
	s_add_u32 s8, s2, s8
	s_addc_u32 s2, s3, s9
	s_lshl_b32 s10, s4, 2
	s_and_b32 s9, s2, 0xffff
	s_lshl_b64 s[2:3], s[6:7], 1
	buffer_load_b32 v9, v2, s[8:11], 0 offen
	s_add_u32 s8, s12, s2
	s_addc_u32 s2, s13, s3
	s_lshl_b32 s10, s5, 1
	s_and_b32 s9, s2, 0xffff
	s_clause 0x1
	buffer_load_b128 v[5:8], v1, s[8:11], 0 offen
	buffer_load_b128 v[1:4], v1, s[8:11], 16 offen
	s_cmp_lt_i32 s4, 1
	s_waitcnt vmcnt(0) expcnt(2) lgkmcnt(55)
	s_barrier
	buffer_gl0_inv
	s_cbranch_scc1 .LBB168_11
; %bb.1:
	s_clause 0x1
	s_load_b128 s[12:15], s[0:1], 0x0
	s_load_b64 s[6:7], s[0:1], 0x18
	s_add_i32 s1, s5, 15
	v_lshrrev_b32_e32 v10, 16, v5
	s_ashr_i32 s2, s1, 31
	v_lshrrev_b32_e32 v11, 16, v6
	s_lshr_b32 s2, s2, 28
	v_lshrrev_b32_e32 v12, 16, v7
	v_lshrrev_b32_e32 v13, 16, v8
	;; [unrolled: 1-line block ×7, first 2 shown]
	v_and_b32_e32 v22, 7, v0
	s_add_i32 s3, s5, 3
	s_add_i32 s1, s1, s2
	s_ashr_i32 s2, s3, 31
	s_ashr_i32 s1, s1, 4
	s_lshr_b32 s2, s2, 30
	v_cvt_f32_f16_e32 v5, v5
	v_cvt_f32_f16_e32 v10, v10
	;; [unrolled: 1-line block ×16, first 2 shown]
	v_dual_mov_b32 v23, 0x43e00000 :: v_dual_lshlrev_b32 v18, 4, v0
	v_lshlrev_b32_e32 v19, 6, v0
	v_cmp_eq_u32_e32 vcc_lo, 31, v20
	v_and_b32_e32 v20, 0x7c, v21
	v_dual_mov_b32 v22, 0xc3e00000 :: v_dual_lshlrev_b32 v21, 2, v22
	v_cmp_eq_u32_e64 s0, 0, v0
	v_cmp_gt_u32_e64 s1, s1, v0
	v_mov_b32_e32 v0, 0
	s_add_i32 s3, s3, s2
	s_mov_b32 s22, s5
	s_lshl_b32 s10, s5, 2
	s_and_b32 s18, s3, -4
	s_mov_b32 s5, 0x76543210
	s_branch .LBB168_4
.LBB168_2:                              ;   in Loop: Header=BB168_4 Depth=1
	s_or_b32 exec_lo, exec_lo, s3
.LBB168_3:                              ;   in Loop: Header=BB168_4 Depth=1
	s_add_i32 s21, s21, 1
	s_delay_alu instid0(SALU_CYCLE_1)
	s_cmp_eq_u32 s4, s21
	s_cbranch_scc1 .LBB168_11
.LBB168_4:                              ; =>This Inner Loop Header: Depth=1
	v_readlane_b32 s2, v9, s21
	s_delay_alu instid0(VALU_DEP_1)
	s_cmp_lt_i32 s2, 0
	s_cbranch_scc1 .LBB168_3
; %bb.5:                                ;   in Loop: Header=BB168_4 Depth=1
	s_mul_i32 s2, s2, s22
	s_delay_alu instid0(SALU_CYCLE_1) | instskip(NEXT) | instid1(SALU_CYCLE_1)
	s_ashr_i32 s3, s2, 31
	s_lshl_b64 s[2:3], s[2:3], 2
	s_waitcnt lgkmcnt(0)
	s_add_u32 s8, s6, s2
	s_addc_u32 s2, s7, s3
	s_delay_alu instid0(SALU_CYCLE_1)
	s_and_b32 s9, s2, 0xffff
	s_clause 0x3
	buffer_load_b128 v[24:27], v19, s[8:11], 0 offen
	buffer_load_b128 v[28:31], v19, s[8:11], 16 offen
	buffer_load_b128 v[40:43], v19, s[8:11], 32 offen
	buffer_load_b128 v[44:47], v19, s[8:11], 48 offen
	s_waitcnt vmcnt(3)
	v_dual_mul_f32 v38, v24, v5 :: v_dual_mul_f32 v39, v25, v10
	v_dual_mul_f32 v36, v26, v6 :: v_dual_mul_f32 v37, v27, v11
	s_waitcnt vmcnt(2)
	v_dual_mul_f32 v34, v28, v7 :: v_dual_mul_f32 v35, v29, v12
	s_delay_alu instid0(VALU_DEP_3) | instskip(SKIP_3) | instid1(VALU_DEP_3)
	v_max3_f32 v24, |v38|, 0x2edbe6ff, |v39|
	v_dual_mul_f32 v32, v30, v8 :: v_dual_mul_f32 v33, v31, v13
	s_waitcnt vmcnt(1)
	v_dual_mul_f32 v31, v40, v1 :: v_dual_mul_f32 v30, v41, v14
	v_max3_f32 v24, v24, |v36|, |v37|
	v_dual_mul_f32 v28, v42, v2 :: v_dual_mul_f32 v29, v43, v15
	s_waitcnt vmcnt(0)
	v_dual_mul_f32 v26, v44, v3 :: v_dual_mul_f32 v27, v45, v16
	s_delay_alu instid0(VALU_DEP_3) | instskip(SKIP_1) | instid1(VALU_DEP_2)
	v_max3_f32 v24, v24, |v34|, |v35|
	v_mul_f32_e32 v25, v47, v17
	v_max3_f32 v24, v24, |v32|, |v33|
	s_delay_alu instid0(VALU_DEP_1) | instskip(NEXT) | instid1(VALU_DEP_1)
	v_max3_f32 v24, v24, |v31|, |v30|
	v_max3_f32 v40, v24, |v28|, |v29|
	v_mul_f32_e32 v24, v46, v4
	s_delay_alu instid0(VALU_DEP_2) | instskip(NEXT) | instid1(VALU_DEP_1)
	v_max3_f32 v40, v40, |v26|, |v27|
	v_max3_f32 v40, v40, |v24|, |v25|
	s_delay_alu instid0(VALU_DEP_1) | instskip(NEXT) | instid1(VALU_DEP_1)
	v_mov_b32_dpp v41, v40 quad_perm:[1,0,3,2] row_mask:0xf bank_mask:0xf
	v_cmp_gt_f32_e64 s2, v40, v41
	s_delay_alu instid0(VALU_DEP_1) | instskip(NEXT) | instid1(VALU_DEP_1)
	v_cndmask_b32_e64 v40, v41, v40, s2
	v_mov_b32_dpp v41, v40 quad_perm:[2,3,0,1] row_mask:0xf bank_mask:0xf
	s_delay_alu instid0(VALU_DEP_1) | instskip(NEXT) | instid1(VALU_DEP_1)
	v_cmp_gt_f32_e64 s2, v40, v41
	v_cndmask_b32_e64 v40, v41, v40, s2
	s_delay_alu instid0(VALU_DEP_1) | instskip(NEXT) | instid1(VALU_DEP_1)
	v_mov_b32_dpp v41, v40 row_xmask:7 row_mask:0xf bank_mask:0xf
	v_cmp_gt_f32_e64 s2, v40, v41
	s_delay_alu instid0(VALU_DEP_1) | instskip(NEXT) | instid1(VALU_DEP_1)
	v_cndmask_b32_e64 v40, v41, v40, s2
	v_mov_b32_dpp v41, v40 row_xmask:15 row_mask:0xf bank_mask:0xf
	s_delay_alu instid0(VALU_DEP_1)
	v_cmp_gt_f32_e64 s2, v40, v41
	s_and_saveexec_b32 s3, vcc_lo
	s_cbranch_execz .LBB168_7
; %bb.6:                                ;   in Loop: Header=BB168_4 Depth=1
	s_delay_alu instid0(VALU_DEP_1) | instskip(NEXT) | instid1(VALU_DEP_1)
	v_cndmask_b32_e64 v40, v41, v40, s2
	v_permlanex16_b32 v41, v40, s5, 0xfedcba98 op_sel:[1,1]
	s_delay_alu instid0(VALU_DEP_1) | instskip(NEXT) | instid1(VALU_DEP_1)
	v_cmp_gt_f32_e64 s2, v40, v41
	v_cndmask_b32_e64 v40, v41, v40, s2
	ds_store_b32 v20, v40
.LBB168_7:                              ;   in Loop: Header=BB168_4 Depth=1
	s_or_b32 exec_lo, exec_lo, s3
	s_waitcnt lgkmcnt(0)
	s_waitcnt_vscnt null, 0x0
	s_barrier
	buffer_gl0_inv
	ds_load_b32 v40, v21
	s_waitcnt lgkmcnt(0)
	v_mov_b32_dpp v41, v40 quad_perm:[1,0,3,2] row_mask:0xf bank_mask:0xf
	s_delay_alu instid0(VALU_DEP_1) | instskip(NEXT) | instid1(VALU_DEP_1)
	v_cmp_gt_f32_e64 s2, v40, v41
	v_cndmask_b32_e64 v40, v41, v40, s2
	s_delay_alu instid0(VALU_DEP_1) | instskip(NEXT) | instid1(VALU_DEP_1)
	v_mov_b32_dpp v41, v40 quad_perm:[2,3,0,1] row_mask:0xf bank_mask:0xf
	v_cmp_gt_f32_e64 s2, v40, v41
	s_delay_alu instid0(VALU_DEP_1) | instskip(NEXT) | instid1(VALU_DEP_1)
	v_cndmask_b32_e64 v40, v41, v40, s2
	v_mov_b32_dpp v41, v40 row_xmask:7 row_mask:0xf bank_mask:0xf
	s_delay_alu instid0(VALU_DEP_1) | instskip(NEXT) | instid1(VALU_DEP_1)
	v_cmp_gt_f32_e64 s2, v40, v41
	v_cndmask_b32_e64 v40, v41, v40, s2
	s_add_i32 s2, s20, s21
	s_delay_alu instid0(VALU_DEP_1)
	v_mul_f32_e32 v40, 0x3b124925, v40
	s_and_saveexec_b32 s8, s0
	s_cbranch_execz .LBB168_9
; %bb.8:                                ;   in Loop: Header=BB168_4 Depth=1
	s_ashr_i32 s3, s2, 31
	s_delay_alu instid0(SALU_CYCLE_1) | instskip(NEXT) | instid1(SALU_CYCLE_1)
	s_lshl_b64 s[16:17], s[2:3], 2
	s_add_u32 s16, s14, s16
	s_addc_u32 s17, s15, s17
	global_store_b32 v0, v40, s[16:17]
.LBB168_9:                              ;   in Loop: Header=BB168_4 Depth=1
	s_or_b32 exec_lo, exec_lo, s8
	s_and_saveexec_b32 s3, s1
	s_cbranch_execz .LBB168_2
; %bb.10:                               ;   in Loop: Header=BB168_4 Depth=1
	v_rcp_f32_e32 v40, v40
	s_mul_i32 s8, s2, s22
	s_mul_hi_i32 s2, s2, s22
	s_add_u32 s16, s12, s8
	s_addc_u32 s2, s13, s2
	s_mov_b32 s19, s11
	s_and_b32 s17, s2, 0xffff
	s_waitcnt_depctr 0xfff
	v_mul_f32_e32 v38, v38, v40
	v_mul_f32_e32 v39, v39, v40
	;; [unrolled: 1-line block ×5, first 2 shown]
	;;#ASMSTART
	v_med3_f32 v38, v38, v22, v23
v_med3_f32 v39, v39, v22, v23
v_cvt_pk_fp8_f32 v31, v38, v39
	;;#ASMEND
	;;#ASMSTART
	v_med3_f32 v36, v36, v22, v23
v_med3_f32 v37, v37, v22, v23
v_cvt_pk_fp8_f32 v38, v36, v37
	;;#ASMEND
	v_perm_b32 v36, v38, v31, 0x5040100
	v_mul_f32_e32 v34, v34, v40
	v_mul_f32_e32 v35, v35, v40
	;; [unrolled: 1-line block ×5, first 2 shown]
	;;#ASMSTART
	v_med3_f32 v34, v34, v22, v23
v_med3_f32 v35, v35, v22, v23
v_cvt_pk_fp8_f32 v30, v34, v35
	;;#ASMEND
	;;#ASMSTART
	v_med3_f32 v32, v32, v22, v23
v_med3_f32 v33, v33, v22, v23
v_cvt_pk_fp8_f32 v31, v32, v33
	;;#ASMEND
	v_mul_f32_e32 v28, v28, v40
	v_mul_f32_e32 v29, v29, v40
	;; [unrolled: 1-line block ×4, first 2 shown]
	;;#ASMSTART
	v_med3_f32 v41, v41, v22, v23
v_med3_f32 v37, v37, v22, v23
v_cvt_pk_fp8_f32 v32, v41, v37
	;;#ASMEND
	;;#ASMSTART
	v_med3_f32 v28, v28, v22, v23
v_med3_f32 v29, v29, v22, v23
v_cvt_pk_fp8_f32 v33, v28, v29
	;;#ASMEND
	v_mul_f32_e32 v24, v24, v40
	v_mul_f32_e32 v25, v25, v40
	;;#ASMSTART
	v_med3_f32 v26, v26, v22, v23
v_med3_f32 v27, v27, v22, v23
v_cvt_pk_fp8_f32 v28, v26, v27
	;;#ASMEND
	v_perm_b32 v31, v30, v31, 0x1000504
	v_perm_b32 v30, v36, v38, 0x1060504
	;; [unrolled: 1-line block ×3, first 2 shown]
	;;#ASMSTART
	v_med3_f32 v24, v24, v22, v23
v_med3_f32 v25, v25, v22, v23
v_cvt_pk_fp8_f32 v26, v24, v25
	;;#ASMEND
	v_perm_b32 v33, v28, v26, 0x1000504
	buffer_store_b128 v[30:33], v18, s[16:19], 0 offen
	;;#ASMSTART
	s_nop 0
	;;#ASMEND
	s_branch .LBB168_2
.LBB168_11:
	s_nop 0
	s_sendmsg sendmsg(MSG_DEALLOC_VGPRS)
	s_endpgm
	.section	.rodata,"a",@progbits
	.p2align	6, 0x0
	.amdhsa_kernel _ZN5aiter43moe_smooth_per_token_scaled_quant_kernel_v1IDF16_DB8_Li256ELi16ELb0ELb0ELi1024EEEvPT0_PfPT_S4_PiS7_iiiii
		.amdhsa_group_segment_fixed_size 32
		.amdhsa_private_segment_fixed_size 0
		.amdhsa_kernarg_size 68
		.amdhsa_user_sgpr_count 15
		.amdhsa_user_sgpr_dispatch_ptr 0
		.amdhsa_user_sgpr_queue_ptr 0
		.amdhsa_user_sgpr_kernarg_segment_ptr 1
		.amdhsa_user_sgpr_dispatch_id 0
		.amdhsa_user_sgpr_private_segment_size 0
		.amdhsa_wavefront_size32 1
		.amdhsa_uses_dynamic_stack 0
		.amdhsa_enable_private_segment 0
		.amdhsa_system_sgpr_workgroup_id_x 1
		.amdhsa_system_sgpr_workgroup_id_y 0
		.amdhsa_system_sgpr_workgroup_id_z 0
		.amdhsa_system_sgpr_workgroup_info 0
		.amdhsa_system_vgpr_workitem_id 0
		.amdhsa_next_free_vgpr 48
		.amdhsa_next_free_sgpr 23
		.amdhsa_reserve_vcc 1
		.amdhsa_float_round_mode_32 0
		.amdhsa_float_round_mode_16_64 0
		.amdhsa_float_denorm_mode_32 3
		.amdhsa_float_denorm_mode_16_64 3
		.amdhsa_dx10_clamp 1
		.amdhsa_ieee_mode 1
		.amdhsa_fp16_overflow 0
		.amdhsa_workgroup_processor_mode 1
		.amdhsa_memory_ordered 1
		.amdhsa_forward_progress 0
		.amdhsa_shared_vgpr_count 0
		.amdhsa_exception_fp_ieee_invalid_op 0
		.amdhsa_exception_fp_denorm_src 0
		.amdhsa_exception_fp_ieee_div_zero 0
		.amdhsa_exception_fp_ieee_overflow 0
		.amdhsa_exception_fp_ieee_underflow 0
		.amdhsa_exception_fp_ieee_inexact 0
		.amdhsa_exception_int_div_zero 0
	.end_amdhsa_kernel
	.section	.text._ZN5aiter43moe_smooth_per_token_scaled_quant_kernel_v1IDF16_DB8_Li256ELi16ELb0ELb0ELi1024EEEvPT0_PfPT_S4_PiS7_iiiii,"axG",@progbits,_ZN5aiter43moe_smooth_per_token_scaled_quant_kernel_v1IDF16_DB8_Li256ELi16ELb0ELb0ELi1024EEEvPT0_PfPT_S4_PiS7_iiiii,comdat
.Lfunc_end168:
	.size	_ZN5aiter43moe_smooth_per_token_scaled_quant_kernel_v1IDF16_DB8_Li256ELi16ELb0ELb0ELi1024EEEvPT0_PfPT_S4_PiS7_iiiii, .Lfunc_end168-_ZN5aiter43moe_smooth_per_token_scaled_quant_kernel_v1IDF16_DB8_Li256ELi16ELb0ELb0ELi1024EEEvPT0_PfPT_S4_PiS7_iiiii
                                        ; -- End function
	.section	.AMDGPU.csdata,"",@progbits
; Kernel info:
; codeLenInByte = 1740
; NumSgprs: 25
; NumVgprs: 48
; ScratchSize: 0
; MemoryBound: 0
; FloatMode: 240
; IeeeMode: 1
; LDSByteSize: 32 bytes/workgroup (compile time only)
; SGPRBlocks: 3
; VGPRBlocks: 5
; NumSGPRsForWavesPerEU: 25
; NumVGPRsForWavesPerEU: 48
; Occupancy: 16
; WaveLimiterHint : 0
; COMPUTE_PGM_RSRC2:SCRATCH_EN: 0
; COMPUTE_PGM_RSRC2:USER_SGPR: 15
; COMPUTE_PGM_RSRC2:TRAP_HANDLER: 0
; COMPUTE_PGM_RSRC2:TGID_X_EN: 1
; COMPUTE_PGM_RSRC2:TGID_Y_EN: 0
; COMPUTE_PGM_RSRC2:TGID_Z_EN: 0
; COMPUTE_PGM_RSRC2:TIDIG_COMP_CNT: 0
	.section	.text._ZN5aiter43moe_smooth_per_token_scaled_quant_kernel_v1ItDB8_Li256ELi16ELb0ELb0ELi1024EEEvPT0_PfPT_S4_PiS7_iiiii,"axG",@progbits,_ZN5aiter43moe_smooth_per_token_scaled_quant_kernel_v1ItDB8_Li256ELi16ELb0ELb0ELi1024EEEvPT0_PfPT_S4_PiS7_iiiii,comdat
	.protected	_ZN5aiter43moe_smooth_per_token_scaled_quant_kernel_v1ItDB8_Li256ELi16ELb0ELb0ELi1024EEEvPT0_PfPT_S4_PiS7_iiiii ; -- Begin function _ZN5aiter43moe_smooth_per_token_scaled_quant_kernel_v1ItDB8_Li256ELi16ELb0ELb0ELi1024EEEvPT0_PfPT_S4_PiS7_iiiii
	.globl	_ZN5aiter43moe_smooth_per_token_scaled_quant_kernel_v1ItDB8_Li256ELi16ELb0ELb0ELi1024EEEvPT0_PfPT_S4_PiS7_iiiii
	.p2align	8
	.type	_ZN5aiter43moe_smooth_per_token_scaled_quant_kernel_v1ItDB8_Li256ELi16ELb0ELb0ELi1024EEEvPT0_PfPT_S4_PiS7_iiiii,@function
_ZN5aiter43moe_smooth_per_token_scaled_quant_kernel_v1ItDB8_Li256ELi16ELb0ELb0ELi1024EEEvPT0_PfPT_S4_PiS7_iiiii: ; @_ZN5aiter43moe_smooth_per_token_scaled_quant_kernel_v1ItDB8_Li256ELi16ELb0ELb0ELi1024EEEvPT0_PfPT_S4_PiS7_iiiii
; %bb.0:
	s_clause 0x2
	s_load_b128 s[4:7], s[0:1], 0x34
	s_load_b64 s[2:3], s[0:1], 0x20
	s_load_b64 s[12:13], s[0:1], 0x10
	v_and_b32_e32 v20, 31, v0
	s_mov_b32 s11, -1
	v_lshlrev_b32_e32 v1, 5, v0
	s_delay_alu instid0(VALU_DEP_2)
	v_lshlrev_b32_e32 v2, 2, v20
	s_waitcnt lgkmcnt(0)
	s_mul_i32 s20, s15, s4
	s_mul_hi_i32 s7, s6, s15
	s_ashr_i32 s21, s20, 31
	s_mul_i32 s6, s6, s15
	s_lshl_b64 s[8:9], s[20:21], 2
	s_mov_b32 s21, 0
	s_add_u32 s8, s2, s8
	s_addc_u32 s2, s3, s9
	s_lshl_b32 s10, s4, 2
	s_and_b32 s9, s2, 0xffff
	s_lshl_b64 s[2:3], s[6:7], 1
	buffer_load_b32 v9, v2, s[8:11], 0 offen
	s_add_u32 s8, s12, s2
	s_addc_u32 s2, s13, s3
	s_lshl_b32 s10, s5, 1
	s_and_b32 s9, s2, 0xffff
	s_clause 0x1
	buffer_load_b128 v[5:8], v1, s[8:11], 0 offen
	buffer_load_b128 v[1:4], v1, s[8:11], 16 offen
	s_cmp_lt_i32 s4, 1
	s_waitcnt vmcnt(0) expcnt(2) lgkmcnt(55)
	s_barrier
	buffer_gl0_inv
	s_cbranch_scc1 .LBB169_11
; %bb.1:
	v_and_b32_e32 v10, 0xffff, v5
	s_clause 0x1
	s_load_b128 s[12:15], s[0:1], 0x0
	s_load_b64 s[6:7], s[0:1], 0x18
	v_lshrrev_b32_e32 v11, 16, v5
	v_and_b32_e32 v12, 0xffff, v6
	v_and_b32_e32 v13, 0xffff, v7
	v_lshrrev_b32_e32 v14, 16, v7
	v_cvt_f32_u32_e32 v5, v10
	v_lshrrev_b32_e32 v10, 16, v6
	v_cvt_f32_u32_e32 v6, v11
	v_cvt_f32_u32_e32 v7, v12
	;; [unrolled: 1-line block ×4, first 2 shown]
	v_and_b32_e32 v13, 0xffff, v8
	v_and_b32_e32 v14, 0xffff, v1
	v_lshrrev_b32_e32 v15, 16, v1
	v_and_b32_e32 v16, 0xffff, v2
	s_add_i32 s1, s5, 15
	v_lshrrev_b32_e32 v8, 16, v8
	s_ashr_i32 s2, s1, 31
	v_cvt_f32_u32_e32 v1, v13
	s_lshr_b32 s2, s2, 28
	v_cvt_f32_u32_e32 v13, v14
	v_cvt_f32_u32_e32 v14, v15
	;; [unrolled: 1-line block ×3, first 2 shown]
	v_lshrrev_b32_e32 v2, 16, v2
	v_and_b32_e32 v16, 0xffff, v3
	v_lshrrev_b32_e32 v17, 16, v3
	v_and_b32_e32 v18, 0xffff, v4
	v_lshrrev_b32_e32 v19, 16, v4
	v_lshrrev_b32_e32 v21, 3, v0
	v_and_b32_e32 v22, 7, v0
	s_add_i32 s3, s5, 3
	s_add_i32 s1, s1, s2
	s_ashr_i32 s2, s3, 31
	s_ashr_i32 s1, s1, 4
	s_lshr_b32 s2, s2, 30
	v_cvt_f32_u32_e32 v10, v10
	v_cvt_f32_u32_e32 v8, v8
	;; [unrolled: 1-line block ×7, first 2 shown]
	v_dual_mov_b32 v23, 0x43e00000 :: v_dual_lshlrev_b32 v18, 4, v0
	v_lshlrev_b32_e32 v19, 6, v0
	v_cmp_eq_u32_e32 vcc_lo, 31, v20
	v_and_b32_e32 v20, 0x7c, v21
	v_dual_mov_b32 v22, 0xc3e00000 :: v_dual_lshlrev_b32 v21, 2, v22
	v_cmp_eq_u32_e64 s0, 0, v0
	v_cmp_gt_u32_e64 s1, s1, v0
	v_mov_b32_e32 v0, 0
	s_add_i32 s3, s3, s2
	s_mov_b32 s22, s5
	s_lshl_b32 s10, s5, 2
	s_and_b32 s18, s3, -4
	s_mov_b32 s5, 0x76543210
	s_branch .LBB169_4
.LBB169_2:                              ;   in Loop: Header=BB169_4 Depth=1
	s_or_b32 exec_lo, exec_lo, s3
.LBB169_3:                              ;   in Loop: Header=BB169_4 Depth=1
	s_add_i32 s21, s21, 1
	s_delay_alu instid0(SALU_CYCLE_1)
	s_cmp_eq_u32 s4, s21
	s_cbranch_scc1 .LBB169_11
.LBB169_4:                              ; =>This Inner Loop Header: Depth=1
	v_readlane_b32 s2, v9, s21
	s_delay_alu instid0(VALU_DEP_1)
	s_cmp_lt_i32 s2, 0
	s_cbranch_scc1 .LBB169_3
; %bb.5:                                ;   in Loop: Header=BB169_4 Depth=1
	s_mul_i32 s2, s2, s22
	s_delay_alu instid0(SALU_CYCLE_1) | instskip(NEXT) | instid1(SALU_CYCLE_1)
	s_ashr_i32 s3, s2, 31
	s_lshl_b64 s[2:3], s[2:3], 2
	s_waitcnt lgkmcnt(0)
	s_add_u32 s8, s6, s2
	s_addc_u32 s2, s7, s3
	s_delay_alu instid0(SALU_CYCLE_1)
	s_and_b32 s9, s2, 0xffff
	s_clause 0x3
	buffer_load_b128 v[24:27], v19, s[8:11], 0 offen
	buffer_load_b128 v[28:31], v19, s[8:11], 16 offen
	;; [unrolled: 1-line block ×4, first 2 shown]
	s_waitcnt vmcnt(3)
	v_dual_mul_f32 v38, v24, v5 :: v_dual_mul_f32 v39, v25, v6
	v_dual_mul_f32 v36, v26, v7 :: v_dual_mul_f32 v37, v27, v10
	s_waitcnt vmcnt(2)
	v_dual_mul_f32 v34, v28, v11 :: v_dual_mul_f32 v35, v29, v12
	s_delay_alu instid0(VALU_DEP_3) | instskip(SKIP_3) | instid1(VALU_DEP_3)
	v_max3_f32 v24, |v38|, 0x2edbe6ff, |v39|
	v_dual_mul_f32 v32, v30, v1 :: v_dual_mul_f32 v33, v31, v8
	s_waitcnt vmcnt(1)
	v_dual_mul_f32 v31, v40, v13 :: v_dual_mul_f32 v30, v41, v14
	v_max3_f32 v24, v24, |v36|, |v37|
	v_dual_mul_f32 v28, v42, v15 :: v_dual_mul_f32 v29, v43, v2
	s_waitcnt vmcnt(0)
	v_dual_mul_f32 v26, v44, v3 :: v_dual_mul_f32 v27, v45, v4
	s_delay_alu instid0(VALU_DEP_3) | instskip(SKIP_1) | instid1(VALU_DEP_2)
	v_max3_f32 v24, v24, |v34|, |v35|
	v_mul_f32_e32 v25, v47, v17
	v_max3_f32 v24, v24, |v32|, |v33|
	s_delay_alu instid0(VALU_DEP_1) | instskip(NEXT) | instid1(VALU_DEP_1)
	v_max3_f32 v24, v24, |v31|, |v30|
	v_max3_f32 v40, v24, |v28|, |v29|
	v_mul_f32_e32 v24, v46, v16
	s_delay_alu instid0(VALU_DEP_2) | instskip(NEXT) | instid1(VALU_DEP_1)
	v_max3_f32 v40, v40, |v26|, |v27|
	v_max3_f32 v40, v40, |v24|, |v25|
	s_delay_alu instid0(VALU_DEP_1) | instskip(NEXT) | instid1(VALU_DEP_1)
	v_mov_b32_dpp v41, v40 quad_perm:[1,0,3,2] row_mask:0xf bank_mask:0xf
	v_cmp_gt_f32_e64 s2, v40, v41
	s_delay_alu instid0(VALU_DEP_1) | instskip(NEXT) | instid1(VALU_DEP_1)
	v_cndmask_b32_e64 v40, v41, v40, s2
	v_mov_b32_dpp v41, v40 quad_perm:[2,3,0,1] row_mask:0xf bank_mask:0xf
	s_delay_alu instid0(VALU_DEP_1) | instskip(NEXT) | instid1(VALU_DEP_1)
	v_cmp_gt_f32_e64 s2, v40, v41
	v_cndmask_b32_e64 v40, v41, v40, s2
	s_delay_alu instid0(VALU_DEP_1) | instskip(NEXT) | instid1(VALU_DEP_1)
	v_mov_b32_dpp v41, v40 row_xmask:7 row_mask:0xf bank_mask:0xf
	v_cmp_gt_f32_e64 s2, v40, v41
	s_delay_alu instid0(VALU_DEP_1) | instskip(NEXT) | instid1(VALU_DEP_1)
	v_cndmask_b32_e64 v40, v41, v40, s2
	v_mov_b32_dpp v41, v40 row_xmask:15 row_mask:0xf bank_mask:0xf
	s_delay_alu instid0(VALU_DEP_1)
	v_cmp_gt_f32_e64 s2, v40, v41
	s_and_saveexec_b32 s3, vcc_lo
	s_cbranch_execz .LBB169_7
; %bb.6:                                ;   in Loop: Header=BB169_4 Depth=1
	s_delay_alu instid0(VALU_DEP_1) | instskip(NEXT) | instid1(VALU_DEP_1)
	v_cndmask_b32_e64 v40, v41, v40, s2
	v_permlanex16_b32 v41, v40, s5, 0xfedcba98 op_sel:[1,1]
	s_delay_alu instid0(VALU_DEP_1) | instskip(NEXT) | instid1(VALU_DEP_1)
	v_cmp_gt_f32_e64 s2, v40, v41
	v_cndmask_b32_e64 v40, v41, v40, s2
	ds_store_b32 v20, v40
.LBB169_7:                              ;   in Loop: Header=BB169_4 Depth=1
	s_or_b32 exec_lo, exec_lo, s3
	s_waitcnt lgkmcnt(0)
	s_waitcnt_vscnt null, 0x0
	s_barrier
	buffer_gl0_inv
	ds_load_b32 v40, v21
	s_waitcnt lgkmcnt(0)
	v_mov_b32_dpp v41, v40 quad_perm:[1,0,3,2] row_mask:0xf bank_mask:0xf
	s_delay_alu instid0(VALU_DEP_1) | instskip(NEXT) | instid1(VALU_DEP_1)
	v_cmp_gt_f32_e64 s2, v40, v41
	v_cndmask_b32_e64 v40, v41, v40, s2
	s_delay_alu instid0(VALU_DEP_1) | instskip(NEXT) | instid1(VALU_DEP_1)
	v_mov_b32_dpp v41, v40 quad_perm:[2,3,0,1] row_mask:0xf bank_mask:0xf
	v_cmp_gt_f32_e64 s2, v40, v41
	s_delay_alu instid0(VALU_DEP_1) | instskip(NEXT) | instid1(VALU_DEP_1)
	v_cndmask_b32_e64 v40, v41, v40, s2
	v_mov_b32_dpp v41, v40 row_xmask:7 row_mask:0xf bank_mask:0xf
	s_delay_alu instid0(VALU_DEP_1) | instskip(NEXT) | instid1(VALU_DEP_1)
	v_cmp_gt_f32_e64 s2, v40, v41
	v_cndmask_b32_e64 v40, v41, v40, s2
	s_add_i32 s2, s20, s21
	s_delay_alu instid0(VALU_DEP_1)
	v_mul_f32_e32 v40, 0x3b124925, v40
	s_and_saveexec_b32 s8, s0
	s_cbranch_execz .LBB169_9
; %bb.8:                                ;   in Loop: Header=BB169_4 Depth=1
	s_ashr_i32 s3, s2, 31
	s_delay_alu instid0(SALU_CYCLE_1) | instskip(NEXT) | instid1(SALU_CYCLE_1)
	s_lshl_b64 s[16:17], s[2:3], 2
	s_add_u32 s16, s14, s16
	s_addc_u32 s17, s15, s17
	global_store_b32 v0, v40, s[16:17]
.LBB169_9:                              ;   in Loop: Header=BB169_4 Depth=1
	s_or_b32 exec_lo, exec_lo, s8
	s_and_saveexec_b32 s3, s1
	s_cbranch_execz .LBB169_2
; %bb.10:                               ;   in Loop: Header=BB169_4 Depth=1
	v_rcp_f32_e32 v40, v40
	s_mul_i32 s8, s2, s22
	s_mul_hi_i32 s2, s2, s22
	s_add_u32 s16, s12, s8
	s_addc_u32 s2, s13, s2
	s_mov_b32 s19, s11
	s_and_b32 s17, s2, 0xffff
	s_waitcnt_depctr 0xfff
	v_mul_f32_e32 v38, v38, v40
	v_mul_f32_e32 v39, v39, v40
	;; [unrolled: 1-line block ×5, first 2 shown]
	;;#ASMSTART
	v_med3_f32 v38, v38, v22, v23
v_med3_f32 v39, v39, v22, v23
v_cvt_pk_fp8_f32 v31, v38, v39
	;;#ASMEND
	;;#ASMSTART
	v_med3_f32 v36, v36, v22, v23
v_med3_f32 v37, v37, v22, v23
v_cvt_pk_fp8_f32 v38, v36, v37
	;;#ASMEND
	v_perm_b32 v36, v38, v31, 0x5040100
	v_mul_f32_e32 v34, v34, v40
	v_mul_f32_e32 v35, v35, v40
	;; [unrolled: 1-line block ×5, first 2 shown]
	;;#ASMSTART
	v_med3_f32 v34, v34, v22, v23
v_med3_f32 v35, v35, v22, v23
v_cvt_pk_fp8_f32 v30, v34, v35
	;;#ASMEND
	;;#ASMSTART
	v_med3_f32 v32, v32, v22, v23
v_med3_f32 v33, v33, v22, v23
v_cvt_pk_fp8_f32 v31, v32, v33
	;;#ASMEND
	v_mul_f32_e32 v28, v28, v40
	v_mul_f32_e32 v29, v29, v40
	;; [unrolled: 1-line block ×4, first 2 shown]
	;;#ASMSTART
	v_med3_f32 v41, v41, v22, v23
v_med3_f32 v37, v37, v22, v23
v_cvt_pk_fp8_f32 v32, v41, v37
	;;#ASMEND
	;;#ASMSTART
	v_med3_f32 v28, v28, v22, v23
v_med3_f32 v29, v29, v22, v23
v_cvt_pk_fp8_f32 v33, v28, v29
	;;#ASMEND
	v_mul_f32_e32 v24, v24, v40
	v_mul_f32_e32 v25, v25, v40
	;;#ASMSTART
	v_med3_f32 v26, v26, v22, v23
v_med3_f32 v27, v27, v22, v23
v_cvt_pk_fp8_f32 v28, v26, v27
	;;#ASMEND
	v_perm_b32 v31, v30, v31, 0x1000504
	v_perm_b32 v30, v36, v38, 0x1060504
	;; [unrolled: 1-line block ×3, first 2 shown]
	;;#ASMSTART
	v_med3_f32 v24, v24, v22, v23
v_med3_f32 v25, v25, v22, v23
v_cvt_pk_fp8_f32 v26, v24, v25
	;;#ASMEND
	v_perm_b32 v33, v28, v26, 0x1000504
	buffer_store_b128 v[30:33], v18, s[16:19], 0 offen
	;;#ASMSTART
	s_nop 0
	;;#ASMEND
	s_branch .LBB169_2
.LBB169_11:
	s_nop 0
	s_sendmsg sendmsg(MSG_DEALLOC_VGPRS)
	s_endpgm
	.section	.rodata,"a",@progbits
	.p2align	6, 0x0
	.amdhsa_kernel _ZN5aiter43moe_smooth_per_token_scaled_quant_kernel_v1ItDB8_Li256ELi16ELb0ELb0ELi1024EEEvPT0_PfPT_S4_PiS7_iiiii
		.amdhsa_group_segment_fixed_size 32
		.amdhsa_private_segment_fixed_size 0
		.amdhsa_kernarg_size 68
		.amdhsa_user_sgpr_count 15
		.amdhsa_user_sgpr_dispatch_ptr 0
		.amdhsa_user_sgpr_queue_ptr 0
		.amdhsa_user_sgpr_kernarg_segment_ptr 1
		.amdhsa_user_sgpr_dispatch_id 0
		.amdhsa_user_sgpr_private_segment_size 0
		.amdhsa_wavefront_size32 1
		.amdhsa_uses_dynamic_stack 0
		.amdhsa_enable_private_segment 0
		.amdhsa_system_sgpr_workgroup_id_x 1
		.amdhsa_system_sgpr_workgroup_id_y 0
		.amdhsa_system_sgpr_workgroup_id_z 0
		.amdhsa_system_sgpr_workgroup_info 0
		.amdhsa_system_vgpr_workitem_id 0
		.amdhsa_next_free_vgpr 48
		.amdhsa_next_free_sgpr 23
		.amdhsa_reserve_vcc 1
		.amdhsa_float_round_mode_32 0
		.amdhsa_float_round_mode_16_64 0
		.amdhsa_float_denorm_mode_32 3
		.amdhsa_float_denorm_mode_16_64 3
		.amdhsa_dx10_clamp 1
		.amdhsa_ieee_mode 1
		.amdhsa_fp16_overflow 0
		.amdhsa_workgroup_processor_mode 1
		.amdhsa_memory_ordered 1
		.amdhsa_forward_progress 0
		.amdhsa_shared_vgpr_count 0
		.amdhsa_exception_fp_ieee_invalid_op 0
		.amdhsa_exception_fp_denorm_src 0
		.amdhsa_exception_fp_ieee_div_zero 0
		.amdhsa_exception_fp_ieee_overflow 0
		.amdhsa_exception_fp_ieee_underflow 0
		.amdhsa_exception_fp_ieee_inexact 0
		.amdhsa_exception_int_div_zero 0
	.end_amdhsa_kernel
	.section	.text._ZN5aiter43moe_smooth_per_token_scaled_quant_kernel_v1ItDB8_Li256ELi16ELb0ELb0ELi1024EEEvPT0_PfPT_S4_PiS7_iiiii,"axG",@progbits,_ZN5aiter43moe_smooth_per_token_scaled_quant_kernel_v1ItDB8_Li256ELi16ELb0ELb0ELi1024EEEvPT0_PfPT_S4_PiS7_iiiii,comdat
.Lfunc_end169:
	.size	_ZN5aiter43moe_smooth_per_token_scaled_quant_kernel_v1ItDB8_Li256ELi16ELb0ELb0ELi1024EEEvPT0_PfPT_S4_PiS7_iiiii, .Lfunc_end169-_ZN5aiter43moe_smooth_per_token_scaled_quant_kernel_v1ItDB8_Li256ELi16ELb0ELb0ELi1024EEEvPT0_PfPT_S4_PiS7_iiiii
                                        ; -- End function
	.section	.AMDGPU.csdata,"",@progbits
; Kernel info:
; codeLenInByte = 1804
; NumSgprs: 25
; NumVgprs: 48
; ScratchSize: 0
; MemoryBound: 0
; FloatMode: 240
; IeeeMode: 1
; LDSByteSize: 32 bytes/workgroup (compile time only)
; SGPRBlocks: 3
; VGPRBlocks: 5
; NumSGPRsForWavesPerEU: 25
; NumVGPRsForWavesPerEU: 48
; Occupancy: 16
; WaveLimiterHint : 0
; COMPUTE_PGM_RSRC2:SCRATCH_EN: 0
; COMPUTE_PGM_RSRC2:USER_SGPR: 15
; COMPUTE_PGM_RSRC2:TRAP_HANDLER: 0
; COMPUTE_PGM_RSRC2:TGID_X_EN: 1
; COMPUTE_PGM_RSRC2:TGID_Y_EN: 0
; COMPUTE_PGM_RSRC2:TGID_Z_EN: 0
; COMPUTE_PGM_RSRC2:TIDIG_COMP_CNT: 0
	.section	.text._ZN5aiter43moe_smooth_per_token_scaled_quant_kernel_v1IDF16_DB8_Li512ELi16ELb1ELb1ELi1024EEEvPT0_PfPT_S4_PiS7_iiiii,"axG",@progbits,_ZN5aiter43moe_smooth_per_token_scaled_quant_kernel_v1IDF16_DB8_Li512ELi16ELb1ELb1ELi1024EEEvPT0_PfPT_S4_PiS7_iiiii,comdat
	.protected	_ZN5aiter43moe_smooth_per_token_scaled_quant_kernel_v1IDF16_DB8_Li512ELi16ELb1ELb1ELi1024EEEvPT0_PfPT_S4_PiS7_iiiii ; -- Begin function _ZN5aiter43moe_smooth_per_token_scaled_quant_kernel_v1IDF16_DB8_Li512ELi16ELb1ELb1ELi1024EEEvPT0_PfPT_S4_PiS7_iiiii
	.globl	_ZN5aiter43moe_smooth_per_token_scaled_quant_kernel_v1IDF16_DB8_Li512ELi16ELb1ELb1ELi1024EEEvPT0_PfPT_S4_PiS7_iiiii
	.p2align	8
	.type	_ZN5aiter43moe_smooth_per_token_scaled_quant_kernel_v1IDF16_DB8_Li512ELi16ELb1ELb1ELi1024EEEvPT0_PfPT_S4_PiS7_iiiii,@function
_ZN5aiter43moe_smooth_per_token_scaled_quant_kernel_v1IDF16_DB8_Li512ELi16ELb1ELb1ELi1024EEEvPT0_PfPT_S4_PiS7_iiiii: ; @_ZN5aiter43moe_smooth_per_token_scaled_quant_kernel_v1IDF16_DB8_Li512ELi16ELb1ELb1ELi1024EEEvPT0_PfPT_S4_PiS7_iiiii
; %bb.0:
	s_clause 0x2
	s_load_b32 s18, s[0:1], 0x40
	s_load_b256 s[4:11], s[0:1], 0x20
	s_load_b64 s[2:3], s[0:1], 0x10
	s_mov_b32 s20, s15
	v_and_b32_e32 v20, 31, v0
	v_lshlrev_b32_e32 v10, 2, v0
	s_mov_b32 s15, -1
	s_delay_alu instid0(VALU_DEP_2)
	v_lshlrev_b32_e32 v1, 2, v20
	s_waitcnt lgkmcnt(0)
	s_lshl_b32 s14, s18, 2
	s_mul_i32 s16, s20, s9
	s_and_b32 s13, s7, 0xffff
	s_ashr_i32 s17, s16, 31
	s_mov_b32 s12, s6
	s_lshl_b64 s[16:17], s[16:17], 2
	s_clause 0x1
	buffer_load_b32 v11, v10, s[12:15], 0 offen
	buffer_load_b32 v12, v10, s[12:15], 0 offen offset:2048
	s_add_u32 s12, s4, s16
	s_addc_u32 s4, s5, s17
	s_lshl_b32 s14, s9, 2
	s_and_b32 s13, s4, 0xffff
	s_mul_hi_i32 s7, s11, s20
	s_mul_i32 s6, s11, s20
	buffer_load_b32 v9, v1, s[12:15], 0 offen
	s_lshl_b64 s[4:5], s[6:7], 1
	v_lshlrev_b32_e32 v1, 5, v0
	s_add_u32 s12, s2, s4
	s_addc_u32 s2, s3, s5
	s_lshl_b32 s14, s10, 1
	s_and_b32 s13, s2, 0xffff
	s_clause 0x1
	buffer_load_b128 v[5:8], v1, s[12:15], 0 offen
	buffer_load_b128 v[1:4], v1, s[12:15], 16 offen
	v_cmp_gt_i32_e32 vcc_lo, s9, v20
	s_waitcnt vmcnt(3)
	ds_store_2addr_stride64_b32 v10, v11, v12 offset1:8
	s_waitcnt vmcnt(0) expcnt(2) lgkmcnt(0)
	s_barrier
	buffer_gl0_inv
	v_cmp_gt_i32_e64 s2, s18, v9
	v_cmp_lt_i32_e64 s3, -1, v9
	s_delay_alu instid0(VALU_DEP_2)
	s_and_b32 s2, vcc_lo, s2
	s_delay_alu instid0(VALU_DEP_1) | instid1(SALU_CYCLE_1)
	s_and_b32 s3, s2, s3
	s_delay_alu instid0(SALU_CYCLE_1)
	s_and_saveexec_b32 s2, s3
	s_cbranch_execz .LBB170_2
; %bb.1:
	v_lshlrev_b32_e32 v9, 2, v9
	ds_load_b32 v9, v9
.LBB170_2:
	s_or_b32 exec_lo, exec_lo, s2
	s_cmp_lt_i32 s9, 1
	s_cbranch_scc1 .LBB170_13
; %bb.3:
	s_clause 0x1
	s_load_b128 s[4:7], s[0:1], 0x0
	s_load_b64 s[22:23], s[0:1], 0x18
	s_add_i32 s1, s10, 15
	v_lshrrev_b32_e32 v10, 16, v5
	s_ashr_i32 s2, s1, 31
	v_lshrrev_b32_e32 v11, 16, v6
	s_lshr_b32 s2, s2, 28
	v_lshrrev_b32_e32 v12, 16, v7
	v_lshrrev_b32_e32 v13, 16, v8
	;; [unrolled: 1-line block ×7, first 2 shown]
	v_and_b32_e32 v22, 15, v0
	s_add_i32 s11, s10, 3
	s_add_i32 s1, s1, s2
	s_ashr_i32 s2, s11, 31
	s_movk_i32 s0, 0x7c
	s_ashr_i32 s1, s1, 4
	s_lshr_b32 s2, s2, 30
	v_cvt_f32_f16_e32 v5, v5
	v_cvt_f32_f16_e32 v10, v10
	;; [unrolled: 1-line block ×16, first 2 shown]
	v_dual_mov_b32 v23, 0x43e00000 :: v_dual_lshlrev_b32 v18, 4, v0
	v_lshlrev_b32_e32 v19, 6, v0
	v_cmp_eq_u32_e32 vcc_lo, 31, v20
	v_and_or_b32 v20, v21, s0, 0x1000
	v_lshl_or_b32 v21, v22, 2, 0x1000
	v_cmp_eq_u32_e64 s0, 0, v0
	v_cmp_gt_u32_e64 s1, s1, v0
	v_mov_b32_e32 v0, 0
	v_mov_b32_e32 v22, 0xc3e00000
	s_add_i32 s11, s11, s2
	s_lshl_b32 s14, s10, 2
	s_mov_b32 s3, 0
	s_and_b32 s18, s11, -4
	s_mov_b32 s11, 0x76543210
	s_branch .LBB170_6
.LBB170_4:                              ;   in Loop: Header=BB170_6 Depth=1
	s_or_b32 exec_lo, exec_lo, s2
.LBB170_5:                              ;   in Loop: Header=BB170_6 Depth=1
	s_add_i32 s3, s3, 1
	s_add_i32 s20, s20, s8
	s_cmp_eq_u32 s9, s3
	s_cbranch_scc1 .LBB170_13
.LBB170_6:                              ; =>This Inner Loop Header: Depth=1
	s_waitcnt lgkmcnt(0)
	v_readlane_b32 s2, v9, s3
	s_delay_alu instid0(VALU_DEP_1)
	s_cmp_lt_i32 s2, 0
	s_cbranch_scc1 .LBB170_5
; %bb.7:                                ;   in Loop: Header=BB170_6 Depth=1
	s_mul_i32 s12, s2, s10
	s_delay_alu instid0(SALU_CYCLE_1) | instskip(NEXT) | instid1(SALU_CYCLE_1)
	s_ashr_i32 s13, s12, 31
	s_lshl_b64 s[12:13], s[12:13], 2
	s_delay_alu instid0(SALU_CYCLE_1) | instskip(SKIP_1) | instid1(SALU_CYCLE_1)
	s_add_u32 s12, s22, s12
	s_addc_u32 s2, s23, s13
	s_and_b32 s13, s2, 0xffff
	s_clause 0x3
	buffer_load_b128 v[24:27], v19, s[12:15], 0 offen
	buffer_load_b128 v[28:31], v19, s[12:15], 16 offen
	;; [unrolled: 1-line block ×4, first 2 shown]
	s_waitcnt vmcnt(3)
	v_dual_mul_f32 v38, v24, v5 :: v_dual_mul_f32 v39, v25, v10
	v_dual_mul_f32 v36, v26, v6 :: v_dual_mul_f32 v37, v27, v11
	s_waitcnt vmcnt(2)
	v_dual_mul_f32 v34, v28, v7 :: v_dual_mul_f32 v35, v29, v12
	s_delay_alu instid0(VALU_DEP_3) | instskip(SKIP_3) | instid1(VALU_DEP_3)
	v_max3_f32 v24, |v38|, 0x2edbe6ff, |v39|
	v_dual_mul_f32 v32, v30, v8 :: v_dual_mul_f32 v33, v31, v13
	s_waitcnt vmcnt(1)
	v_dual_mul_f32 v31, v40, v1 :: v_dual_mul_f32 v30, v41, v14
	v_max3_f32 v24, v24, |v36|, |v37|
	v_dual_mul_f32 v28, v42, v2 :: v_dual_mul_f32 v29, v43, v15
	s_waitcnt vmcnt(0)
	v_dual_mul_f32 v26, v44, v3 :: v_dual_mul_f32 v27, v45, v16
	s_delay_alu instid0(VALU_DEP_3) | instskip(SKIP_1) | instid1(VALU_DEP_2)
	v_max3_f32 v24, v24, |v34|, |v35|
	v_mul_f32_e32 v25, v47, v17
	v_max3_f32 v24, v24, |v32|, |v33|
	s_delay_alu instid0(VALU_DEP_1) | instskip(NEXT) | instid1(VALU_DEP_1)
	v_max3_f32 v24, v24, |v31|, |v30|
	v_max3_f32 v40, v24, |v28|, |v29|
	v_mul_f32_e32 v24, v46, v4
	s_delay_alu instid0(VALU_DEP_2) | instskip(NEXT) | instid1(VALU_DEP_1)
	v_max3_f32 v40, v40, |v26|, |v27|
	v_max3_f32 v40, v40, |v24|, |v25|
	s_delay_alu instid0(VALU_DEP_1) | instskip(NEXT) | instid1(VALU_DEP_1)
	v_mov_b32_dpp v41, v40 quad_perm:[1,0,3,2] row_mask:0xf bank_mask:0xf
	v_cmp_gt_f32_e64 s2, v40, v41
	s_delay_alu instid0(VALU_DEP_1) | instskip(NEXT) | instid1(VALU_DEP_1)
	v_cndmask_b32_e64 v40, v41, v40, s2
	v_mov_b32_dpp v41, v40 quad_perm:[2,3,0,1] row_mask:0xf bank_mask:0xf
	s_delay_alu instid0(VALU_DEP_1) | instskip(NEXT) | instid1(VALU_DEP_1)
	v_cmp_gt_f32_e64 s2, v40, v41
	v_cndmask_b32_e64 v40, v41, v40, s2
	s_delay_alu instid0(VALU_DEP_1) | instskip(NEXT) | instid1(VALU_DEP_1)
	v_mov_b32_dpp v41, v40 row_xmask:7 row_mask:0xf bank_mask:0xf
	v_cmp_gt_f32_e64 s2, v40, v41
	s_delay_alu instid0(VALU_DEP_1) | instskip(NEXT) | instid1(VALU_DEP_1)
	v_cndmask_b32_e64 v40, v41, v40, s2
	v_mov_b32_dpp v41, v40 row_xmask:15 row_mask:0xf bank_mask:0xf
	s_delay_alu instid0(VALU_DEP_1)
	v_cmp_gt_f32_e64 s2, v40, v41
	s_and_saveexec_b32 s12, vcc_lo
	s_cbranch_execz .LBB170_9
; %bb.8:                                ;   in Loop: Header=BB170_6 Depth=1
	s_delay_alu instid0(VALU_DEP_1) | instskip(NEXT) | instid1(VALU_DEP_1)
	v_cndmask_b32_e64 v40, v41, v40, s2
	v_permlanex16_b32 v41, v40, s11, 0xfedcba98 op_sel:[1,1]
	s_delay_alu instid0(VALU_DEP_1) | instskip(NEXT) | instid1(VALU_DEP_1)
	v_cmp_gt_f32_e64 s2, v40, v41
	v_cndmask_b32_e64 v40, v41, v40, s2
	ds_store_b32 v20, v40
.LBB170_9:                              ;   in Loop: Header=BB170_6 Depth=1
	s_or_b32 exec_lo, exec_lo, s12
	s_waitcnt lgkmcnt(0)
	s_waitcnt_vscnt null, 0x0
	s_barrier
	buffer_gl0_inv
	ds_load_b32 v40, v21
	s_waitcnt lgkmcnt(0)
	v_mov_b32_dpp v41, v40 quad_perm:[1,0,3,2] row_mask:0xf bank_mask:0xf
	s_delay_alu instid0(VALU_DEP_1) | instskip(NEXT) | instid1(VALU_DEP_1)
	v_cmp_gt_f32_e64 s2, v40, v41
	v_cndmask_b32_e64 v40, v41, v40, s2
	s_delay_alu instid0(VALU_DEP_1) | instskip(NEXT) | instid1(VALU_DEP_1)
	v_mov_b32_dpp v41, v40 quad_perm:[2,3,0,1] row_mask:0xf bank_mask:0xf
	v_cmp_gt_f32_e64 s2, v40, v41
	s_delay_alu instid0(VALU_DEP_1) | instskip(NEXT) | instid1(VALU_DEP_1)
	v_cndmask_b32_e64 v40, v41, v40, s2
	v_mov_b32_dpp v41, v40 row_xmask:7 row_mask:0xf bank_mask:0xf
	s_delay_alu instid0(VALU_DEP_1) | instskip(NEXT) | instid1(VALU_DEP_1)
	v_cmp_gt_f32_e64 s2, v40, v41
	v_cndmask_b32_e64 v40, v41, v40, s2
	s_delay_alu instid0(VALU_DEP_1) | instskip(NEXT) | instid1(VALU_DEP_1)
	v_mov_b32_dpp v41, v40 row_xmask:15 row_mask:0xf bank_mask:0xf
	v_cmp_gt_f32_e64 s2, v40, v41
	s_delay_alu instid0(VALU_DEP_1) | instskip(NEXT) | instid1(VALU_DEP_1)
	v_cndmask_b32_e64 v40, v41, v40, s2
	v_mul_f32_e32 v40, 0x3b124925, v40
	s_and_saveexec_b32 s2, s0
	s_cbranch_execz .LBB170_11
; %bb.10:                               ;   in Loop: Header=BB170_6 Depth=1
	s_ashr_i32 s21, s20, 31
	s_delay_alu instid0(SALU_CYCLE_1) | instskip(NEXT) | instid1(SALU_CYCLE_1)
	s_lshl_b64 s[12:13], s[20:21], 2
	s_add_u32 s12, s6, s12
	s_addc_u32 s13, s7, s13
	global_store_b32 v0, v40, s[12:13]
.LBB170_11:                             ;   in Loop: Header=BB170_6 Depth=1
	s_or_b32 exec_lo, exec_lo, s2
	s_and_saveexec_b32 s2, s1
	s_cbranch_execz .LBB170_4
; %bb.12:                               ;   in Loop: Header=BB170_6 Depth=1
	v_rcp_f32_e32 v40, v40
	s_mul_i32 s12, s20, s10
	s_mul_hi_i32 s13, s20, s10
	s_add_u32 s16, s4, s12
	s_addc_u32 s12, s5, s13
	s_mov_b32 s19, s15
	s_and_b32 s17, s12, 0xffff
	s_waitcnt_depctr 0xfff
	v_mul_f32_e32 v38, v38, v40
	v_mul_f32_e32 v39, v39, v40
	;; [unrolled: 1-line block ×5, first 2 shown]
	;;#ASMSTART
	v_med3_f32 v38, v38, v22, v23
v_med3_f32 v39, v39, v22, v23
v_cvt_pk_fp8_f32 v31, v38, v39
	;;#ASMEND
	;;#ASMSTART
	v_med3_f32 v36, v36, v22, v23
v_med3_f32 v37, v37, v22, v23
v_cvt_pk_fp8_f32 v38, v36, v37
	;;#ASMEND
	v_perm_b32 v36, v38, v31, 0x5040100
	v_mul_f32_e32 v34, v34, v40
	v_mul_f32_e32 v35, v35, v40
	;; [unrolled: 1-line block ×5, first 2 shown]
	;;#ASMSTART
	v_med3_f32 v34, v34, v22, v23
v_med3_f32 v35, v35, v22, v23
v_cvt_pk_fp8_f32 v30, v34, v35
	;;#ASMEND
	;;#ASMSTART
	v_med3_f32 v32, v32, v22, v23
v_med3_f32 v33, v33, v22, v23
v_cvt_pk_fp8_f32 v31, v32, v33
	;;#ASMEND
	v_mul_f32_e32 v28, v28, v40
	v_mul_f32_e32 v29, v29, v40
	;; [unrolled: 1-line block ×4, first 2 shown]
	;;#ASMSTART
	v_med3_f32 v41, v41, v22, v23
v_med3_f32 v37, v37, v22, v23
v_cvt_pk_fp8_f32 v32, v41, v37
	;;#ASMEND
	;;#ASMSTART
	v_med3_f32 v28, v28, v22, v23
v_med3_f32 v29, v29, v22, v23
v_cvt_pk_fp8_f32 v33, v28, v29
	;;#ASMEND
	v_mul_f32_e32 v24, v24, v40
	v_mul_f32_e32 v25, v25, v40
	;;#ASMSTART
	v_med3_f32 v26, v26, v22, v23
v_med3_f32 v27, v27, v22, v23
v_cvt_pk_fp8_f32 v28, v26, v27
	;;#ASMEND
	v_perm_b32 v31, v30, v31, 0x1000504
	v_perm_b32 v30, v36, v38, 0x1060504
	;; [unrolled: 1-line block ×3, first 2 shown]
	;;#ASMSTART
	v_med3_f32 v24, v24, v22, v23
v_med3_f32 v25, v25, v22, v23
v_cvt_pk_fp8_f32 v26, v24, v25
	;;#ASMEND
	v_perm_b32 v33, v28, v26, 0x1000504
	buffer_store_b128 v[30:33], v18, s[16:19], 0 offen
	;;#ASMSTART
	s_nop 0
	;;#ASMEND
	s_branch .LBB170_4
.LBB170_13:
	s_nop 0
	s_sendmsg sendmsg(MSG_DEALLOC_VGPRS)
	s_endpgm
	.section	.rodata,"a",@progbits
	.p2align	6, 0x0
	.amdhsa_kernel _ZN5aiter43moe_smooth_per_token_scaled_quant_kernel_v1IDF16_DB8_Li512ELi16ELb1ELb1ELi1024EEEvPT0_PfPT_S4_PiS7_iiiii
		.amdhsa_group_segment_fixed_size 4160
		.amdhsa_private_segment_fixed_size 0
		.amdhsa_kernarg_size 68
		.amdhsa_user_sgpr_count 15
		.amdhsa_user_sgpr_dispatch_ptr 0
		.amdhsa_user_sgpr_queue_ptr 0
		.amdhsa_user_sgpr_kernarg_segment_ptr 1
		.amdhsa_user_sgpr_dispatch_id 0
		.amdhsa_user_sgpr_private_segment_size 0
		.amdhsa_wavefront_size32 1
		.amdhsa_uses_dynamic_stack 0
		.amdhsa_enable_private_segment 0
		.amdhsa_system_sgpr_workgroup_id_x 1
		.amdhsa_system_sgpr_workgroup_id_y 0
		.amdhsa_system_sgpr_workgroup_id_z 0
		.amdhsa_system_sgpr_workgroup_info 0
		.amdhsa_system_vgpr_workitem_id 0
		.amdhsa_next_free_vgpr 48
		.amdhsa_next_free_sgpr 24
		.amdhsa_reserve_vcc 1
		.amdhsa_float_round_mode_32 0
		.amdhsa_float_round_mode_16_64 0
		.amdhsa_float_denorm_mode_32 3
		.amdhsa_float_denorm_mode_16_64 3
		.amdhsa_dx10_clamp 1
		.amdhsa_ieee_mode 1
		.amdhsa_fp16_overflow 0
		.amdhsa_workgroup_processor_mode 1
		.amdhsa_memory_ordered 1
		.amdhsa_forward_progress 0
		.amdhsa_shared_vgpr_count 0
		.amdhsa_exception_fp_ieee_invalid_op 0
		.amdhsa_exception_fp_denorm_src 0
		.amdhsa_exception_fp_ieee_div_zero 0
		.amdhsa_exception_fp_ieee_overflow 0
		.amdhsa_exception_fp_ieee_underflow 0
		.amdhsa_exception_fp_ieee_inexact 0
		.amdhsa_exception_int_div_zero 0
	.end_amdhsa_kernel
	.section	.text._ZN5aiter43moe_smooth_per_token_scaled_quant_kernel_v1IDF16_DB8_Li512ELi16ELb1ELb1ELi1024EEEvPT0_PfPT_S4_PiS7_iiiii,"axG",@progbits,_ZN5aiter43moe_smooth_per_token_scaled_quant_kernel_v1IDF16_DB8_Li512ELi16ELb1ELb1ELi1024EEEvPT0_PfPT_S4_PiS7_iiiii,comdat
.Lfunc_end170:
	.size	_ZN5aiter43moe_smooth_per_token_scaled_quant_kernel_v1IDF16_DB8_Li512ELi16ELb1ELb1ELi1024EEEvPT0_PfPT_S4_PiS7_iiiii, .Lfunc_end170-_ZN5aiter43moe_smooth_per_token_scaled_quant_kernel_v1IDF16_DB8_Li512ELi16ELb1ELb1ELi1024EEEvPT0_PfPT_S4_PiS7_iiiii
                                        ; -- End function
	.section	.AMDGPU.csdata,"",@progbits
; Kernel info:
; codeLenInByte = 1896
; NumSgprs: 26
; NumVgprs: 48
; ScratchSize: 0
; MemoryBound: 0
; FloatMode: 240
; IeeeMode: 1
; LDSByteSize: 4160 bytes/workgroup (compile time only)
; SGPRBlocks: 3
; VGPRBlocks: 5
; NumSGPRsForWavesPerEU: 26
; NumVGPRsForWavesPerEU: 48
; Occupancy: 16
; WaveLimiterHint : 0
; COMPUTE_PGM_RSRC2:SCRATCH_EN: 0
; COMPUTE_PGM_RSRC2:USER_SGPR: 15
; COMPUTE_PGM_RSRC2:TRAP_HANDLER: 0
; COMPUTE_PGM_RSRC2:TGID_X_EN: 1
; COMPUTE_PGM_RSRC2:TGID_Y_EN: 0
; COMPUTE_PGM_RSRC2:TGID_Z_EN: 0
; COMPUTE_PGM_RSRC2:TIDIG_COMP_CNT: 0
	.section	.text._ZN5aiter43moe_smooth_per_token_scaled_quant_kernel_v1ItDB8_Li512ELi16ELb1ELb1ELi1024EEEvPT0_PfPT_S4_PiS7_iiiii,"axG",@progbits,_ZN5aiter43moe_smooth_per_token_scaled_quant_kernel_v1ItDB8_Li512ELi16ELb1ELb1ELi1024EEEvPT0_PfPT_S4_PiS7_iiiii,comdat
	.protected	_ZN5aiter43moe_smooth_per_token_scaled_quant_kernel_v1ItDB8_Li512ELi16ELb1ELb1ELi1024EEEvPT0_PfPT_S4_PiS7_iiiii ; -- Begin function _ZN5aiter43moe_smooth_per_token_scaled_quant_kernel_v1ItDB8_Li512ELi16ELb1ELb1ELi1024EEEvPT0_PfPT_S4_PiS7_iiiii
	.globl	_ZN5aiter43moe_smooth_per_token_scaled_quant_kernel_v1ItDB8_Li512ELi16ELb1ELb1ELi1024EEEvPT0_PfPT_S4_PiS7_iiiii
	.p2align	8
	.type	_ZN5aiter43moe_smooth_per_token_scaled_quant_kernel_v1ItDB8_Li512ELi16ELb1ELb1ELi1024EEEvPT0_PfPT_S4_PiS7_iiiii,@function
_ZN5aiter43moe_smooth_per_token_scaled_quant_kernel_v1ItDB8_Li512ELi16ELb1ELb1ELi1024EEEvPT0_PfPT_S4_PiS7_iiiii: ; @_ZN5aiter43moe_smooth_per_token_scaled_quant_kernel_v1ItDB8_Li512ELi16ELb1ELb1ELi1024EEEvPT0_PfPT_S4_PiS7_iiiii
; %bb.0:
	s_clause 0x2
	s_load_b32 s18, s[0:1], 0x40
	s_load_b256 s[4:11], s[0:1], 0x20
	s_load_b64 s[2:3], s[0:1], 0x10
	s_mov_b32 s20, s15
	v_and_b32_e32 v20, 31, v0
	v_lshlrev_b32_e32 v10, 2, v0
	s_mov_b32 s15, -1
	s_delay_alu instid0(VALU_DEP_2)
	v_lshlrev_b32_e32 v1, 2, v20
	s_waitcnt lgkmcnt(0)
	s_lshl_b32 s14, s18, 2
	s_mul_i32 s16, s20, s9
	s_and_b32 s13, s7, 0xffff
	s_ashr_i32 s17, s16, 31
	s_mov_b32 s12, s6
	s_lshl_b64 s[16:17], s[16:17], 2
	s_clause 0x1
	buffer_load_b32 v11, v10, s[12:15], 0 offen
	buffer_load_b32 v12, v10, s[12:15], 0 offen offset:2048
	s_add_u32 s12, s4, s16
	s_addc_u32 s4, s5, s17
	s_lshl_b32 s14, s9, 2
	s_and_b32 s13, s4, 0xffff
	s_mul_hi_i32 s7, s11, s20
	s_mul_i32 s6, s11, s20
	buffer_load_b32 v9, v1, s[12:15], 0 offen
	s_lshl_b64 s[4:5], s[6:7], 1
	v_lshlrev_b32_e32 v1, 5, v0
	s_add_u32 s12, s2, s4
	s_addc_u32 s2, s3, s5
	s_lshl_b32 s14, s10, 1
	s_and_b32 s13, s2, 0xffff
	s_clause 0x1
	buffer_load_b128 v[5:8], v1, s[12:15], 0 offen
	buffer_load_b128 v[1:4], v1, s[12:15], 16 offen
	v_cmp_gt_i32_e32 vcc_lo, s9, v20
	s_waitcnt vmcnt(3)
	ds_store_2addr_stride64_b32 v10, v11, v12 offset1:8
	s_waitcnt vmcnt(0) expcnt(2) lgkmcnt(0)
	s_barrier
	buffer_gl0_inv
	v_cmp_gt_i32_e64 s2, s18, v9
	v_cmp_lt_i32_e64 s3, -1, v9
	s_delay_alu instid0(VALU_DEP_2)
	s_and_b32 s2, vcc_lo, s2
	s_delay_alu instid0(VALU_DEP_1) | instid1(SALU_CYCLE_1)
	s_and_b32 s3, s2, s3
	s_delay_alu instid0(SALU_CYCLE_1)
	s_and_saveexec_b32 s2, s3
	s_cbranch_execz .LBB171_2
; %bb.1:
	v_lshlrev_b32_e32 v9, 2, v9
	ds_load_b32 v9, v9
.LBB171_2:
	s_or_b32 exec_lo, exec_lo, s2
	s_cmp_lt_i32 s9, 1
	s_cbranch_scc1 .LBB171_13
; %bb.3:
	v_and_b32_e32 v10, 0xffff, v5
	s_clause 0x1
	s_load_b128 s[4:7], s[0:1], 0x0
	s_load_b64 s[22:23], s[0:1], 0x18
	v_lshrrev_b32_e32 v11, 16, v5
	v_and_b32_e32 v12, 0xffff, v6
	v_and_b32_e32 v13, 0xffff, v7
	v_lshrrev_b32_e32 v14, 16, v7
	v_cvt_f32_u32_e32 v5, v10
	v_lshrrev_b32_e32 v10, 16, v6
	v_cvt_f32_u32_e32 v6, v11
	v_cvt_f32_u32_e32 v7, v12
	;; [unrolled: 1-line block ×4, first 2 shown]
	v_and_b32_e32 v13, 0xffff, v8
	v_and_b32_e32 v14, 0xffff, v1
	v_lshrrev_b32_e32 v15, 16, v1
	v_and_b32_e32 v16, 0xffff, v2
	s_add_i32 s1, s10, 15
	v_lshrrev_b32_e32 v8, 16, v8
	s_ashr_i32 s2, s1, 31
	v_cvt_f32_u32_e32 v1, v13
	s_lshr_b32 s2, s2, 28
	v_cvt_f32_u32_e32 v13, v14
	v_cvt_f32_u32_e32 v14, v15
	;; [unrolled: 1-line block ×3, first 2 shown]
	v_lshrrev_b32_e32 v2, 16, v2
	v_and_b32_e32 v16, 0xffff, v3
	v_lshrrev_b32_e32 v17, 16, v3
	v_and_b32_e32 v18, 0xffff, v4
	v_lshrrev_b32_e32 v19, 16, v4
	v_lshrrev_b32_e32 v21, 3, v0
	v_and_b32_e32 v22, 15, v0
	s_add_i32 s11, s10, 3
	s_add_i32 s1, s1, s2
	s_ashr_i32 s2, s11, 31
	s_movk_i32 s0, 0x7c
	s_ashr_i32 s1, s1, 4
	s_lshr_b32 s2, s2, 30
	v_cvt_f32_u32_e32 v10, v10
	v_cvt_f32_u32_e32 v8, v8
	;; [unrolled: 1-line block ×7, first 2 shown]
	v_dual_mov_b32 v23, 0x43e00000 :: v_dual_lshlrev_b32 v18, 4, v0
	v_lshlrev_b32_e32 v19, 6, v0
	v_cmp_eq_u32_e32 vcc_lo, 31, v20
	v_and_or_b32 v20, v21, s0, 0x1000
	v_lshl_or_b32 v21, v22, 2, 0x1000
	v_mov_b32_e32 v22, 0xc3e00000
	v_cmp_eq_u32_e64 s0, 0, v0
	v_cmp_gt_u32_e64 s1, s1, v0
	v_mov_b32_e32 v0, 0
	s_add_i32 s11, s11, s2
	s_lshl_b32 s14, s10, 2
	s_mov_b32 s3, 0
	s_and_b32 s18, s11, -4
	s_mov_b32 s11, 0x76543210
	s_branch .LBB171_6
.LBB171_4:                              ;   in Loop: Header=BB171_6 Depth=1
	s_or_b32 exec_lo, exec_lo, s2
.LBB171_5:                              ;   in Loop: Header=BB171_6 Depth=1
	s_add_i32 s3, s3, 1
	s_add_i32 s20, s20, s8
	s_cmp_eq_u32 s9, s3
	s_cbranch_scc1 .LBB171_13
.LBB171_6:                              ; =>This Inner Loop Header: Depth=1
	s_waitcnt lgkmcnt(0)
	v_readlane_b32 s2, v9, s3
	s_delay_alu instid0(VALU_DEP_1)
	s_cmp_lt_i32 s2, 0
	s_cbranch_scc1 .LBB171_5
; %bb.7:                                ;   in Loop: Header=BB171_6 Depth=1
	s_mul_i32 s12, s2, s10
	s_delay_alu instid0(SALU_CYCLE_1) | instskip(NEXT) | instid1(SALU_CYCLE_1)
	s_ashr_i32 s13, s12, 31
	s_lshl_b64 s[12:13], s[12:13], 2
	s_delay_alu instid0(SALU_CYCLE_1) | instskip(SKIP_1) | instid1(SALU_CYCLE_1)
	s_add_u32 s12, s22, s12
	s_addc_u32 s2, s23, s13
	s_and_b32 s13, s2, 0xffff
	s_clause 0x3
	buffer_load_b128 v[24:27], v19, s[12:15], 0 offen
	buffer_load_b128 v[28:31], v19, s[12:15], 16 offen
	;; [unrolled: 1-line block ×4, first 2 shown]
	s_waitcnt vmcnt(3)
	v_dual_mul_f32 v38, v24, v5 :: v_dual_mul_f32 v39, v25, v6
	v_dual_mul_f32 v36, v26, v7 :: v_dual_mul_f32 v37, v27, v10
	s_waitcnt vmcnt(2)
	v_dual_mul_f32 v34, v28, v11 :: v_dual_mul_f32 v35, v29, v12
	s_delay_alu instid0(VALU_DEP_3) | instskip(SKIP_3) | instid1(VALU_DEP_3)
	v_max3_f32 v24, |v38|, 0x2edbe6ff, |v39|
	v_dual_mul_f32 v32, v30, v1 :: v_dual_mul_f32 v33, v31, v8
	s_waitcnt vmcnt(1)
	v_dual_mul_f32 v31, v40, v13 :: v_dual_mul_f32 v30, v41, v14
	v_max3_f32 v24, v24, |v36|, |v37|
	v_dual_mul_f32 v28, v42, v15 :: v_dual_mul_f32 v29, v43, v2
	s_waitcnt vmcnt(0)
	v_dual_mul_f32 v26, v44, v3 :: v_dual_mul_f32 v27, v45, v4
	s_delay_alu instid0(VALU_DEP_3) | instskip(SKIP_1) | instid1(VALU_DEP_2)
	v_max3_f32 v24, v24, |v34|, |v35|
	v_mul_f32_e32 v25, v47, v17
	v_max3_f32 v24, v24, |v32|, |v33|
	s_delay_alu instid0(VALU_DEP_1) | instskip(NEXT) | instid1(VALU_DEP_1)
	v_max3_f32 v24, v24, |v31|, |v30|
	v_max3_f32 v40, v24, |v28|, |v29|
	v_mul_f32_e32 v24, v46, v16
	s_delay_alu instid0(VALU_DEP_2) | instskip(NEXT) | instid1(VALU_DEP_1)
	v_max3_f32 v40, v40, |v26|, |v27|
	v_max3_f32 v40, v40, |v24|, |v25|
	s_delay_alu instid0(VALU_DEP_1) | instskip(NEXT) | instid1(VALU_DEP_1)
	v_mov_b32_dpp v41, v40 quad_perm:[1,0,3,2] row_mask:0xf bank_mask:0xf
	v_cmp_gt_f32_e64 s2, v40, v41
	s_delay_alu instid0(VALU_DEP_1) | instskip(NEXT) | instid1(VALU_DEP_1)
	v_cndmask_b32_e64 v40, v41, v40, s2
	v_mov_b32_dpp v41, v40 quad_perm:[2,3,0,1] row_mask:0xf bank_mask:0xf
	s_delay_alu instid0(VALU_DEP_1) | instskip(NEXT) | instid1(VALU_DEP_1)
	v_cmp_gt_f32_e64 s2, v40, v41
	v_cndmask_b32_e64 v40, v41, v40, s2
	s_delay_alu instid0(VALU_DEP_1) | instskip(NEXT) | instid1(VALU_DEP_1)
	v_mov_b32_dpp v41, v40 row_xmask:7 row_mask:0xf bank_mask:0xf
	v_cmp_gt_f32_e64 s2, v40, v41
	s_delay_alu instid0(VALU_DEP_1) | instskip(NEXT) | instid1(VALU_DEP_1)
	v_cndmask_b32_e64 v40, v41, v40, s2
	v_mov_b32_dpp v41, v40 row_xmask:15 row_mask:0xf bank_mask:0xf
	s_delay_alu instid0(VALU_DEP_1)
	v_cmp_gt_f32_e64 s2, v40, v41
	s_and_saveexec_b32 s12, vcc_lo
	s_cbranch_execz .LBB171_9
; %bb.8:                                ;   in Loop: Header=BB171_6 Depth=1
	s_delay_alu instid0(VALU_DEP_1) | instskip(NEXT) | instid1(VALU_DEP_1)
	v_cndmask_b32_e64 v40, v41, v40, s2
	v_permlanex16_b32 v41, v40, s11, 0xfedcba98 op_sel:[1,1]
	s_delay_alu instid0(VALU_DEP_1) | instskip(NEXT) | instid1(VALU_DEP_1)
	v_cmp_gt_f32_e64 s2, v40, v41
	v_cndmask_b32_e64 v40, v41, v40, s2
	ds_store_b32 v20, v40
.LBB171_9:                              ;   in Loop: Header=BB171_6 Depth=1
	s_or_b32 exec_lo, exec_lo, s12
	s_waitcnt lgkmcnt(0)
	s_waitcnt_vscnt null, 0x0
	s_barrier
	buffer_gl0_inv
	ds_load_b32 v40, v21
	s_waitcnt lgkmcnt(0)
	v_mov_b32_dpp v41, v40 quad_perm:[1,0,3,2] row_mask:0xf bank_mask:0xf
	s_delay_alu instid0(VALU_DEP_1) | instskip(NEXT) | instid1(VALU_DEP_1)
	v_cmp_gt_f32_e64 s2, v40, v41
	v_cndmask_b32_e64 v40, v41, v40, s2
	s_delay_alu instid0(VALU_DEP_1) | instskip(NEXT) | instid1(VALU_DEP_1)
	v_mov_b32_dpp v41, v40 quad_perm:[2,3,0,1] row_mask:0xf bank_mask:0xf
	v_cmp_gt_f32_e64 s2, v40, v41
	s_delay_alu instid0(VALU_DEP_1) | instskip(NEXT) | instid1(VALU_DEP_1)
	v_cndmask_b32_e64 v40, v41, v40, s2
	v_mov_b32_dpp v41, v40 row_xmask:7 row_mask:0xf bank_mask:0xf
	s_delay_alu instid0(VALU_DEP_1) | instskip(NEXT) | instid1(VALU_DEP_1)
	v_cmp_gt_f32_e64 s2, v40, v41
	v_cndmask_b32_e64 v40, v41, v40, s2
	s_delay_alu instid0(VALU_DEP_1) | instskip(NEXT) | instid1(VALU_DEP_1)
	v_mov_b32_dpp v41, v40 row_xmask:15 row_mask:0xf bank_mask:0xf
	v_cmp_gt_f32_e64 s2, v40, v41
	s_delay_alu instid0(VALU_DEP_1) | instskip(NEXT) | instid1(VALU_DEP_1)
	v_cndmask_b32_e64 v40, v41, v40, s2
	v_mul_f32_e32 v40, 0x3b124925, v40
	s_and_saveexec_b32 s2, s0
	s_cbranch_execz .LBB171_11
; %bb.10:                               ;   in Loop: Header=BB171_6 Depth=1
	s_ashr_i32 s21, s20, 31
	s_delay_alu instid0(SALU_CYCLE_1) | instskip(NEXT) | instid1(SALU_CYCLE_1)
	s_lshl_b64 s[12:13], s[20:21], 2
	s_add_u32 s12, s6, s12
	s_addc_u32 s13, s7, s13
	global_store_b32 v0, v40, s[12:13]
.LBB171_11:                             ;   in Loop: Header=BB171_6 Depth=1
	s_or_b32 exec_lo, exec_lo, s2
	s_and_saveexec_b32 s2, s1
	s_cbranch_execz .LBB171_4
; %bb.12:                               ;   in Loop: Header=BB171_6 Depth=1
	v_rcp_f32_e32 v40, v40
	s_mul_i32 s12, s20, s10
	s_mul_hi_i32 s13, s20, s10
	s_add_u32 s16, s4, s12
	s_addc_u32 s12, s5, s13
	s_mov_b32 s19, s15
	s_and_b32 s17, s12, 0xffff
	s_waitcnt_depctr 0xfff
	v_mul_f32_e32 v38, v38, v40
	v_mul_f32_e32 v39, v39, v40
	;; [unrolled: 1-line block ×5, first 2 shown]
	;;#ASMSTART
	v_med3_f32 v38, v38, v22, v23
v_med3_f32 v39, v39, v22, v23
v_cvt_pk_fp8_f32 v31, v38, v39
	;;#ASMEND
	;;#ASMSTART
	v_med3_f32 v36, v36, v22, v23
v_med3_f32 v37, v37, v22, v23
v_cvt_pk_fp8_f32 v38, v36, v37
	;;#ASMEND
	v_perm_b32 v36, v38, v31, 0x5040100
	v_mul_f32_e32 v34, v34, v40
	v_mul_f32_e32 v35, v35, v40
	;; [unrolled: 1-line block ×5, first 2 shown]
	;;#ASMSTART
	v_med3_f32 v34, v34, v22, v23
v_med3_f32 v35, v35, v22, v23
v_cvt_pk_fp8_f32 v30, v34, v35
	;;#ASMEND
	;;#ASMSTART
	v_med3_f32 v32, v32, v22, v23
v_med3_f32 v33, v33, v22, v23
v_cvt_pk_fp8_f32 v31, v32, v33
	;;#ASMEND
	v_mul_f32_e32 v28, v28, v40
	v_mul_f32_e32 v29, v29, v40
	;; [unrolled: 1-line block ×4, first 2 shown]
	;;#ASMSTART
	v_med3_f32 v41, v41, v22, v23
v_med3_f32 v37, v37, v22, v23
v_cvt_pk_fp8_f32 v32, v41, v37
	;;#ASMEND
	;;#ASMSTART
	v_med3_f32 v28, v28, v22, v23
v_med3_f32 v29, v29, v22, v23
v_cvt_pk_fp8_f32 v33, v28, v29
	;;#ASMEND
	v_mul_f32_e32 v24, v24, v40
	v_mul_f32_e32 v25, v25, v40
	;;#ASMSTART
	v_med3_f32 v26, v26, v22, v23
v_med3_f32 v27, v27, v22, v23
v_cvt_pk_fp8_f32 v28, v26, v27
	;;#ASMEND
	v_perm_b32 v31, v30, v31, 0x1000504
	v_perm_b32 v30, v36, v38, 0x1060504
	;; [unrolled: 1-line block ×3, first 2 shown]
	;;#ASMSTART
	v_med3_f32 v24, v24, v22, v23
v_med3_f32 v25, v25, v22, v23
v_cvt_pk_fp8_f32 v26, v24, v25
	;;#ASMEND
	v_perm_b32 v33, v28, v26, 0x1000504
	buffer_store_b128 v[30:33], v18, s[16:19], 0 offen
	;;#ASMSTART
	s_nop 0
	;;#ASMEND
	s_branch .LBB171_4
.LBB171_13:
	s_nop 0
	s_sendmsg sendmsg(MSG_DEALLOC_VGPRS)
	s_endpgm
	.section	.rodata,"a",@progbits
	.p2align	6, 0x0
	.amdhsa_kernel _ZN5aiter43moe_smooth_per_token_scaled_quant_kernel_v1ItDB8_Li512ELi16ELb1ELb1ELi1024EEEvPT0_PfPT_S4_PiS7_iiiii
		.amdhsa_group_segment_fixed_size 4160
		.amdhsa_private_segment_fixed_size 0
		.amdhsa_kernarg_size 68
		.amdhsa_user_sgpr_count 15
		.amdhsa_user_sgpr_dispatch_ptr 0
		.amdhsa_user_sgpr_queue_ptr 0
		.amdhsa_user_sgpr_kernarg_segment_ptr 1
		.amdhsa_user_sgpr_dispatch_id 0
		.amdhsa_user_sgpr_private_segment_size 0
		.amdhsa_wavefront_size32 1
		.amdhsa_uses_dynamic_stack 0
		.amdhsa_enable_private_segment 0
		.amdhsa_system_sgpr_workgroup_id_x 1
		.amdhsa_system_sgpr_workgroup_id_y 0
		.amdhsa_system_sgpr_workgroup_id_z 0
		.amdhsa_system_sgpr_workgroup_info 0
		.amdhsa_system_vgpr_workitem_id 0
		.amdhsa_next_free_vgpr 48
		.amdhsa_next_free_sgpr 24
		.amdhsa_reserve_vcc 1
		.amdhsa_float_round_mode_32 0
		.amdhsa_float_round_mode_16_64 0
		.amdhsa_float_denorm_mode_32 3
		.amdhsa_float_denorm_mode_16_64 3
		.amdhsa_dx10_clamp 1
		.amdhsa_ieee_mode 1
		.amdhsa_fp16_overflow 0
		.amdhsa_workgroup_processor_mode 1
		.amdhsa_memory_ordered 1
		.amdhsa_forward_progress 0
		.amdhsa_shared_vgpr_count 0
		.amdhsa_exception_fp_ieee_invalid_op 0
		.amdhsa_exception_fp_denorm_src 0
		.amdhsa_exception_fp_ieee_div_zero 0
		.amdhsa_exception_fp_ieee_overflow 0
		.amdhsa_exception_fp_ieee_underflow 0
		.amdhsa_exception_fp_ieee_inexact 0
		.amdhsa_exception_int_div_zero 0
	.end_amdhsa_kernel
	.section	.text._ZN5aiter43moe_smooth_per_token_scaled_quant_kernel_v1ItDB8_Li512ELi16ELb1ELb1ELi1024EEEvPT0_PfPT_S4_PiS7_iiiii,"axG",@progbits,_ZN5aiter43moe_smooth_per_token_scaled_quant_kernel_v1ItDB8_Li512ELi16ELb1ELb1ELi1024EEEvPT0_PfPT_S4_PiS7_iiiii,comdat
.Lfunc_end171:
	.size	_ZN5aiter43moe_smooth_per_token_scaled_quant_kernel_v1ItDB8_Li512ELi16ELb1ELb1ELi1024EEEvPT0_PfPT_S4_PiS7_iiiii, .Lfunc_end171-_ZN5aiter43moe_smooth_per_token_scaled_quant_kernel_v1ItDB8_Li512ELi16ELb1ELb1ELi1024EEEvPT0_PfPT_S4_PiS7_iiiii
                                        ; -- End function
	.section	.AMDGPU.csdata,"",@progbits
; Kernel info:
; codeLenInByte = 1960
; NumSgprs: 26
; NumVgprs: 48
; ScratchSize: 0
; MemoryBound: 0
; FloatMode: 240
; IeeeMode: 1
; LDSByteSize: 4160 bytes/workgroup (compile time only)
; SGPRBlocks: 3
; VGPRBlocks: 5
; NumSGPRsForWavesPerEU: 26
; NumVGPRsForWavesPerEU: 48
; Occupancy: 16
; WaveLimiterHint : 0
; COMPUTE_PGM_RSRC2:SCRATCH_EN: 0
; COMPUTE_PGM_RSRC2:USER_SGPR: 15
; COMPUTE_PGM_RSRC2:TRAP_HANDLER: 0
; COMPUTE_PGM_RSRC2:TGID_X_EN: 1
; COMPUTE_PGM_RSRC2:TGID_Y_EN: 0
; COMPUTE_PGM_RSRC2:TGID_Z_EN: 0
; COMPUTE_PGM_RSRC2:TIDIG_COMP_CNT: 0
	.section	.text._ZN5aiter43moe_smooth_per_token_scaled_quant_kernel_v1IDF16_DB8_Li512ELi16ELb1ELb0ELi1024EEEvPT0_PfPT_S4_PiS7_iiiii,"axG",@progbits,_ZN5aiter43moe_smooth_per_token_scaled_quant_kernel_v1IDF16_DB8_Li512ELi16ELb1ELb0ELi1024EEEvPT0_PfPT_S4_PiS7_iiiii,comdat
	.protected	_ZN5aiter43moe_smooth_per_token_scaled_quant_kernel_v1IDF16_DB8_Li512ELi16ELb1ELb0ELi1024EEEvPT0_PfPT_S4_PiS7_iiiii ; -- Begin function _ZN5aiter43moe_smooth_per_token_scaled_quant_kernel_v1IDF16_DB8_Li512ELi16ELb1ELb0ELi1024EEEvPT0_PfPT_S4_PiS7_iiiii
	.globl	_ZN5aiter43moe_smooth_per_token_scaled_quant_kernel_v1IDF16_DB8_Li512ELi16ELb1ELb0ELi1024EEEvPT0_PfPT_S4_PiS7_iiiii
	.p2align	8
	.type	_ZN5aiter43moe_smooth_per_token_scaled_quant_kernel_v1IDF16_DB8_Li512ELi16ELb1ELb0ELi1024EEEvPT0_PfPT_S4_PiS7_iiiii,@function
_ZN5aiter43moe_smooth_per_token_scaled_quant_kernel_v1IDF16_DB8_Li512ELi16ELb1ELb0ELi1024EEEvPT0_PfPT_S4_PiS7_iiiii: ; @_ZN5aiter43moe_smooth_per_token_scaled_quant_kernel_v1IDF16_DB8_Li512ELi16ELb1ELb0ELi1024EEEvPT0_PfPT_S4_PiS7_iiiii
; %bb.0:
	s_clause 0x2
	s_load_b128 s[4:7], s[0:1], 0x30
	s_load_b64 s[2:3], s[0:1], 0x20
	s_load_b64 s[12:13], s[0:1], 0x10
	v_and_b32_e32 v20, 31, v0
	s_mov_b32 s20, s15
	s_mov_b32 s11, -1
	v_lshlrev_b32_e32 v1, 5, v0
	s_delay_alu instid0(VALU_DEP_2)
	v_lshlrev_b32_e32 v2, 2, v20
	s_waitcnt lgkmcnt(0)
	s_mul_i32 s8, s15, s5
	s_mul_hi_i32 s15, s7, s15
	s_ashr_i32 s9, s8, 31
	s_mul_i32 s14, s7, s20
	s_lshl_b64 s[8:9], s[8:9], 2
	s_delay_alu instid0(SALU_CYCLE_1)
	s_add_u32 s8, s2, s8
	s_addc_u32 s2, s3, s9
	s_lshl_b32 s10, s5, 2
	s_and_b32 s9, s2, 0xffff
	s_lshl_b64 s[2:3], s[14:15], 1
	buffer_load_b32 v9, v2, s[8:11], 0 offen
	s_add_u32 s8, s12, s2
	s_addc_u32 s2, s13, s3
	s_lshl_b32 s10, s6, 1
	s_and_b32 s9, s2, 0xffff
	s_clause 0x1
	buffer_load_b128 v[5:8], v1, s[8:11], 0 offen
	buffer_load_b128 v[1:4], v1, s[8:11], 16 offen
	s_mov_b32 s3, 0
	s_cmp_lt_i32 s5, 1
	s_waitcnt vmcnt(0) expcnt(2) lgkmcnt(55)
	s_barrier
	buffer_gl0_inv
	s_cbranch_scc1 .LBB172_11
; %bb.1:
	s_clause 0x1
	s_load_b128 s[12:15], s[0:1], 0x0
	s_load_b64 s[22:23], s[0:1], 0x18
	s_add_i32 s1, s6, 15
	v_lshrrev_b32_e32 v10, 16, v5
	s_ashr_i32 s2, s1, 31
	v_lshrrev_b32_e32 v11, 16, v6
	s_lshr_b32 s2, s2, 28
	v_lshrrev_b32_e32 v12, 16, v7
	v_lshrrev_b32_e32 v13, 16, v8
	;; [unrolled: 1-line block ×7, first 2 shown]
	v_and_b32_e32 v22, 15, v0
	s_add_i32 s7, s6, 3
	s_add_i32 s1, s1, s2
	s_ashr_i32 s2, s7, 31
	s_ashr_i32 s1, s1, 4
	s_lshr_b32 s2, s2, 30
	v_cvt_f32_f16_e32 v5, v5
	v_cvt_f32_f16_e32 v10, v10
	v_cvt_f32_f16_e32 v6, v6
	v_cvt_f32_f16_e32 v11, v11
	v_cvt_f32_f16_e32 v7, v7
	v_cvt_f32_f16_e32 v12, v12
	v_cvt_f32_f16_e32 v8, v8
	v_cvt_f32_f16_e32 v13, v13
	v_cvt_f32_f16_e32 v1, v1
	v_cvt_f32_f16_e32 v14, v14
	v_cvt_f32_f16_e32 v2, v2
	v_cvt_f32_f16_e32 v15, v15
	v_cvt_f32_f16_e32 v3, v3
	v_cvt_f32_f16_e32 v16, v16
	v_cvt_f32_f16_e32 v4, v4
	v_cvt_f32_f16_e32 v17, v17
	v_dual_mov_b32 v23, 0x43e00000 :: v_dual_lshlrev_b32 v18, 4, v0
	v_lshlrev_b32_e32 v19, 6, v0
	v_cmp_eq_u32_e32 vcc_lo, 31, v20
	v_and_b32_e32 v20, 0x7c, v21
	v_dual_mov_b32 v22, 0xc3e00000 :: v_dual_lshlrev_b32 v21, 2, v22
	v_cmp_eq_u32_e64 s0, 0, v0
	v_cmp_gt_u32_e64 s1, s1, v0
	v_mov_b32_e32 v0, 0
	s_add_i32 s7, s7, s2
	s_lshl_b32 s10, s6, 2
	s_and_b32 s18, s7, -4
	s_mov_b32 s7, 0x76543210
	s_branch .LBB172_4
.LBB172_2:                              ;   in Loop: Header=BB172_4 Depth=1
	s_or_b32 exec_lo, exec_lo, s2
.LBB172_3:                              ;   in Loop: Header=BB172_4 Depth=1
	s_add_i32 s3, s3, 1
	s_add_i32 s20, s20, s4
	s_cmp_eq_u32 s5, s3
	s_cbranch_scc1 .LBB172_11
.LBB172_4:                              ; =>This Inner Loop Header: Depth=1
	v_readlane_b32 s2, v9, s3
	s_delay_alu instid0(VALU_DEP_1)
	s_cmp_lt_i32 s2, 0
	s_cbranch_scc1 .LBB172_3
; %bb.5:                                ;   in Loop: Header=BB172_4 Depth=1
	s_mul_i32 s8, s2, s6
	s_delay_alu instid0(SALU_CYCLE_1) | instskip(NEXT) | instid1(SALU_CYCLE_1)
	s_ashr_i32 s9, s8, 31
	s_lshl_b64 s[8:9], s[8:9], 2
	s_waitcnt lgkmcnt(0)
	s_add_u32 s8, s22, s8
	s_addc_u32 s2, s23, s9
	s_delay_alu instid0(SALU_CYCLE_1)
	s_and_b32 s9, s2, 0xffff
	s_clause 0x3
	buffer_load_b128 v[24:27], v19, s[8:11], 0 offen
	buffer_load_b128 v[28:31], v19, s[8:11], 16 offen
	;; [unrolled: 1-line block ×4, first 2 shown]
	s_waitcnt vmcnt(3)
	v_dual_mul_f32 v38, v24, v5 :: v_dual_mul_f32 v39, v25, v10
	v_dual_mul_f32 v36, v26, v6 :: v_dual_mul_f32 v37, v27, v11
	s_waitcnt vmcnt(2)
	v_dual_mul_f32 v34, v28, v7 :: v_dual_mul_f32 v35, v29, v12
	s_delay_alu instid0(VALU_DEP_3) | instskip(SKIP_3) | instid1(VALU_DEP_3)
	v_max3_f32 v24, |v38|, 0x2edbe6ff, |v39|
	v_dual_mul_f32 v32, v30, v8 :: v_dual_mul_f32 v33, v31, v13
	s_waitcnt vmcnt(1)
	v_dual_mul_f32 v31, v40, v1 :: v_dual_mul_f32 v30, v41, v14
	v_max3_f32 v24, v24, |v36|, |v37|
	v_dual_mul_f32 v28, v42, v2 :: v_dual_mul_f32 v29, v43, v15
	s_waitcnt vmcnt(0)
	v_dual_mul_f32 v26, v44, v3 :: v_dual_mul_f32 v27, v45, v16
	s_delay_alu instid0(VALU_DEP_3) | instskip(SKIP_1) | instid1(VALU_DEP_2)
	v_max3_f32 v24, v24, |v34|, |v35|
	v_mul_f32_e32 v25, v47, v17
	v_max3_f32 v24, v24, |v32|, |v33|
	s_delay_alu instid0(VALU_DEP_1) | instskip(NEXT) | instid1(VALU_DEP_1)
	v_max3_f32 v24, v24, |v31|, |v30|
	v_max3_f32 v40, v24, |v28|, |v29|
	v_mul_f32_e32 v24, v46, v4
	s_delay_alu instid0(VALU_DEP_2) | instskip(NEXT) | instid1(VALU_DEP_1)
	v_max3_f32 v40, v40, |v26|, |v27|
	v_max3_f32 v40, v40, |v24|, |v25|
	s_delay_alu instid0(VALU_DEP_1) | instskip(NEXT) | instid1(VALU_DEP_1)
	v_mov_b32_dpp v41, v40 quad_perm:[1,0,3,2] row_mask:0xf bank_mask:0xf
	v_cmp_gt_f32_e64 s2, v40, v41
	s_delay_alu instid0(VALU_DEP_1) | instskip(NEXT) | instid1(VALU_DEP_1)
	v_cndmask_b32_e64 v40, v41, v40, s2
	v_mov_b32_dpp v41, v40 quad_perm:[2,3,0,1] row_mask:0xf bank_mask:0xf
	s_delay_alu instid0(VALU_DEP_1) | instskip(NEXT) | instid1(VALU_DEP_1)
	v_cmp_gt_f32_e64 s2, v40, v41
	v_cndmask_b32_e64 v40, v41, v40, s2
	s_delay_alu instid0(VALU_DEP_1) | instskip(NEXT) | instid1(VALU_DEP_1)
	v_mov_b32_dpp v41, v40 row_xmask:7 row_mask:0xf bank_mask:0xf
	v_cmp_gt_f32_e64 s2, v40, v41
	s_delay_alu instid0(VALU_DEP_1) | instskip(NEXT) | instid1(VALU_DEP_1)
	v_cndmask_b32_e64 v40, v41, v40, s2
	v_mov_b32_dpp v41, v40 row_xmask:15 row_mask:0xf bank_mask:0xf
	s_delay_alu instid0(VALU_DEP_1)
	v_cmp_gt_f32_e64 s2, v40, v41
	s_and_saveexec_b32 s8, vcc_lo
	s_cbranch_execz .LBB172_7
; %bb.6:                                ;   in Loop: Header=BB172_4 Depth=1
	s_delay_alu instid0(VALU_DEP_1) | instskip(NEXT) | instid1(VALU_DEP_1)
	v_cndmask_b32_e64 v40, v41, v40, s2
	v_permlanex16_b32 v41, v40, s7, 0xfedcba98 op_sel:[1,1]
	s_delay_alu instid0(VALU_DEP_1) | instskip(NEXT) | instid1(VALU_DEP_1)
	v_cmp_gt_f32_e64 s2, v40, v41
	v_cndmask_b32_e64 v40, v41, v40, s2
	ds_store_b32 v20, v40
.LBB172_7:                              ;   in Loop: Header=BB172_4 Depth=1
	s_or_b32 exec_lo, exec_lo, s8
	s_waitcnt lgkmcnt(0)
	s_waitcnt_vscnt null, 0x0
	s_barrier
	buffer_gl0_inv
	ds_load_b32 v40, v21
	s_waitcnt lgkmcnt(0)
	v_mov_b32_dpp v41, v40 quad_perm:[1,0,3,2] row_mask:0xf bank_mask:0xf
	s_delay_alu instid0(VALU_DEP_1) | instskip(NEXT) | instid1(VALU_DEP_1)
	v_cmp_gt_f32_e64 s2, v40, v41
	v_cndmask_b32_e64 v40, v41, v40, s2
	s_delay_alu instid0(VALU_DEP_1) | instskip(NEXT) | instid1(VALU_DEP_1)
	v_mov_b32_dpp v41, v40 quad_perm:[2,3,0,1] row_mask:0xf bank_mask:0xf
	v_cmp_gt_f32_e64 s2, v40, v41
	s_delay_alu instid0(VALU_DEP_1) | instskip(NEXT) | instid1(VALU_DEP_1)
	v_cndmask_b32_e64 v40, v41, v40, s2
	v_mov_b32_dpp v41, v40 row_xmask:7 row_mask:0xf bank_mask:0xf
	s_delay_alu instid0(VALU_DEP_1) | instskip(NEXT) | instid1(VALU_DEP_1)
	v_cmp_gt_f32_e64 s2, v40, v41
	v_cndmask_b32_e64 v40, v41, v40, s2
	s_delay_alu instid0(VALU_DEP_1) | instskip(NEXT) | instid1(VALU_DEP_1)
	v_mov_b32_dpp v41, v40 row_xmask:15 row_mask:0xf bank_mask:0xf
	v_cmp_gt_f32_e64 s2, v40, v41
	s_delay_alu instid0(VALU_DEP_1) | instskip(NEXT) | instid1(VALU_DEP_1)
	v_cndmask_b32_e64 v40, v41, v40, s2
	v_mul_f32_e32 v40, 0x3b124925, v40
	s_and_saveexec_b32 s2, s0
	s_cbranch_execz .LBB172_9
; %bb.8:                                ;   in Loop: Header=BB172_4 Depth=1
	s_ashr_i32 s21, s20, 31
	s_delay_alu instid0(SALU_CYCLE_1) | instskip(NEXT) | instid1(SALU_CYCLE_1)
	s_lshl_b64 s[8:9], s[20:21], 2
	s_add_u32 s8, s14, s8
	s_addc_u32 s9, s15, s9
	global_store_b32 v0, v40, s[8:9]
.LBB172_9:                              ;   in Loop: Header=BB172_4 Depth=1
	s_or_b32 exec_lo, exec_lo, s2
	s_and_saveexec_b32 s2, s1
	s_cbranch_execz .LBB172_2
; %bb.10:                               ;   in Loop: Header=BB172_4 Depth=1
	v_rcp_f32_e32 v40, v40
	s_mul_i32 s8, s20, s6
	s_mul_hi_i32 s9, s20, s6
	s_add_u32 s16, s12, s8
	s_addc_u32 s8, s13, s9
	s_mov_b32 s19, s11
	s_and_b32 s17, s8, 0xffff
	s_waitcnt_depctr 0xfff
	v_mul_f32_e32 v38, v38, v40
	v_mul_f32_e32 v39, v39, v40
	;; [unrolled: 1-line block ×5, first 2 shown]
	;;#ASMSTART
	v_med3_f32 v38, v38, v22, v23
v_med3_f32 v39, v39, v22, v23
v_cvt_pk_fp8_f32 v31, v38, v39
	;;#ASMEND
	;;#ASMSTART
	v_med3_f32 v36, v36, v22, v23
v_med3_f32 v37, v37, v22, v23
v_cvt_pk_fp8_f32 v38, v36, v37
	;;#ASMEND
	v_perm_b32 v36, v38, v31, 0x5040100
	v_mul_f32_e32 v34, v34, v40
	v_mul_f32_e32 v35, v35, v40
	;; [unrolled: 1-line block ×5, first 2 shown]
	;;#ASMSTART
	v_med3_f32 v34, v34, v22, v23
v_med3_f32 v35, v35, v22, v23
v_cvt_pk_fp8_f32 v30, v34, v35
	;;#ASMEND
	;;#ASMSTART
	v_med3_f32 v32, v32, v22, v23
v_med3_f32 v33, v33, v22, v23
v_cvt_pk_fp8_f32 v31, v32, v33
	;;#ASMEND
	v_mul_f32_e32 v28, v28, v40
	v_mul_f32_e32 v29, v29, v40
	;; [unrolled: 1-line block ×4, first 2 shown]
	;;#ASMSTART
	v_med3_f32 v41, v41, v22, v23
v_med3_f32 v37, v37, v22, v23
v_cvt_pk_fp8_f32 v32, v41, v37
	;;#ASMEND
	;;#ASMSTART
	v_med3_f32 v28, v28, v22, v23
v_med3_f32 v29, v29, v22, v23
v_cvt_pk_fp8_f32 v33, v28, v29
	;;#ASMEND
	v_mul_f32_e32 v24, v24, v40
	v_mul_f32_e32 v25, v25, v40
	;;#ASMSTART
	v_med3_f32 v26, v26, v22, v23
v_med3_f32 v27, v27, v22, v23
v_cvt_pk_fp8_f32 v28, v26, v27
	;;#ASMEND
	v_perm_b32 v31, v30, v31, 0x1000504
	v_perm_b32 v30, v36, v38, 0x1060504
	;; [unrolled: 1-line block ×3, first 2 shown]
	;;#ASMSTART
	v_med3_f32 v24, v24, v22, v23
v_med3_f32 v25, v25, v22, v23
v_cvt_pk_fp8_f32 v26, v24, v25
	;;#ASMEND
	v_perm_b32 v33, v28, v26, 0x1000504
	buffer_store_b128 v[30:33], v18, s[16:19], 0 offen
	;;#ASMSTART
	s_nop 0
	;;#ASMEND
	s_branch .LBB172_2
.LBB172_11:
	s_nop 0
	s_sendmsg sendmsg(MSG_DEALLOC_VGPRS)
	s_endpgm
	.section	.rodata,"a",@progbits
	.p2align	6, 0x0
	.amdhsa_kernel _ZN5aiter43moe_smooth_per_token_scaled_quant_kernel_v1IDF16_DB8_Li512ELi16ELb1ELb0ELi1024EEEvPT0_PfPT_S4_PiS7_iiiii
		.amdhsa_group_segment_fixed_size 64
		.amdhsa_private_segment_fixed_size 0
		.amdhsa_kernarg_size 68
		.amdhsa_user_sgpr_count 15
		.amdhsa_user_sgpr_dispatch_ptr 0
		.amdhsa_user_sgpr_queue_ptr 0
		.amdhsa_user_sgpr_kernarg_segment_ptr 1
		.amdhsa_user_sgpr_dispatch_id 0
		.amdhsa_user_sgpr_private_segment_size 0
		.amdhsa_wavefront_size32 1
		.amdhsa_uses_dynamic_stack 0
		.amdhsa_enable_private_segment 0
		.amdhsa_system_sgpr_workgroup_id_x 1
		.amdhsa_system_sgpr_workgroup_id_y 0
		.amdhsa_system_sgpr_workgroup_id_z 0
		.amdhsa_system_sgpr_workgroup_info 0
		.amdhsa_system_vgpr_workitem_id 0
		.amdhsa_next_free_vgpr 48
		.amdhsa_next_free_sgpr 24
		.amdhsa_reserve_vcc 1
		.amdhsa_float_round_mode_32 0
		.amdhsa_float_round_mode_16_64 0
		.amdhsa_float_denorm_mode_32 3
		.amdhsa_float_denorm_mode_16_64 3
		.amdhsa_dx10_clamp 1
		.amdhsa_ieee_mode 1
		.amdhsa_fp16_overflow 0
		.amdhsa_workgroup_processor_mode 1
		.amdhsa_memory_ordered 1
		.amdhsa_forward_progress 0
		.amdhsa_shared_vgpr_count 0
		.amdhsa_exception_fp_ieee_invalid_op 0
		.amdhsa_exception_fp_denorm_src 0
		.amdhsa_exception_fp_ieee_div_zero 0
		.amdhsa_exception_fp_ieee_overflow 0
		.amdhsa_exception_fp_ieee_underflow 0
		.amdhsa_exception_fp_ieee_inexact 0
		.amdhsa_exception_int_div_zero 0
	.end_amdhsa_kernel
	.section	.text._ZN5aiter43moe_smooth_per_token_scaled_quant_kernel_v1IDF16_DB8_Li512ELi16ELb1ELb0ELi1024EEEvPT0_PfPT_S4_PiS7_iiiii,"axG",@progbits,_ZN5aiter43moe_smooth_per_token_scaled_quant_kernel_v1IDF16_DB8_Li512ELi16ELb1ELb0ELi1024EEEvPT0_PfPT_S4_PiS7_iiiii,comdat
.Lfunc_end172:
	.size	_ZN5aiter43moe_smooth_per_token_scaled_quant_kernel_v1IDF16_DB8_Li512ELi16ELb1ELb0ELi1024EEEvPT0_PfPT_S4_PiS7_iiiii, .Lfunc_end172-_ZN5aiter43moe_smooth_per_token_scaled_quant_kernel_v1IDF16_DB8_Li512ELi16ELb1ELb0ELi1024EEEvPT0_PfPT_S4_PiS7_iiiii
                                        ; -- End function
	.section	.AMDGPU.csdata,"",@progbits
; Kernel info:
; codeLenInByte = 1768
; NumSgprs: 26
; NumVgprs: 48
; ScratchSize: 0
; MemoryBound: 0
; FloatMode: 240
; IeeeMode: 1
; LDSByteSize: 64 bytes/workgroup (compile time only)
; SGPRBlocks: 3
; VGPRBlocks: 5
; NumSGPRsForWavesPerEU: 26
; NumVGPRsForWavesPerEU: 48
; Occupancy: 16
; WaveLimiterHint : 0
; COMPUTE_PGM_RSRC2:SCRATCH_EN: 0
; COMPUTE_PGM_RSRC2:USER_SGPR: 15
; COMPUTE_PGM_RSRC2:TRAP_HANDLER: 0
; COMPUTE_PGM_RSRC2:TGID_X_EN: 1
; COMPUTE_PGM_RSRC2:TGID_Y_EN: 0
; COMPUTE_PGM_RSRC2:TGID_Z_EN: 0
; COMPUTE_PGM_RSRC2:TIDIG_COMP_CNT: 0
	.section	.text._ZN5aiter43moe_smooth_per_token_scaled_quant_kernel_v1ItDB8_Li512ELi16ELb1ELb0ELi1024EEEvPT0_PfPT_S4_PiS7_iiiii,"axG",@progbits,_ZN5aiter43moe_smooth_per_token_scaled_quant_kernel_v1ItDB8_Li512ELi16ELb1ELb0ELi1024EEEvPT0_PfPT_S4_PiS7_iiiii,comdat
	.protected	_ZN5aiter43moe_smooth_per_token_scaled_quant_kernel_v1ItDB8_Li512ELi16ELb1ELb0ELi1024EEEvPT0_PfPT_S4_PiS7_iiiii ; -- Begin function _ZN5aiter43moe_smooth_per_token_scaled_quant_kernel_v1ItDB8_Li512ELi16ELb1ELb0ELi1024EEEvPT0_PfPT_S4_PiS7_iiiii
	.globl	_ZN5aiter43moe_smooth_per_token_scaled_quant_kernel_v1ItDB8_Li512ELi16ELb1ELb0ELi1024EEEvPT0_PfPT_S4_PiS7_iiiii
	.p2align	8
	.type	_ZN5aiter43moe_smooth_per_token_scaled_quant_kernel_v1ItDB8_Li512ELi16ELb1ELb0ELi1024EEEvPT0_PfPT_S4_PiS7_iiiii,@function
_ZN5aiter43moe_smooth_per_token_scaled_quant_kernel_v1ItDB8_Li512ELi16ELb1ELb0ELi1024EEEvPT0_PfPT_S4_PiS7_iiiii: ; @_ZN5aiter43moe_smooth_per_token_scaled_quant_kernel_v1ItDB8_Li512ELi16ELb1ELb0ELi1024EEEvPT0_PfPT_S4_PiS7_iiiii
; %bb.0:
	s_clause 0x2
	s_load_b128 s[4:7], s[0:1], 0x30
	s_load_b64 s[2:3], s[0:1], 0x20
	s_load_b64 s[12:13], s[0:1], 0x10
	v_and_b32_e32 v20, 31, v0
	s_mov_b32 s20, s15
	s_mov_b32 s11, -1
	v_lshlrev_b32_e32 v1, 5, v0
	s_delay_alu instid0(VALU_DEP_2)
	v_lshlrev_b32_e32 v2, 2, v20
	s_waitcnt lgkmcnt(0)
	s_mul_i32 s8, s15, s5
	s_mul_hi_i32 s15, s7, s15
	s_ashr_i32 s9, s8, 31
	s_mul_i32 s14, s7, s20
	s_lshl_b64 s[8:9], s[8:9], 2
	s_delay_alu instid0(SALU_CYCLE_1)
	s_add_u32 s8, s2, s8
	s_addc_u32 s2, s3, s9
	s_lshl_b32 s10, s5, 2
	s_and_b32 s9, s2, 0xffff
	s_lshl_b64 s[2:3], s[14:15], 1
	buffer_load_b32 v9, v2, s[8:11], 0 offen
	s_add_u32 s8, s12, s2
	s_addc_u32 s2, s13, s3
	s_lshl_b32 s10, s6, 1
	s_and_b32 s9, s2, 0xffff
	s_clause 0x1
	buffer_load_b128 v[5:8], v1, s[8:11], 0 offen
	buffer_load_b128 v[1:4], v1, s[8:11], 16 offen
	s_mov_b32 s3, 0
	s_cmp_lt_i32 s5, 1
	s_waitcnt vmcnt(0) expcnt(2) lgkmcnt(55)
	s_barrier
	buffer_gl0_inv
	s_cbranch_scc1 .LBB173_11
; %bb.1:
	v_and_b32_e32 v10, 0xffff, v5
	s_clause 0x1
	s_load_b128 s[12:15], s[0:1], 0x0
	s_load_b64 s[22:23], s[0:1], 0x18
	v_lshrrev_b32_e32 v11, 16, v5
	v_and_b32_e32 v12, 0xffff, v6
	v_and_b32_e32 v13, 0xffff, v7
	v_lshrrev_b32_e32 v14, 16, v7
	v_cvt_f32_u32_e32 v5, v10
	v_lshrrev_b32_e32 v10, 16, v6
	v_cvt_f32_u32_e32 v6, v11
	v_cvt_f32_u32_e32 v7, v12
	;; [unrolled: 1-line block ×4, first 2 shown]
	v_and_b32_e32 v13, 0xffff, v8
	v_and_b32_e32 v14, 0xffff, v1
	v_lshrrev_b32_e32 v15, 16, v1
	v_and_b32_e32 v16, 0xffff, v2
	s_add_i32 s1, s6, 15
	v_lshrrev_b32_e32 v8, 16, v8
	s_ashr_i32 s2, s1, 31
	v_cvt_f32_u32_e32 v1, v13
	s_lshr_b32 s2, s2, 28
	v_cvt_f32_u32_e32 v13, v14
	v_cvt_f32_u32_e32 v14, v15
	;; [unrolled: 1-line block ×3, first 2 shown]
	v_lshrrev_b32_e32 v2, 16, v2
	v_and_b32_e32 v16, 0xffff, v3
	v_lshrrev_b32_e32 v17, 16, v3
	v_and_b32_e32 v18, 0xffff, v4
	v_lshrrev_b32_e32 v19, 16, v4
	v_lshrrev_b32_e32 v21, 3, v0
	v_and_b32_e32 v22, 15, v0
	s_add_i32 s7, s6, 3
	s_add_i32 s1, s1, s2
	s_ashr_i32 s2, s7, 31
	s_ashr_i32 s1, s1, 4
	s_lshr_b32 s2, s2, 30
	v_cvt_f32_u32_e32 v10, v10
	v_cvt_f32_u32_e32 v8, v8
	v_cvt_f32_u32_e32 v2, v2
	v_cvt_f32_u32_e32 v3, v16
	v_cvt_f32_u32_e32 v4, v17
	v_cvt_f32_u32_e32 v16, v18
	v_cvt_f32_u32_e32 v17, v19
	v_dual_mov_b32 v23, 0x43e00000 :: v_dual_lshlrev_b32 v18, 4, v0
	v_lshlrev_b32_e32 v19, 6, v0
	v_cmp_eq_u32_e32 vcc_lo, 31, v20
	v_and_b32_e32 v20, 0x7c, v21
	v_dual_mov_b32 v22, 0xc3e00000 :: v_dual_lshlrev_b32 v21, 2, v22
	v_cmp_eq_u32_e64 s0, 0, v0
	v_cmp_gt_u32_e64 s1, s1, v0
	v_mov_b32_e32 v0, 0
	s_add_i32 s7, s7, s2
	s_lshl_b32 s10, s6, 2
	s_and_b32 s18, s7, -4
	s_mov_b32 s7, 0x76543210
	s_branch .LBB173_4
.LBB173_2:                              ;   in Loop: Header=BB173_4 Depth=1
	s_or_b32 exec_lo, exec_lo, s2
.LBB173_3:                              ;   in Loop: Header=BB173_4 Depth=1
	s_add_i32 s3, s3, 1
	s_add_i32 s20, s20, s4
	s_cmp_eq_u32 s5, s3
	s_cbranch_scc1 .LBB173_11
.LBB173_4:                              ; =>This Inner Loop Header: Depth=1
	v_readlane_b32 s2, v9, s3
	s_delay_alu instid0(VALU_DEP_1)
	s_cmp_lt_i32 s2, 0
	s_cbranch_scc1 .LBB173_3
; %bb.5:                                ;   in Loop: Header=BB173_4 Depth=1
	s_mul_i32 s8, s2, s6
	s_delay_alu instid0(SALU_CYCLE_1) | instskip(NEXT) | instid1(SALU_CYCLE_1)
	s_ashr_i32 s9, s8, 31
	s_lshl_b64 s[8:9], s[8:9], 2
	s_waitcnt lgkmcnt(0)
	s_add_u32 s8, s22, s8
	s_addc_u32 s2, s23, s9
	s_delay_alu instid0(SALU_CYCLE_1)
	s_and_b32 s9, s2, 0xffff
	s_clause 0x3
	buffer_load_b128 v[24:27], v19, s[8:11], 0 offen
	buffer_load_b128 v[28:31], v19, s[8:11], 16 offen
	;; [unrolled: 1-line block ×4, first 2 shown]
	s_waitcnt vmcnt(3)
	v_dual_mul_f32 v38, v24, v5 :: v_dual_mul_f32 v39, v25, v6
	v_dual_mul_f32 v36, v26, v7 :: v_dual_mul_f32 v37, v27, v10
	s_waitcnt vmcnt(2)
	v_dual_mul_f32 v34, v28, v11 :: v_dual_mul_f32 v35, v29, v12
	s_delay_alu instid0(VALU_DEP_3) | instskip(SKIP_3) | instid1(VALU_DEP_3)
	v_max3_f32 v24, |v38|, 0x2edbe6ff, |v39|
	v_dual_mul_f32 v32, v30, v1 :: v_dual_mul_f32 v33, v31, v8
	s_waitcnt vmcnt(1)
	v_dual_mul_f32 v31, v40, v13 :: v_dual_mul_f32 v30, v41, v14
	v_max3_f32 v24, v24, |v36|, |v37|
	v_dual_mul_f32 v28, v42, v15 :: v_dual_mul_f32 v29, v43, v2
	s_waitcnt vmcnt(0)
	v_dual_mul_f32 v26, v44, v3 :: v_dual_mul_f32 v27, v45, v4
	s_delay_alu instid0(VALU_DEP_3) | instskip(SKIP_1) | instid1(VALU_DEP_2)
	v_max3_f32 v24, v24, |v34|, |v35|
	v_mul_f32_e32 v25, v47, v17
	v_max3_f32 v24, v24, |v32|, |v33|
	s_delay_alu instid0(VALU_DEP_1) | instskip(NEXT) | instid1(VALU_DEP_1)
	v_max3_f32 v24, v24, |v31|, |v30|
	v_max3_f32 v40, v24, |v28|, |v29|
	v_mul_f32_e32 v24, v46, v16
	s_delay_alu instid0(VALU_DEP_2) | instskip(NEXT) | instid1(VALU_DEP_1)
	v_max3_f32 v40, v40, |v26|, |v27|
	v_max3_f32 v40, v40, |v24|, |v25|
	s_delay_alu instid0(VALU_DEP_1) | instskip(NEXT) | instid1(VALU_DEP_1)
	v_mov_b32_dpp v41, v40 quad_perm:[1,0,3,2] row_mask:0xf bank_mask:0xf
	v_cmp_gt_f32_e64 s2, v40, v41
	s_delay_alu instid0(VALU_DEP_1) | instskip(NEXT) | instid1(VALU_DEP_1)
	v_cndmask_b32_e64 v40, v41, v40, s2
	v_mov_b32_dpp v41, v40 quad_perm:[2,3,0,1] row_mask:0xf bank_mask:0xf
	s_delay_alu instid0(VALU_DEP_1) | instskip(NEXT) | instid1(VALU_DEP_1)
	v_cmp_gt_f32_e64 s2, v40, v41
	v_cndmask_b32_e64 v40, v41, v40, s2
	s_delay_alu instid0(VALU_DEP_1) | instskip(NEXT) | instid1(VALU_DEP_1)
	v_mov_b32_dpp v41, v40 row_xmask:7 row_mask:0xf bank_mask:0xf
	v_cmp_gt_f32_e64 s2, v40, v41
	s_delay_alu instid0(VALU_DEP_1) | instskip(NEXT) | instid1(VALU_DEP_1)
	v_cndmask_b32_e64 v40, v41, v40, s2
	v_mov_b32_dpp v41, v40 row_xmask:15 row_mask:0xf bank_mask:0xf
	s_delay_alu instid0(VALU_DEP_1)
	v_cmp_gt_f32_e64 s2, v40, v41
	s_and_saveexec_b32 s8, vcc_lo
	s_cbranch_execz .LBB173_7
; %bb.6:                                ;   in Loop: Header=BB173_4 Depth=1
	s_delay_alu instid0(VALU_DEP_1) | instskip(NEXT) | instid1(VALU_DEP_1)
	v_cndmask_b32_e64 v40, v41, v40, s2
	v_permlanex16_b32 v41, v40, s7, 0xfedcba98 op_sel:[1,1]
	s_delay_alu instid0(VALU_DEP_1) | instskip(NEXT) | instid1(VALU_DEP_1)
	v_cmp_gt_f32_e64 s2, v40, v41
	v_cndmask_b32_e64 v40, v41, v40, s2
	ds_store_b32 v20, v40
.LBB173_7:                              ;   in Loop: Header=BB173_4 Depth=1
	s_or_b32 exec_lo, exec_lo, s8
	s_waitcnt lgkmcnt(0)
	s_waitcnt_vscnt null, 0x0
	s_barrier
	buffer_gl0_inv
	ds_load_b32 v40, v21
	s_waitcnt lgkmcnt(0)
	v_mov_b32_dpp v41, v40 quad_perm:[1,0,3,2] row_mask:0xf bank_mask:0xf
	s_delay_alu instid0(VALU_DEP_1) | instskip(NEXT) | instid1(VALU_DEP_1)
	v_cmp_gt_f32_e64 s2, v40, v41
	v_cndmask_b32_e64 v40, v41, v40, s2
	s_delay_alu instid0(VALU_DEP_1) | instskip(NEXT) | instid1(VALU_DEP_1)
	v_mov_b32_dpp v41, v40 quad_perm:[2,3,0,1] row_mask:0xf bank_mask:0xf
	v_cmp_gt_f32_e64 s2, v40, v41
	s_delay_alu instid0(VALU_DEP_1) | instskip(NEXT) | instid1(VALU_DEP_1)
	v_cndmask_b32_e64 v40, v41, v40, s2
	v_mov_b32_dpp v41, v40 row_xmask:7 row_mask:0xf bank_mask:0xf
	s_delay_alu instid0(VALU_DEP_1) | instskip(NEXT) | instid1(VALU_DEP_1)
	v_cmp_gt_f32_e64 s2, v40, v41
	v_cndmask_b32_e64 v40, v41, v40, s2
	s_delay_alu instid0(VALU_DEP_1) | instskip(NEXT) | instid1(VALU_DEP_1)
	v_mov_b32_dpp v41, v40 row_xmask:15 row_mask:0xf bank_mask:0xf
	v_cmp_gt_f32_e64 s2, v40, v41
	s_delay_alu instid0(VALU_DEP_1) | instskip(NEXT) | instid1(VALU_DEP_1)
	v_cndmask_b32_e64 v40, v41, v40, s2
	v_mul_f32_e32 v40, 0x3b124925, v40
	s_and_saveexec_b32 s2, s0
	s_cbranch_execz .LBB173_9
; %bb.8:                                ;   in Loop: Header=BB173_4 Depth=1
	s_ashr_i32 s21, s20, 31
	s_delay_alu instid0(SALU_CYCLE_1) | instskip(NEXT) | instid1(SALU_CYCLE_1)
	s_lshl_b64 s[8:9], s[20:21], 2
	s_add_u32 s8, s14, s8
	s_addc_u32 s9, s15, s9
	global_store_b32 v0, v40, s[8:9]
.LBB173_9:                              ;   in Loop: Header=BB173_4 Depth=1
	s_or_b32 exec_lo, exec_lo, s2
	s_and_saveexec_b32 s2, s1
	s_cbranch_execz .LBB173_2
; %bb.10:                               ;   in Loop: Header=BB173_4 Depth=1
	v_rcp_f32_e32 v40, v40
	s_mul_i32 s8, s20, s6
	s_mul_hi_i32 s9, s20, s6
	s_add_u32 s16, s12, s8
	s_addc_u32 s8, s13, s9
	s_mov_b32 s19, s11
	s_and_b32 s17, s8, 0xffff
	s_waitcnt_depctr 0xfff
	v_mul_f32_e32 v38, v38, v40
	v_mul_f32_e32 v39, v39, v40
	;; [unrolled: 1-line block ×5, first 2 shown]
	;;#ASMSTART
	v_med3_f32 v38, v38, v22, v23
v_med3_f32 v39, v39, v22, v23
v_cvt_pk_fp8_f32 v31, v38, v39
	;;#ASMEND
	;;#ASMSTART
	v_med3_f32 v36, v36, v22, v23
v_med3_f32 v37, v37, v22, v23
v_cvt_pk_fp8_f32 v38, v36, v37
	;;#ASMEND
	v_perm_b32 v36, v38, v31, 0x5040100
	v_mul_f32_e32 v34, v34, v40
	v_mul_f32_e32 v35, v35, v40
	;; [unrolled: 1-line block ×5, first 2 shown]
	;;#ASMSTART
	v_med3_f32 v34, v34, v22, v23
v_med3_f32 v35, v35, v22, v23
v_cvt_pk_fp8_f32 v30, v34, v35
	;;#ASMEND
	;;#ASMSTART
	v_med3_f32 v32, v32, v22, v23
v_med3_f32 v33, v33, v22, v23
v_cvt_pk_fp8_f32 v31, v32, v33
	;;#ASMEND
	v_mul_f32_e32 v28, v28, v40
	v_mul_f32_e32 v29, v29, v40
	;; [unrolled: 1-line block ×4, first 2 shown]
	;;#ASMSTART
	v_med3_f32 v41, v41, v22, v23
v_med3_f32 v37, v37, v22, v23
v_cvt_pk_fp8_f32 v32, v41, v37
	;;#ASMEND
	;;#ASMSTART
	v_med3_f32 v28, v28, v22, v23
v_med3_f32 v29, v29, v22, v23
v_cvt_pk_fp8_f32 v33, v28, v29
	;;#ASMEND
	v_mul_f32_e32 v24, v24, v40
	v_mul_f32_e32 v25, v25, v40
	;;#ASMSTART
	v_med3_f32 v26, v26, v22, v23
v_med3_f32 v27, v27, v22, v23
v_cvt_pk_fp8_f32 v28, v26, v27
	;;#ASMEND
	v_perm_b32 v31, v30, v31, 0x1000504
	v_perm_b32 v30, v36, v38, 0x1060504
	;; [unrolled: 1-line block ×3, first 2 shown]
	;;#ASMSTART
	v_med3_f32 v24, v24, v22, v23
v_med3_f32 v25, v25, v22, v23
v_cvt_pk_fp8_f32 v26, v24, v25
	;;#ASMEND
	v_perm_b32 v33, v28, v26, 0x1000504
	buffer_store_b128 v[30:33], v18, s[16:19], 0 offen
	;;#ASMSTART
	s_nop 0
	;;#ASMEND
	s_branch .LBB173_2
.LBB173_11:
	s_nop 0
	s_sendmsg sendmsg(MSG_DEALLOC_VGPRS)
	s_endpgm
	.section	.rodata,"a",@progbits
	.p2align	6, 0x0
	.amdhsa_kernel _ZN5aiter43moe_smooth_per_token_scaled_quant_kernel_v1ItDB8_Li512ELi16ELb1ELb0ELi1024EEEvPT0_PfPT_S4_PiS7_iiiii
		.amdhsa_group_segment_fixed_size 64
		.amdhsa_private_segment_fixed_size 0
		.amdhsa_kernarg_size 68
		.amdhsa_user_sgpr_count 15
		.amdhsa_user_sgpr_dispatch_ptr 0
		.amdhsa_user_sgpr_queue_ptr 0
		.amdhsa_user_sgpr_kernarg_segment_ptr 1
		.amdhsa_user_sgpr_dispatch_id 0
		.amdhsa_user_sgpr_private_segment_size 0
		.amdhsa_wavefront_size32 1
		.amdhsa_uses_dynamic_stack 0
		.amdhsa_enable_private_segment 0
		.amdhsa_system_sgpr_workgroup_id_x 1
		.amdhsa_system_sgpr_workgroup_id_y 0
		.amdhsa_system_sgpr_workgroup_id_z 0
		.amdhsa_system_sgpr_workgroup_info 0
		.amdhsa_system_vgpr_workitem_id 0
		.amdhsa_next_free_vgpr 48
		.amdhsa_next_free_sgpr 24
		.amdhsa_reserve_vcc 1
		.amdhsa_float_round_mode_32 0
		.amdhsa_float_round_mode_16_64 0
		.amdhsa_float_denorm_mode_32 3
		.amdhsa_float_denorm_mode_16_64 3
		.amdhsa_dx10_clamp 1
		.amdhsa_ieee_mode 1
		.amdhsa_fp16_overflow 0
		.amdhsa_workgroup_processor_mode 1
		.amdhsa_memory_ordered 1
		.amdhsa_forward_progress 0
		.amdhsa_shared_vgpr_count 0
		.amdhsa_exception_fp_ieee_invalid_op 0
		.amdhsa_exception_fp_denorm_src 0
		.amdhsa_exception_fp_ieee_div_zero 0
		.amdhsa_exception_fp_ieee_overflow 0
		.amdhsa_exception_fp_ieee_underflow 0
		.amdhsa_exception_fp_ieee_inexact 0
		.amdhsa_exception_int_div_zero 0
	.end_amdhsa_kernel
	.section	.text._ZN5aiter43moe_smooth_per_token_scaled_quant_kernel_v1ItDB8_Li512ELi16ELb1ELb0ELi1024EEEvPT0_PfPT_S4_PiS7_iiiii,"axG",@progbits,_ZN5aiter43moe_smooth_per_token_scaled_quant_kernel_v1ItDB8_Li512ELi16ELb1ELb0ELi1024EEEvPT0_PfPT_S4_PiS7_iiiii,comdat
.Lfunc_end173:
	.size	_ZN5aiter43moe_smooth_per_token_scaled_quant_kernel_v1ItDB8_Li512ELi16ELb1ELb0ELi1024EEEvPT0_PfPT_S4_PiS7_iiiii, .Lfunc_end173-_ZN5aiter43moe_smooth_per_token_scaled_quant_kernel_v1ItDB8_Li512ELi16ELb1ELb0ELi1024EEEvPT0_PfPT_S4_PiS7_iiiii
                                        ; -- End function
	.section	.AMDGPU.csdata,"",@progbits
; Kernel info:
; codeLenInByte = 1832
; NumSgprs: 26
; NumVgprs: 48
; ScratchSize: 0
; MemoryBound: 0
; FloatMode: 240
; IeeeMode: 1
; LDSByteSize: 64 bytes/workgroup (compile time only)
; SGPRBlocks: 3
; VGPRBlocks: 5
; NumSGPRsForWavesPerEU: 26
; NumVGPRsForWavesPerEU: 48
; Occupancy: 16
; WaveLimiterHint : 0
; COMPUTE_PGM_RSRC2:SCRATCH_EN: 0
; COMPUTE_PGM_RSRC2:USER_SGPR: 15
; COMPUTE_PGM_RSRC2:TRAP_HANDLER: 0
; COMPUTE_PGM_RSRC2:TGID_X_EN: 1
; COMPUTE_PGM_RSRC2:TGID_Y_EN: 0
; COMPUTE_PGM_RSRC2:TGID_Z_EN: 0
; COMPUTE_PGM_RSRC2:TIDIG_COMP_CNT: 0
	.section	.text._ZN5aiter43moe_smooth_per_token_scaled_quant_kernel_v1IDF16_DB8_Li512ELi16ELb0ELb1ELi1024EEEvPT0_PfPT_S4_PiS7_iiiii,"axG",@progbits,_ZN5aiter43moe_smooth_per_token_scaled_quant_kernel_v1IDF16_DB8_Li512ELi16ELb0ELb1ELi1024EEEvPT0_PfPT_S4_PiS7_iiiii,comdat
	.protected	_ZN5aiter43moe_smooth_per_token_scaled_quant_kernel_v1IDF16_DB8_Li512ELi16ELb0ELb1ELi1024EEEvPT0_PfPT_S4_PiS7_iiiii ; -- Begin function _ZN5aiter43moe_smooth_per_token_scaled_quant_kernel_v1IDF16_DB8_Li512ELi16ELb0ELb1ELi1024EEEvPT0_PfPT_S4_PiS7_iiiii
	.globl	_ZN5aiter43moe_smooth_per_token_scaled_quant_kernel_v1IDF16_DB8_Li512ELi16ELb0ELb1ELi1024EEEvPT0_PfPT_S4_PiS7_iiiii
	.p2align	8
	.type	_ZN5aiter43moe_smooth_per_token_scaled_quant_kernel_v1IDF16_DB8_Li512ELi16ELb0ELb1ELi1024EEEvPT0_PfPT_S4_PiS7_iiiii,@function
_ZN5aiter43moe_smooth_per_token_scaled_quant_kernel_v1IDF16_DB8_Li512ELi16ELb0ELb1ELi1024EEEvPT0_PfPT_S4_PiS7_iiiii: ; @_ZN5aiter43moe_smooth_per_token_scaled_quant_kernel_v1IDF16_DB8_Li512ELi16ELb0ELb1ELi1024EEEvPT0_PfPT_S4_PiS7_iiiii
; %bb.0:
	s_clause 0x2
	s_load_b128 s[4:7], s[0:1], 0x34
	s_load_b128 s[8:11], s[0:1], 0x20
	s_load_b64 s[2:3], s[0:1], 0x10
	v_and_b32_e32 v20, 31, v0
	v_lshlrev_b32_e32 v10, 2, v0
	s_mov_b32 s19, -1
	s_delay_alu instid0(VALU_DEP_2)
	v_lshlrev_b32_e32 v1, 2, v20
	s_waitcnt lgkmcnt(0)
	s_mul_i32 s20, s15, s4
	s_lshl_b32 s18, s7, 2
	s_ashr_i32 s21, s20, 31
	s_and_b32 s17, s11, 0xffff
	s_mov_b32 s16, s10
	s_lshl_b64 s[12:13], s[20:21], 2
	s_clause 0x1
	buffer_load_b32 v11, v10, s[16:19], 0 offen
	buffer_load_b32 v12, v10, s[16:19], 0 offen offset:2048
	s_add_u32 s16, s8, s12
	s_addc_u32 s8, s9, s13
	s_lshl_b32 s18, s4, 2
	s_and_b32 s17, s8, 0xffff
	s_mul_hi_i32 s11, s6, s15
	s_mul_i32 s10, s6, s15
	buffer_load_b32 v9, v1, s[16:19], 0 offen
	s_lshl_b64 s[8:9], s[10:11], 1
	v_lshlrev_b32_e32 v1, 5, v0
	s_add_u32 s16, s2, s8
	s_addc_u32 s2, s3, s9
	s_lshl_b32 s18, s5, 1
	s_and_b32 s17, s2, 0xffff
	s_clause 0x1
	buffer_load_b128 v[5:8], v1, s[16:19], 0 offen
	buffer_load_b128 v[1:4], v1, s[16:19], 16 offen
	v_cmp_gt_i32_e32 vcc_lo, s4, v20
	s_waitcnt vmcnt(3)
	ds_store_2addr_stride64_b32 v10, v11, v12 offset1:8
	s_waitcnt vmcnt(0) expcnt(2) lgkmcnt(0)
	s_barrier
	buffer_gl0_inv
	v_cmp_gt_i32_e64 s2, s7, v9
	v_cmp_lt_i32_e64 s3, -1, v9
	s_delay_alu instid0(VALU_DEP_2)
	s_and_b32 s2, vcc_lo, s2
	s_delay_alu instid0(VALU_DEP_1) | instid1(SALU_CYCLE_1)
	s_and_b32 s3, s2, s3
	s_delay_alu instid0(SALU_CYCLE_1)
	s_and_saveexec_b32 s2, s3
	s_cbranch_execz .LBB174_2
; %bb.1:
	v_lshlrev_b32_e32 v9, 2, v9
	ds_load_b32 v9, v9
.LBB174_2:
	s_or_b32 exec_lo, exec_lo, s2
	s_cmp_lt_i32 s4, 1
	s_cbranch_scc1 .LBB174_13
; %bb.3:
	s_clause 0x1
	s_load_b128 s[8:11], s[0:1], 0x0
	s_load_b64 s[6:7], s[0:1], 0x18
	s_add_i32 s1, s5, 15
	v_lshrrev_b32_e32 v10, 16, v5
	s_ashr_i32 s2, s1, 31
	v_lshrrev_b32_e32 v11, 16, v6
	s_lshr_b32 s2, s2, 28
	v_lshrrev_b32_e32 v12, 16, v7
	v_lshrrev_b32_e32 v13, 16, v8
	;; [unrolled: 1-line block ×7, first 2 shown]
	v_and_b32_e32 v22, 15, v0
	s_add_i32 s3, s5, 3
	s_add_i32 s1, s1, s2
	s_ashr_i32 s2, s3, 31
	s_movk_i32 s0, 0x7c
	s_ashr_i32 s1, s1, 4
	s_lshr_b32 s2, s2, 30
	v_cvt_f32_f16_e32 v5, v5
	v_cvt_f32_f16_e32 v10, v10
	v_cvt_f32_f16_e32 v6, v6
	v_cvt_f32_f16_e32 v11, v11
	v_cvt_f32_f16_e32 v7, v7
	v_cvt_f32_f16_e32 v12, v12
	v_cvt_f32_f16_e32 v8, v8
	v_cvt_f32_f16_e32 v13, v13
	v_cvt_f32_f16_e32 v1, v1
	v_cvt_f32_f16_e32 v14, v14
	v_cvt_f32_f16_e32 v2, v2
	v_cvt_f32_f16_e32 v15, v15
	v_cvt_f32_f16_e32 v3, v3
	v_cvt_f32_f16_e32 v16, v16
	v_cvt_f32_f16_e32 v4, v4
	v_cvt_f32_f16_e32 v17, v17
	v_dual_mov_b32 v23, 0x43e00000 :: v_dual_lshlrev_b32 v18, 4, v0
	v_lshlrev_b32_e32 v19, 6, v0
	v_cmp_eq_u32_e32 vcc_lo, 31, v20
	v_and_or_b32 v20, v21, s0, 0x1000
	v_lshl_or_b32 v21, v22, 2, 0x1000
	v_cmp_eq_u32_e64 s0, 0, v0
	v_cmp_gt_u32_e64 s1, s1, v0
	v_mov_b32_e32 v0, 0
	v_mov_b32_e32 v22, 0xc3e00000
	s_add_i32 s3, s3, s2
	s_mov_b32 s21, s5
	s_lshl_b32 s14, s5, 2
	s_mov_b32 s22, 0
	s_and_b32 s18, s3, -4
	s_mov_b32 s15, -1
	s_mov_b32 s5, 0x76543210
	s_branch .LBB174_6
.LBB174_4:                              ;   in Loop: Header=BB174_6 Depth=1
	s_or_b32 exec_lo, exec_lo, s3
.LBB174_5:                              ;   in Loop: Header=BB174_6 Depth=1
	s_add_i32 s22, s22, 1
	s_delay_alu instid0(SALU_CYCLE_1)
	s_cmp_eq_u32 s4, s22
	s_cbranch_scc1 .LBB174_13
.LBB174_6:                              ; =>This Inner Loop Header: Depth=1
	s_waitcnt lgkmcnt(0)
	v_readlane_b32 s2, v9, s22
	s_delay_alu instid0(VALU_DEP_1)
	s_cmp_lt_i32 s2, 0
	s_cbranch_scc1 .LBB174_5
; %bb.7:                                ;   in Loop: Header=BB174_6 Depth=1
	s_mul_i32 s2, s2, s21
	s_delay_alu instid0(SALU_CYCLE_1) | instskip(NEXT) | instid1(SALU_CYCLE_1)
	s_ashr_i32 s3, s2, 31
	s_lshl_b64 s[2:3], s[2:3], 2
	s_delay_alu instid0(SALU_CYCLE_1) | instskip(SKIP_1) | instid1(SALU_CYCLE_1)
	s_add_u32 s12, s6, s2
	s_addc_u32 s2, s7, s3
	s_and_b32 s13, s2, 0xffff
	s_clause 0x3
	buffer_load_b128 v[24:27], v19, s[12:15], 0 offen
	buffer_load_b128 v[28:31], v19, s[12:15], 16 offen
	;; [unrolled: 1-line block ×4, first 2 shown]
	s_waitcnt vmcnt(3)
	v_dual_mul_f32 v38, v24, v5 :: v_dual_mul_f32 v39, v25, v10
	v_dual_mul_f32 v36, v26, v6 :: v_dual_mul_f32 v37, v27, v11
	s_waitcnt vmcnt(2)
	v_dual_mul_f32 v34, v28, v7 :: v_dual_mul_f32 v35, v29, v12
	s_delay_alu instid0(VALU_DEP_3) | instskip(SKIP_3) | instid1(VALU_DEP_3)
	v_max3_f32 v24, |v38|, 0x2edbe6ff, |v39|
	v_dual_mul_f32 v32, v30, v8 :: v_dual_mul_f32 v33, v31, v13
	s_waitcnt vmcnt(1)
	v_dual_mul_f32 v31, v40, v1 :: v_dual_mul_f32 v30, v41, v14
	v_max3_f32 v24, v24, |v36|, |v37|
	v_dual_mul_f32 v28, v42, v2 :: v_dual_mul_f32 v29, v43, v15
	s_waitcnt vmcnt(0)
	v_dual_mul_f32 v26, v44, v3 :: v_dual_mul_f32 v27, v45, v16
	s_delay_alu instid0(VALU_DEP_3) | instskip(SKIP_1) | instid1(VALU_DEP_2)
	v_max3_f32 v24, v24, |v34|, |v35|
	v_mul_f32_e32 v25, v47, v17
	v_max3_f32 v24, v24, |v32|, |v33|
	s_delay_alu instid0(VALU_DEP_1) | instskip(NEXT) | instid1(VALU_DEP_1)
	v_max3_f32 v24, v24, |v31|, |v30|
	v_max3_f32 v40, v24, |v28|, |v29|
	v_mul_f32_e32 v24, v46, v4
	s_delay_alu instid0(VALU_DEP_2) | instskip(NEXT) | instid1(VALU_DEP_1)
	v_max3_f32 v40, v40, |v26|, |v27|
	v_max3_f32 v40, v40, |v24|, |v25|
	s_delay_alu instid0(VALU_DEP_1) | instskip(NEXT) | instid1(VALU_DEP_1)
	v_mov_b32_dpp v41, v40 quad_perm:[1,0,3,2] row_mask:0xf bank_mask:0xf
	v_cmp_gt_f32_e64 s2, v40, v41
	s_delay_alu instid0(VALU_DEP_1) | instskip(NEXT) | instid1(VALU_DEP_1)
	v_cndmask_b32_e64 v40, v41, v40, s2
	v_mov_b32_dpp v41, v40 quad_perm:[2,3,0,1] row_mask:0xf bank_mask:0xf
	s_delay_alu instid0(VALU_DEP_1) | instskip(NEXT) | instid1(VALU_DEP_1)
	v_cmp_gt_f32_e64 s2, v40, v41
	v_cndmask_b32_e64 v40, v41, v40, s2
	s_delay_alu instid0(VALU_DEP_1) | instskip(NEXT) | instid1(VALU_DEP_1)
	v_mov_b32_dpp v41, v40 row_xmask:7 row_mask:0xf bank_mask:0xf
	v_cmp_gt_f32_e64 s2, v40, v41
	s_delay_alu instid0(VALU_DEP_1) | instskip(NEXT) | instid1(VALU_DEP_1)
	v_cndmask_b32_e64 v40, v41, v40, s2
	v_mov_b32_dpp v41, v40 row_xmask:15 row_mask:0xf bank_mask:0xf
	s_delay_alu instid0(VALU_DEP_1)
	v_cmp_gt_f32_e64 s2, v40, v41
	s_and_saveexec_b32 s3, vcc_lo
	s_cbranch_execz .LBB174_9
; %bb.8:                                ;   in Loop: Header=BB174_6 Depth=1
	s_delay_alu instid0(VALU_DEP_1) | instskip(NEXT) | instid1(VALU_DEP_1)
	v_cndmask_b32_e64 v40, v41, v40, s2
	v_permlanex16_b32 v41, v40, s5, 0xfedcba98 op_sel:[1,1]
	s_delay_alu instid0(VALU_DEP_1) | instskip(NEXT) | instid1(VALU_DEP_1)
	v_cmp_gt_f32_e64 s2, v40, v41
	v_cndmask_b32_e64 v40, v41, v40, s2
	ds_store_b32 v20, v40
.LBB174_9:                              ;   in Loop: Header=BB174_6 Depth=1
	s_or_b32 exec_lo, exec_lo, s3
	s_waitcnt lgkmcnt(0)
	s_waitcnt_vscnt null, 0x0
	s_barrier
	buffer_gl0_inv
	ds_load_b32 v40, v21
	s_waitcnt lgkmcnt(0)
	v_mov_b32_dpp v41, v40 quad_perm:[1,0,3,2] row_mask:0xf bank_mask:0xf
	s_delay_alu instid0(VALU_DEP_1) | instskip(NEXT) | instid1(VALU_DEP_1)
	v_cmp_gt_f32_e64 s2, v40, v41
	v_cndmask_b32_e64 v40, v41, v40, s2
	s_delay_alu instid0(VALU_DEP_1) | instskip(NEXT) | instid1(VALU_DEP_1)
	v_mov_b32_dpp v41, v40 quad_perm:[2,3,0,1] row_mask:0xf bank_mask:0xf
	v_cmp_gt_f32_e64 s2, v40, v41
	s_delay_alu instid0(VALU_DEP_1) | instskip(NEXT) | instid1(VALU_DEP_1)
	v_cndmask_b32_e64 v40, v41, v40, s2
	v_mov_b32_dpp v41, v40 row_xmask:7 row_mask:0xf bank_mask:0xf
	s_delay_alu instid0(VALU_DEP_1) | instskip(NEXT) | instid1(VALU_DEP_1)
	v_cmp_gt_f32_e64 s2, v40, v41
	v_cndmask_b32_e64 v40, v41, v40, s2
	s_delay_alu instid0(VALU_DEP_1) | instskip(NEXT) | instid1(VALU_DEP_1)
	v_mov_b32_dpp v41, v40 row_xmask:15 row_mask:0xf bank_mask:0xf
	v_cmp_gt_f32_e64 s2, v40, v41
	s_delay_alu instid0(VALU_DEP_1) | instskip(SKIP_1) | instid1(VALU_DEP_1)
	v_cndmask_b32_e64 v40, v41, v40, s2
	s_add_i32 s2, s20, s22
	v_mul_f32_e32 v40, 0x3b124925, v40
	s_and_saveexec_b32 s12, s0
	s_cbranch_execz .LBB174_11
; %bb.10:                               ;   in Loop: Header=BB174_6 Depth=1
	s_ashr_i32 s3, s2, 31
	s_delay_alu instid0(SALU_CYCLE_1) | instskip(NEXT) | instid1(SALU_CYCLE_1)
	s_lshl_b64 s[16:17], s[2:3], 2
	s_add_u32 s16, s10, s16
	s_addc_u32 s17, s11, s17
	global_store_b32 v0, v40, s[16:17]
.LBB174_11:                             ;   in Loop: Header=BB174_6 Depth=1
	s_or_b32 exec_lo, exec_lo, s12
	s_and_saveexec_b32 s3, s1
	s_cbranch_execz .LBB174_4
; %bb.12:                               ;   in Loop: Header=BB174_6 Depth=1
	v_rcp_f32_e32 v40, v40
	s_mul_i32 s12, s2, s21
	s_mul_hi_i32 s2, s2, s21
	s_add_u32 s16, s8, s12
	s_addc_u32 s2, s9, s2
	s_mov_b32 s19, s15
	s_and_b32 s17, s2, 0xffff
	s_waitcnt_depctr 0xfff
	v_mul_f32_e32 v38, v38, v40
	v_mul_f32_e32 v39, v39, v40
	;; [unrolled: 1-line block ×5, first 2 shown]
	;;#ASMSTART
	v_med3_f32 v38, v38, v22, v23
v_med3_f32 v39, v39, v22, v23
v_cvt_pk_fp8_f32 v31, v38, v39
	;;#ASMEND
	;;#ASMSTART
	v_med3_f32 v36, v36, v22, v23
v_med3_f32 v37, v37, v22, v23
v_cvt_pk_fp8_f32 v38, v36, v37
	;;#ASMEND
	v_perm_b32 v36, v38, v31, 0x5040100
	v_mul_f32_e32 v34, v34, v40
	v_mul_f32_e32 v35, v35, v40
	v_mul_f32_e32 v32, v32, v40
	v_mul_f32_e32 v33, v33, v40
	v_mul_f32_e32 v37, v30, v40
	;;#ASMSTART
	v_med3_f32 v34, v34, v22, v23
v_med3_f32 v35, v35, v22, v23
v_cvt_pk_fp8_f32 v30, v34, v35
	;;#ASMEND
	;;#ASMSTART
	v_med3_f32 v32, v32, v22, v23
v_med3_f32 v33, v33, v22, v23
v_cvt_pk_fp8_f32 v31, v32, v33
	;;#ASMEND
	v_mul_f32_e32 v28, v28, v40
	v_mul_f32_e32 v29, v29, v40
	;; [unrolled: 1-line block ×4, first 2 shown]
	;;#ASMSTART
	v_med3_f32 v41, v41, v22, v23
v_med3_f32 v37, v37, v22, v23
v_cvt_pk_fp8_f32 v32, v41, v37
	;;#ASMEND
	;;#ASMSTART
	v_med3_f32 v28, v28, v22, v23
v_med3_f32 v29, v29, v22, v23
v_cvt_pk_fp8_f32 v33, v28, v29
	;;#ASMEND
	v_mul_f32_e32 v24, v24, v40
	v_mul_f32_e32 v25, v25, v40
	;;#ASMSTART
	v_med3_f32 v26, v26, v22, v23
v_med3_f32 v27, v27, v22, v23
v_cvt_pk_fp8_f32 v28, v26, v27
	;;#ASMEND
	v_perm_b32 v31, v30, v31, 0x1000504
	v_perm_b32 v30, v36, v38, 0x1060504
	;; [unrolled: 1-line block ×3, first 2 shown]
	;;#ASMSTART
	v_med3_f32 v24, v24, v22, v23
v_med3_f32 v25, v25, v22, v23
v_cvt_pk_fp8_f32 v26, v24, v25
	;;#ASMEND
	v_perm_b32 v33, v28, v26, 0x1000504
	buffer_store_b128 v[30:33], v18, s[16:19], 0 offen
	;;#ASMSTART
	s_nop 0
	;;#ASMEND
	s_branch .LBB174_4
.LBB174_13:
	s_nop 0
	s_sendmsg sendmsg(MSG_DEALLOC_VGPRS)
	s_endpgm
	.section	.rodata,"a",@progbits
	.p2align	6, 0x0
	.amdhsa_kernel _ZN5aiter43moe_smooth_per_token_scaled_quant_kernel_v1IDF16_DB8_Li512ELi16ELb0ELb1ELi1024EEEvPT0_PfPT_S4_PiS7_iiiii
		.amdhsa_group_segment_fixed_size 4160
		.amdhsa_private_segment_fixed_size 0
		.amdhsa_kernarg_size 68
		.amdhsa_user_sgpr_count 15
		.amdhsa_user_sgpr_dispatch_ptr 0
		.amdhsa_user_sgpr_queue_ptr 0
		.amdhsa_user_sgpr_kernarg_segment_ptr 1
		.amdhsa_user_sgpr_dispatch_id 0
		.amdhsa_user_sgpr_private_segment_size 0
		.amdhsa_wavefront_size32 1
		.amdhsa_uses_dynamic_stack 0
		.amdhsa_enable_private_segment 0
		.amdhsa_system_sgpr_workgroup_id_x 1
		.amdhsa_system_sgpr_workgroup_id_y 0
		.amdhsa_system_sgpr_workgroup_id_z 0
		.amdhsa_system_sgpr_workgroup_info 0
		.amdhsa_system_vgpr_workitem_id 0
		.amdhsa_next_free_vgpr 48
		.amdhsa_next_free_sgpr 23
		.amdhsa_reserve_vcc 1
		.amdhsa_float_round_mode_32 0
		.amdhsa_float_round_mode_16_64 0
		.amdhsa_float_denorm_mode_32 3
		.amdhsa_float_denorm_mode_16_64 3
		.amdhsa_dx10_clamp 1
		.amdhsa_ieee_mode 1
		.amdhsa_fp16_overflow 0
		.amdhsa_workgroup_processor_mode 1
		.amdhsa_memory_ordered 1
		.amdhsa_forward_progress 0
		.amdhsa_shared_vgpr_count 0
		.amdhsa_exception_fp_ieee_invalid_op 0
		.amdhsa_exception_fp_denorm_src 0
		.amdhsa_exception_fp_ieee_div_zero 0
		.amdhsa_exception_fp_ieee_overflow 0
		.amdhsa_exception_fp_ieee_underflow 0
		.amdhsa_exception_fp_ieee_inexact 0
		.amdhsa_exception_int_div_zero 0
	.end_amdhsa_kernel
	.section	.text._ZN5aiter43moe_smooth_per_token_scaled_quant_kernel_v1IDF16_DB8_Li512ELi16ELb0ELb1ELi1024EEEvPT0_PfPT_S4_PiS7_iiiii,"axG",@progbits,_ZN5aiter43moe_smooth_per_token_scaled_quant_kernel_v1IDF16_DB8_Li512ELi16ELb0ELb1ELi1024EEEvPT0_PfPT_S4_PiS7_iiiii,comdat
.Lfunc_end174:
	.size	_ZN5aiter43moe_smooth_per_token_scaled_quant_kernel_v1IDF16_DB8_Li512ELi16ELb0ELb1ELi1024EEEvPT0_PfPT_S4_PiS7_iiiii, .Lfunc_end174-_ZN5aiter43moe_smooth_per_token_scaled_quant_kernel_v1IDF16_DB8_Li512ELi16ELb0ELb1ELi1024EEEvPT0_PfPT_S4_PiS7_iiiii
                                        ; -- End function
	.section	.AMDGPU.csdata,"",@progbits
; Kernel info:
; codeLenInByte = 1904
; NumSgprs: 25
; NumVgprs: 48
; ScratchSize: 0
; MemoryBound: 0
; FloatMode: 240
; IeeeMode: 1
; LDSByteSize: 4160 bytes/workgroup (compile time only)
; SGPRBlocks: 3
; VGPRBlocks: 5
; NumSGPRsForWavesPerEU: 25
; NumVGPRsForWavesPerEU: 48
; Occupancy: 16
; WaveLimiterHint : 0
; COMPUTE_PGM_RSRC2:SCRATCH_EN: 0
; COMPUTE_PGM_RSRC2:USER_SGPR: 15
; COMPUTE_PGM_RSRC2:TRAP_HANDLER: 0
; COMPUTE_PGM_RSRC2:TGID_X_EN: 1
; COMPUTE_PGM_RSRC2:TGID_Y_EN: 0
; COMPUTE_PGM_RSRC2:TGID_Z_EN: 0
; COMPUTE_PGM_RSRC2:TIDIG_COMP_CNT: 0
	.section	.text._ZN5aiter43moe_smooth_per_token_scaled_quant_kernel_v1ItDB8_Li512ELi16ELb0ELb1ELi1024EEEvPT0_PfPT_S4_PiS7_iiiii,"axG",@progbits,_ZN5aiter43moe_smooth_per_token_scaled_quant_kernel_v1ItDB8_Li512ELi16ELb0ELb1ELi1024EEEvPT0_PfPT_S4_PiS7_iiiii,comdat
	.protected	_ZN5aiter43moe_smooth_per_token_scaled_quant_kernel_v1ItDB8_Li512ELi16ELb0ELb1ELi1024EEEvPT0_PfPT_S4_PiS7_iiiii ; -- Begin function _ZN5aiter43moe_smooth_per_token_scaled_quant_kernel_v1ItDB8_Li512ELi16ELb0ELb1ELi1024EEEvPT0_PfPT_S4_PiS7_iiiii
	.globl	_ZN5aiter43moe_smooth_per_token_scaled_quant_kernel_v1ItDB8_Li512ELi16ELb0ELb1ELi1024EEEvPT0_PfPT_S4_PiS7_iiiii
	.p2align	8
	.type	_ZN5aiter43moe_smooth_per_token_scaled_quant_kernel_v1ItDB8_Li512ELi16ELb0ELb1ELi1024EEEvPT0_PfPT_S4_PiS7_iiiii,@function
_ZN5aiter43moe_smooth_per_token_scaled_quant_kernel_v1ItDB8_Li512ELi16ELb0ELb1ELi1024EEEvPT0_PfPT_S4_PiS7_iiiii: ; @_ZN5aiter43moe_smooth_per_token_scaled_quant_kernel_v1ItDB8_Li512ELi16ELb0ELb1ELi1024EEEvPT0_PfPT_S4_PiS7_iiiii
; %bb.0:
	s_clause 0x2
	s_load_b128 s[4:7], s[0:1], 0x34
	s_load_b128 s[8:11], s[0:1], 0x20
	s_load_b64 s[2:3], s[0:1], 0x10
	v_and_b32_e32 v20, 31, v0
	v_lshlrev_b32_e32 v10, 2, v0
	s_mov_b32 s19, -1
	s_delay_alu instid0(VALU_DEP_2)
	v_lshlrev_b32_e32 v1, 2, v20
	s_waitcnt lgkmcnt(0)
	s_mul_i32 s20, s15, s4
	s_lshl_b32 s18, s7, 2
	s_ashr_i32 s21, s20, 31
	s_and_b32 s17, s11, 0xffff
	s_mov_b32 s16, s10
	s_lshl_b64 s[12:13], s[20:21], 2
	s_clause 0x1
	buffer_load_b32 v11, v10, s[16:19], 0 offen
	buffer_load_b32 v12, v10, s[16:19], 0 offen offset:2048
	s_add_u32 s16, s8, s12
	s_addc_u32 s8, s9, s13
	s_lshl_b32 s18, s4, 2
	s_and_b32 s17, s8, 0xffff
	s_mul_hi_i32 s11, s6, s15
	s_mul_i32 s10, s6, s15
	buffer_load_b32 v9, v1, s[16:19], 0 offen
	s_lshl_b64 s[8:9], s[10:11], 1
	v_lshlrev_b32_e32 v1, 5, v0
	s_add_u32 s16, s2, s8
	s_addc_u32 s2, s3, s9
	s_lshl_b32 s18, s5, 1
	s_and_b32 s17, s2, 0xffff
	s_clause 0x1
	buffer_load_b128 v[5:8], v1, s[16:19], 0 offen
	buffer_load_b128 v[1:4], v1, s[16:19], 16 offen
	v_cmp_gt_i32_e32 vcc_lo, s4, v20
	s_waitcnt vmcnt(3)
	ds_store_2addr_stride64_b32 v10, v11, v12 offset1:8
	s_waitcnt vmcnt(0) expcnt(2) lgkmcnt(0)
	s_barrier
	buffer_gl0_inv
	v_cmp_gt_i32_e64 s2, s7, v9
	v_cmp_lt_i32_e64 s3, -1, v9
	s_delay_alu instid0(VALU_DEP_2)
	s_and_b32 s2, vcc_lo, s2
	s_delay_alu instid0(VALU_DEP_1) | instid1(SALU_CYCLE_1)
	s_and_b32 s3, s2, s3
	s_delay_alu instid0(SALU_CYCLE_1)
	s_and_saveexec_b32 s2, s3
	s_cbranch_execz .LBB175_2
; %bb.1:
	v_lshlrev_b32_e32 v9, 2, v9
	ds_load_b32 v9, v9
.LBB175_2:
	s_or_b32 exec_lo, exec_lo, s2
	s_cmp_lt_i32 s4, 1
	s_cbranch_scc1 .LBB175_13
; %bb.3:
	v_and_b32_e32 v10, 0xffff, v5
	s_clause 0x1
	s_load_b128 s[8:11], s[0:1], 0x0
	s_load_b64 s[6:7], s[0:1], 0x18
	v_lshrrev_b32_e32 v11, 16, v5
	v_and_b32_e32 v12, 0xffff, v6
	v_and_b32_e32 v13, 0xffff, v7
	v_lshrrev_b32_e32 v14, 16, v7
	v_cvt_f32_u32_e32 v5, v10
	v_lshrrev_b32_e32 v10, 16, v6
	v_cvt_f32_u32_e32 v6, v11
	v_cvt_f32_u32_e32 v7, v12
	;; [unrolled: 1-line block ×4, first 2 shown]
	v_and_b32_e32 v13, 0xffff, v8
	v_and_b32_e32 v14, 0xffff, v1
	v_lshrrev_b32_e32 v15, 16, v1
	v_and_b32_e32 v16, 0xffff, v2
	s_add_i32 s1, s5, 15
	v_lshrrev_b32_e32 v8, 16, v8
	s_ashr_i32 s2, s1, 31
	v_cvt_f32_u32_e32 v1, v13
	s_lshr_b32 s2, s2, 28
	v_cvt_f32_u32_e32 v13, v14
	v_cvt_f32_u32_e32 v14, v15
	;; [unrolled: 1-line block ×3, first 2 shown]
	v_lshrrev_b32_e32 v2, 16, v2
	v_and_b32_e32 v16, 0xffff, v3
	v_lshrrev_b32_e32 v17, 16, v3
	v_and_b32_e32 v18, 0xffff, v4
	v_lshrrev_b32_e32 v19, 16, v4
	v_lshrrev_b32_e32 v21, 3, v0
	v_and_b32_e32 v22, 15, v0
	s_add_i32 s3, s5, 3
	s_add_i32 s1, s1, s2
	s_ashr_i32 s2, s3, 31
	s_movk_i32 s0, 0x7c
	s_ashr_i32 s1, s1, 4
	s_lshr_b32 s2, s2, 30
	v_cvt_f32_u32_e32 v10, v10
	v_cvt_f32_u32_e32 v8, v8
	;; [unrolled: 1-line block ×7, first 2 shown]
	v_dual_mov_b32 v23, 0x43e00000 :: v_dual_lshlrev_b32 v18, 4, v0
	v_lshlrev_b32_e32 v19, 6, v0
	v_cmp_eq_u32_e32 vcc_lo, 31, v20
	v_and_or_b32 v20, v21, s0, 0x1000
	v_lshl_or_b32 v21, v22, 2, 0x1000
	v_mov_b32_e32 v22, 0xc3e00000
	v_cmp_eq_u32_e64 s0, 0, v0
	v_cmp_gt_u32_e64 s1, s1, v0
	v_mov_b32_e32 v0, 0
	s_add_i32 s3, s3, s2
	s_mov_b32 s21, s5
	s_lshl_b32 s14, s5, 2
	s_mov_b32 s22, 0
	s_and_b32 s18, s3, -4
	s_mov_b32 s15, -1
	s_mov_b32 s5, 0x76543210
	s_branch .LBB175_6
.LBB175_4:                              ;   in Loop: Header=BB175_6 Depth=1
	s_or_b32 exec_lo, exec_lo, s3
.LBB175_5:                              ;   in Loop: Header=BB175_6 Depth=1
	s_add_i32 s22, s22, 1
	s_delay_alu instid0(SALU_CYCLE_1)
	s_cmp_eq_u32 s4, s22
	s_cbranch_scc1 .LBB175_13
.LBB175_6:                              ; =>This Inner Loop Header: Depth=1
	s_waitcnt lgkmcnt(0)
	v_readlane_b32 s2, v9, s22
	s_delay_alu instid0(VALU_DEP_1)
	s_cmp_lt_i32 s2, 0
	s_cbranch_scc1 .LBB175_5
; %bb.7:                                ;   in Loop: Header=BB175_6 Depth=1
	s_mul_i32 s2, s2, s21
	s_delay_alu instid0(SALU_CYCLE_1) | instskip(NEXT) | instid1(SALU_CYCLE_1)
	s_ashr_i32 s3, s2, 31
	s_lshl_b64 s[2:3], s[2:3], 2
	s_delay_alu instid0(SALU_CYCLE_1) | instskip(SKIP_1) | instid1(SALU_CYCLE_1)
	s_add_u32 s12, s6, s2
	s_addc_u32 s2, s7, s3
	s_and_b32 s13, s2, 0xffff
	s_clause 0x3
	buffer_load_b128 v[24:27], v19, s[12:15], 0 offen
	buffer_load_b128 v[28:31], v19, s[12:15], 16 offen
	;; [unrolled: 1-line block ×4, first 2 shown]
	s_waitcnt vmcnt(3)
	v_dual_mul_f32 v38, v24, v5 :: v_dual_mul_f32 v39, v25, v6
	v_dual_mul_f32 v36, v26, v7 :: v_dual_mul_f32 v37, v27, v10
	s_waitcnt vmcnt(2)
	v_dual_mul_f32 v34, v28, v11 :: v_dual_mul_f32 v35, v29, v12
	s_delay_alu instid0(VALU_DEP_3) | instskip(SKIP_3) | instid1(VALU_DEP_3)
	v_max3_f32 v24, |v38|, 0x2edbe6ff, |v39|
	v_dual_mul_f32 v32, v30, v1 :: v_dual_mul_f32 v33, v31, v8
	s_waitcnt vmcnt(1)
	v_dual_mul_f32 v31, v40, v13 :: v_dual_mul_f32 v30, v41, v14
	v_max3_f32 v24, v24, |v36|, |v37|
	v_dual_mul_f32 v28, v42, v15 :: v_dual_mul_f32 v29, v43, v2
	s_waitcnt vmcnt(0)
	v_dual_mul_f32 v26, v44, v3 :: v_dual_mul_f32 v27, v45, v4
	s_delay_alu instid0(VALU_DEP_3) | instskip(SKIP_1) | instid1(VALU_DEP_2)
	v_max3_f32 v24, v24, |v34|, |v35|
	v_mul_f32_e32 v25, v47, v17
	v_max3_f32 v24, v24, |v32|, |v33|
	s_delay_alu instid0(VALU_DEP_1) | instskip(NEXT) | instid1(VALU_DEP_1)
	v_max3_f32 v24, v24, |v31|, |v30|
	v_max3_f32 v40, v24, |v28|, |v29|
	v_mul_f32_e32 v24, v46, v16
	s_delay_alu instid0(VALU_DEP_2) | instskip(NEXT) | instid1(VALU_DEP_1)
	v_max3_f32 v40, v40, |v26|, |v27|
	v_max3_f32 v40, v40, |v24|, |v25|
	s_delay_alu instid0(VALU_DEP_1) | instskip(NEXT) | instid1(VALU_DEP_1)
	v_mov_b32_dpp v41, v40 quad_perm:[1,0,3,2] row_mask:0xf bank_mask:0xf
	v_cmp_gt_f32_e64 s2, v40, v41
	s_delay_alu instid0(VALU_DEP_1) | instskip(NEXT) | instid1(VALU_DEP_1)
	v_cndmask_b32_e64 v40, v41, v40, s2
	v_mov_b32_dpp v41, v40 quad_perm:[2,3,0,1] row_mask:0xf bank_mask:0xf
	s_delay_alu instid0(VALU_DEP_1) | instskip(NEXT) | instid1(VALU_DEP_1)
	v_cmp_gt_f32_e64 s2, v40, v41
	v_cndmask_b32_e64 v40, v41, v40, s2
	s_delay_alu instid0(VALU_DEP_1) | instskip(NEXT) | instid1(VALU_DEP_1)
	v_mov_b32_dpp v41, v40 row_xmask:7 row_mask:0xf bank_mask:0xf
	v_cmp_gt_f32_e64 s2, v40, v41
	s_delay_alu instid0(VALU_DEP_1) | instskip(NEXT) | instid1(VALU_DEP_1)
	v_cndmask_b32_e64 v40, v41, v40, s2
	v_mov_b32_dpp v41, v40 row_xmask:15 row_mask:0xf bank_mask:0xf
	s_delay_alu instid0(VALU_DEP_1)
	v_cmp_gt_f32_e64 s2, v40, v41
	s_and_saveexec_b32 s3, vcc_lo
	s_cbranch_execz .LBB175_9
; %bb.8:                                ;   in Loop: Header=BB175_6 Depth=1
	s_delay_alu instid0(VALU_DEP_1) | instskip(NEXT) | instid1(VALU_DEP_1)
	v_cndmask_b32_e64 v40, v41, v40, s2
	v_permlanex16_b32 v41, v40, s5, 0xfedcba98 op_sel:[1,1]
	s_delay_alu instid0(VALU_DEP_1) | instskip(NEXT) | instid1(VALU_DEP_1)
	v_cmp_gt_f32_e64 s2, v40, v41
	v_cndmask_b32_e64 v40, v41, v40, s2
	ds_store_b32 v20, v40
.LBB175_9:                              ;   in Loop: Header=BB175_6 Depth=1
	s_or_b32 exec_lo, exec_lo, s3
	s_waitcnt lgkmcnt(0)
	s_waitcnt_vscnt null, 0x0
	s_barrier
	buffer_gl0_inv
	ds_load_b32 v40, v21
	s_waitcnt lgkmcnt(0)
	v_mov_b32_dpp v41, v40 quad_perm:[1,0,3,2] row_mask:0xf bank_mask:0xf
	s_delay_alu instid0(VALU_DEP_1) | instskip(NEXT) | instid1(VALU_DEP_1)
	v_cmp_gt_f32_e64 s2, v40, v41
	v_cndmask_b32_e64 v40, v41, v40, s2
	s_delay_alu instid0(VALU_DEP_1) | instskip(NEXT) | instid1(VALU_DEP_1)
	v_mov_b32_dpp v41, v40 quad_perm:[2,3,0,1] row_mask:0xf bank_mask:0xf
	v_cmp_gt_f32_e64 s2, v40, v41
	s_delay_alu instid0(VALU_DEP_1) | instskip(NEXT) | instid1(VALU_DEP_1)
	v_cndmask_b32_e64 v40, v41, v40, s2
	v_mov_b32_dpp v41, v40 row_xmask:7 row_mask:0xf bank_mask:0xf
	s_delay_alu instid0(VALU_DEP_1) | instskip(NEXT) | instid1(VALU_DEP_1)
	v_cmp_gt_f32_e64 s2, v40, v41
	v_cndmask_b32_e64 v40, v41, v40, s2
	s_delay_alu instid0(VALU_DEP_1) | instskip(NEXT) | instid1(VALU_DEP_1)
	v_mov_b32_dpp v41, v40 row_xmask:15 row_mask:0xf bank_mask:0xf
	v_cmp_gt_f32_e64 s2, v40, v41
	s_delay_alu instid0(VALU_DEP_1) | instskip(SKIP_1) | instid1(VALU_DEP_1)
	v_cndmask_b32_e64 v40, v41, v40, s2
	s_add_i32 s2, s20, s22
	v_mul_f32_e32 v40, 0x3b124925, v40
	s_and_saveexec_b32 s12, s0
	s_cbranch_execz .LBB175_11
; %bb.10:                               ;   in Loop: Header=BB175_6 Depth=1
	s_ashr_i32 s3, s2, 31
	s_delay_alu instid0(SALU_CYCLE_1) | instskip(NEXT) | instid1(SALU_CYCLE_1)
	s_lshl_b64 s[16:17], s[2:3], 2
	s_add_u32 s16, s10, s16
	s_addc_u32 s17, s11, s17
	global_store_b32 v0, v40, s[16:17]
.LBB175_11:                             ;   in Loop: Header=BB175_6 Depth=1
	s_or_b32 exec_lo, exec_lo, s12
	s_and_saveexec_b32 s3, s1
	s_cbranch_execz .LBB175_4
; %bb.12:                               ;   in Loop: Header=BB175_6 Depth=1
	v_rcp_f32_e32 v40, v40
	s_mul_i32 s12, s2, s21
	s_mul_hi_i32 s2, s2, s21
	s_add_u32 s16, s8, s12
	s_addc_u32 s2, s9, s2
	s_mov_b32 s19, s15
	s_and_b32 s17, s2, 0xffff
	s_waitcnt_depctr 0xfff
	v_mul_f32_e32 v38, v38, v40
	v_mul_f32_e32 v39, v39, v40
	;; [unrolled: 1-line block ×5, first 2 shown]
	;;#ASMSTART
	v_med3_f32 v38, v38, v22, v23
v_med3_f32 v39, v39, v22, v23
v_cvt_pk_fp8_f32 v31, v38, v39
	;;#ASMEND
	;;#ASMSTART
	v_med3_f32 v36, v36, v22, v23
v_med3_f32 v37, v37, v22, v23
v_cvt_pk_fp8_f32 v38, v36, v37
	;;#ASMEND
	v_perm_b32 v36, v38, v31, 0x5040100
	v_mul_f32_e32 v34, v34, v40
	v_mul_f32_e32 v35, v35, v40
	;; [unrolled: 1-line block ×5, first 2 shown]
	;;#ASMSTART
	v_med3_f32 v34, v34, v22, v23
v_med3_f32 v35, v35, v22, v23
v_cvt_pk_fp8_f32 v30, v34, v35
	;;#ASMEND
	;;#ASMSTART
	v_med3_f32 v32, v32, v22, v23
v_med3_f32 v33, v33, v22, v23
v_cvt_pk_fp8_f32 v31, v32, v33
	;;#ASMEND
	v_mul_f32_e32 v28, v28, v40
	v_mul_f32_e32 v29, v29, v40
	;; [unrolled: 1-line block ×4, first 2 shown]
	;;#ASMSTART
	v_med3_f32 v41, v41, v22, v23
v_med3_f32 v37, v37, v22, v23
v_cvt_pk_fp8_f32 v32, v41, v37
	;;#ASMEND
	;;#ASMSTART
	v_med3_f32 v28, v28, v22, v23
v_med3_f32 v29, v29, v22, v23
v_cvt_pk_fp8_f32 v33, v28, v29
	;;#ASMEND
	v_mul_f32_e32 v24, v24, v40
	v_mul_f32_e32 v25, v25, v40
	;;#ASMSTART
	v_med3_f32 v26, v26, v22, v23
v_med3_f32 v27, v27, v22, v23
v_cvt_pk_fp8_f32 v28, v26, v27
	;;#ASMEND
	v_perm_b32 v31, v30, v31, 0x1000504
	v_perm_b32 v30, v36, v38, 0x1060504
	v_perm_b32 v32, v32, v33, 0x1000504
	;;#ASMSTART
	v_med3_f32 v24, v24, v22, v23
v_med3_f32 v25, v25, v22, v23
v_cvt_pk_fp8_f32 v26, v24, v25
	;;#ASMEND
	v_perm_b32 v33, v28, v26, 0x1000504
	buffer_store_b128 v[30:33], v18, s[16:19], 0 offen
	;;#ASMSTART
	s_nop 0
	;;#ASMEND
	s_branch .LBB175_4
.LBB175_13:
	s_nop 0
	s_sendmsg sendmsg(MSG_DEALLOC_VGPRS)
	s_endpgm
	.section	.rodata,"a",@progbits
	.p2align	6, 0x0
	.amdhsa_kernel _ZN5aiter43moe_smooth_per_token_scaled_quant_kernel_v1ItDB8_Li512ELi16ELb0ELb1ELi1024EEEvPT0_PfPT_S4_PiS7_iiiii
		.amdhsa_group_segment_fixed_size 4160
		.amdhsa_private_segment_fixed_size 0
		.amdhsa_kernarg_size 68
		.amdhsa_user_sgpr_count 15
		.amdhsa_user_sgpr_dispatch_ptr 0
		.amdhsa_user_sgpr_queue_ptr 0
		.amdhsa_user_sgpr_kernarg_segment_ptr 1
		.amdhsa_user_sgpr_dispatch_id 0
		.amdhsa_user_sgpr_private_segment_size 0
		.amdhsa_wavefront_size32 1
		.amdhsa_uses_dynamic_stack 0
		.amdhsa_enable_private_segment 0
		.amdhsa_system_sgpr_workgroup_id_x 1
		.amdhsa_system_sgpr_workgroup_id_y 0
		.amdhsa_system_sgpr_workgroup_id_z 0
		.amdhsa_system_sgpr_workgroup_info 0
		.amdhsa_system_vgpr_workitem_id 0
		.amdhsa_next_free_vgpr 48
		.amdhsa_next_free_sgpr 23
		.amdhsa_reserve_vcc 1
		.amdhsa_float_round_mode_32 0
		.amdhsa_float_round_mode_16_64 0
		.amdhsa_float_denorm_mode_32 3
		.amdhsa_float_denorm_mode_16_64 3
		.amdhsa_dx10_clamp 1
		.amdhsa_ieee_mode 1
		.amdhsa_fp16_overflow 0
		.amdhsa_workgroup_processor_mode 1
		.amdhsa_memory_ordered 1
		.amdhsa_forward_progress 0
		.amdhsa_shared_vgpr_count 0
		.amdhsa_exception_fp_ieee_invalid_op 0
		.amdhsa_exception_fp_denorm_src 0
		.amdhsa_exception_fp_ieee_div_zero 0
		.amdhsa_exception_fp_ieee_overflow 0
		.amdhsa_exception_fp_ieee_underflow 0
		.amdhsa_exception_fp_ieee_inexact 0
		.amdhsa_exception_int_div_zero 0
	.end_amdhsa_kernel
	.section	.text._ZN5aiter43moe_smooth_per_token_scaled_quant_kernel_v1ItDB8_Li512ELi16ELb0ELb1ELi1024EEEvPT0_PfPT_S4_PiS7_iiiii,"axG",@progbits,_ZN5aiter43moe_smooth_per_token_scaled_quant_kernel_v1ItDB8_Li512ELi16ELb0ELb1ELi1024EEEvPT0_PfPT_S4_PiS7_iiiii,comdat
.Lfunc_end175:
	.size	_ZN5aiter43moe_smooth_per_token_scaled_quant_kernel_v1ItDB8_Li512ELi16ELb0ELb1ELi1024EEEvPT0_PfPT_S4_PiS7_iiiii, .Lfunc_end175-_ZN5aiter43moe_smooth_per_token_scaled_quant_kernel_v1ItDB8_Li512ELi16ELb0ELb1ELi1024EEEvPT0_PfPT_S4_PiS7_iiiii
                                        ; -- End function
	.section	.AMDGPU.csdata,"",@progbits
; Kernel info:
; codeLenInByte = 1968
; NumSgprs: 25
; NumVgprs: 48
; ScratchSize: 0
; MemoryBound: 0
; FloatMode: 240
; IeeeMode: 1
; LDSByteSize: 4160 bytes/workgroup (compile time only)
; SGPRBlocks: 3
; VGPRBlocks: 5
; NumSGPRsForWavesPerEU: 25
; NumVGPRsForWavesPerEU: 48
; Occupancy: 16
; WaveLimiterHint : 0
; COMPUTE_PGM_RSRC2:SCRATCH_EN: 0
; COMPUTE_PGM_RSRC2:USER_SGPR: 15
; COMPUTE_PGM_RSRC2:TRAP_HANDLER: 0
; COMPUTE_PGM_RSRC2:TGID_X_EN: 1
; COMPUTE_PGM_RSRC2:TGID_Y_EN: 0
; COMPUTE_PGM_RSRC2:TGID_Z_EN: 0
; COMPUTE_PGM_RSRC2:TIDIG_COMP_CNT: 0
	.section	.text._ZN5aiter43moe_smooth_per_token_scaled_quant_kernel_v1IDF16_DB8_Li512ELi16ELb0ELb0ELi1024EEEvPT0_PfPT_S4_PiS7_iiiii,"axG",@progbits,_ZN5aiter43moe_smooth_per_token_scaled_quant_kernel_v1IDF16_DB8_Li512ELi16ELb0ELb0ELi1024EEEvPT0_PfPT_S4_PiS7_iiiii,comdat
	.protected	_ZN5aiter43moe_smooth_per_token_scaled_quant_kernel_v1IDF16_DB8_Li512ELi16ELb0ELb0ELi1024EEEvPT0_PfPT_S4_PiS7_iiiii ; -- Begin function _ZN5aiter43moe_smooth_per_token_scaled_quant_kernel_v1IDF16_DB8_Li512ELi16ELb0ELb0ELi1024EEEvPT0_PfPT_S4_PiS7_iiiii
	.globl	_ZN5aiter43moe_smooth_per_token_scaled_quant_kernel_v1IDF16_DB8_Li512ELi16ELb0ELb0ELi1024EEEvPT0_PfPT_S4_PiS7_iiiii
	.p2align	8
	.type	_ZN5aiter43moe_smooth_per_token_scaled_quant_kernel_v1IDF16_DB8_Li512ELi16ELb0ELb0ELi1024EEEvPT0_PfPT_S4_PiS7_iiiii,@function
_ZN5aiter43moe_smooth_per_token_scaled_quant_kernel_v1IDF16_DB8_Li512ELi16ELb0ELb0ELi1024EEEvPT0_PfPT_S4_PiS7_iiiii: ; @_ZN5aiter43moe_smooth_per_token_scaled_quant_kernel_v1IDF16_DB8_Li512ELi16ELb0ELb0ELi1024EEEvPT0_PfPT_S4_PiS7_iiiii
; %bb.0:
	s_clause 0x2
	s_load_b128 s[4:7], s[0:1], 0x34
	s_load_b64 s[2:3], s[0:1], 0x20
	s_load_b64 s[12:13], s[0:1], 0x10
	v_and_b32_e32 v20, 31, v0
	s_mov_b32 s11, -1
	v_lshlrev_b32_e32 v1, 5, v0
	s_delay_alu instid0(VALU_DEP_2)
	v_lshlrev_b32_e32 v2, 2, v20
	s_waitcnt lgkmcnt(0)
	s_mul_i32 s20, s15, s4
	s_mul_hi_i32 s7, s6, s15
	s_ashr_i32 s21, s20, 31
	s_mul_i32 s6, s6, s15
	s_lshl_b64 s[8:9], s[20:21], 2
	s_mov_b32 s21, 0
	s_add_u32 s8, s2, s8
	s_addc_u32 s2, s3, s9
	s_lshl_b32 s10, s4, 2
	s_and_b32 s9, s2, 0xffff
	s_lshl_b64 s[2:3], s[6:7], 1
	buffer_load_b32 v9, v2, s[8:11], 0 offen
	s_add_u32 s8, s12, s2
	s_addc_u32 s2, s13, s3
	s_lshl_b32 s10, s5, 1
	s_and_b32 s9, s2, 0xffff
	s_clause 0x1
	buffer_load_b128 v[5:8], v1, s[8:11], 0 offen
	buffer_load_b128 v[1:4], v1, s[8:11], 16 offen
	s_cmp_lt_i32 s4, 1
	s_waitcnt vmcnt(0) expcnt(2) lgkmcnt(55)
	s_barrier
	buffer_gl0_inv
	s_cbranch_scc1 .LBB176_11
; %bb.1:
	s_clause 0x1
	s_load_b128 s[12:15], s[0:1], 0x0
	s_load_b64 s[6:7], s[0:1], 0x18
	s_add_i32 s1, s5, 15
	v_lshrrev_b32_e32 v10, 16, v5
	s_ashr_i32 s2, s1, 31
	v_lshrrev_b32_e32 v11, 16, v6
	s_lshr_b32 s2, s2, 28
	v_lshrrev_b32_e32 v12, 16, v7
	v_lshrrev_b32_e32 v13, 16, v8
	;; [unrolled: 1-line block ×7, first 2 shown]
	v_and_b32_e32 v22, 15, v0
	s_add_i32 s3, s5, 3
	s_add_i32 s1, s1, s2
	s_ashr_i32 s2, s3, 31
	s_ashr_i32 s1, s1, 4
	s_lshr_b32 s2, s2, 30
	v_cvt_f32_f16_e32 v5, v5
	v_cvt_f32_f16_e32 v10, v10
	;; [unrolled: 1-line block ×16, first 2 shown]
	v_dual_mov_b32 v23, 0x43e00000 :: v_dual_lshlrev_b32 v18, 4, v0
	v_lshlrev_b32_e32 v19, 6, v0
	v_cmp_eq_u32_e32 vcc_lo, 31, v20
	v_and_b32_e32 v20, 0x7c, v21
	v_dual_mov_b32 v22, 0xc3e00000 :: v_dual_lshlrev_b32 v21, 2, v22
	v_cmp_eq_u32_e64 s0, 0, v0
	v_cmp_gt_u32_e64 s1, s1, v0
	v_mov_b32_e32 v0, 0
	s_add_i32 s3, s3, s2
	s_mov_b32 s22, s5
	s_lshl_b32 s10, s5, 2
	s_and_b32 s18, s3, -4
	s_mov_b32 s5, 0x76543210
	s_branch .LBB176_4
.LBB176_2:                              ;   in Loop: Header=BB176_4 Depth=1
	s_or_b32 exec_lo, exec_lo, s3
.LBB176_3:                              ;   in Loop: Header=BB176_4 Depth=1
	s_add_i32 s21, s21, 1
	s_delay_alu instid0(SALU_CYCLE_1)
	s_cmp_eq_u32 s4, s21
	s_cbranch_scc1 .LBB176_11
.LBB176_4:                              ; =>This Inner Loop Header: Depth=1
	v_readlane_b32 s2, v9, s21
	s_delay_alu instid0(VALU_DEP_1)
	s_cmp_lt_i32 s2, 0
	s_cbranch_scc1 .LBB176_3
; %bb.5:                                ;   in Loop: Header=BB176_4 Depth=1
	s_mul_i32 s2, s2, s22
	s_delay_alu instid0(SALU_CYCLE_1) | instskip(NEXT) | instid1(SALU_CYCLE_1)
	s_ashr_i32 s3, s2, 31
	s_lshl_b64 s[2:3], s[2:3], 2
	s_waitcnt lgkmcnt(0)
	s_add_u32 s8, s6, s2
	s_addc_u32 s2, s7, s3
	s_delay_alu instid0(SALU_CYCLE_1)
	s_and_b32 s9, s2, 0xffff
	s_clause 0x3
	buffer_load_b128 v[24:27], v19, s[8:11], 0 offen
	buffer_load_b128 v[28:31], v19, s[8:11], 16 offen
	;; [unrolled: 1-line block ×4, first 2 shown]
	s_waitcnt vmcnt(3)
	v_dual_mul_f32 v38, v24, v5 :: v_dual_mul_f32 v39, v25, v10
	v_dual_mul_f32 v36, v26, v6 :: v_dual_mul_f32 v37, v27, v11
	s_waitcnt vmcnt(2)
	v_dual_mul_f32 v34, v28, v7 :: v_dual_mul_f32 v35, v29, v12
	s_delay_alu instid0(VALU_DEP_3) | instskip(SKIP_3) | instid1(VALU_DEP_3)
	v_max3_f32 v24, |v38|, 0x2edbe6ff, |v39|
	v_dual_mul_f32 v32, v30, v8 :: v_dual_mul_f32 v33, v31, v13
	s_waitcnt vmcnt(1)
	v_dual_mul_f32 v31, v40, v1 :: v_dual_mul_f32 v30, v41, v14
	v_max3_f32 v24, v24, |v36|, |v37|
	v_dual_mul_f32 v28, v42, v2 :: v_dual_mul_f32 v29, v43, v15
	s_waitcnt vmcnt(0)
	v_dual_mul_f32 v26, v44, v3 :: v_dual_mul_f32 v27, v45, v16
	s_delay_alu instid0(VALU_DEP_3) | instskip(SKIP_1) | instid1(VALU_DEP_2)
	v_max3_f32 v24, v24, |v34|, |v35|
	v_mul_f32_e32 v25, v47, v17
	v_max3_f32 v24, v24, |v32|, |v33|
	s_delay_alu instid0(VALU_DEP_1) | instskip(NEXT) | instid1(VALU_DEP_1)
	v_max3_f32 v24, v24, |v31|, |v30|
	v_max3_f32 v40, v24, |v28|, |v29|
	v_mul_f32_e32 v24, v46, v4
	s_delay_alu instid0(VALU_DEP_2) | instskip(NEXT) | instid1(VALU_DEP_1)
	v_max3_f32 v40, v40, |v26|, |v27|
	v_max3_f32 v40, v40, |v24|, |v25|
	s_delay_alu instid0(VALU_DEP_1) | instskip(NEXT) | instid1(VALU_DEP_1)
	v_mov_b32_dpp v41, v40 quad_perm:[1,0,3,2] row_mask:0xf bank_mask:0xf
	v_cmp_gt_f32_e64 s2, v40, v41
	s_delay_alu instid0(VALU_DEP_1) | instskip(NEXT) | instid1(VALU_DEP_1)
	v_cndmask_b32_e64 v40, v41, v40, s2
	v_mov_b32_dpp v41, v40 quad_perm:[2,3,0,1] row_mask:0xf bank_mask:0xf
	s_delay_alu instid0(VALU_DEP_1) | instskip(NEXT) | instid1(VALU_DEP_1)
	v_cmp_gt_f32_e64 s2, v40, v41
	v_cndmask_b32_e64 v40, v41, v40, s2
	s_delay_alu instid0(VALU_DEP_1) | instskip(NEXT) | instid1(VALU_DEP_1)
	v_mov_b32_dpp v41, v40 row_xmask:7 row_mask:0xf bank_mask:0xf
	v_cmp_gt_f32_e64 s2, v40, v41
	s_delay_alu instid0(VALU_DEP_1) | instskip(NEXT) | instid1(VALU_DEP_1)
	v_cndmask_b32_e64 v40, v41, v40, s2
	v_mov_b32_dpp v41, v40 row_xmask:15 row_mask:0xf bank_mask:0xf
	s_delay_alu instid0(VALU_DEP_1)
	v_cmp_gt_f32_e64 s2, v40, v41
	s_and_saveexec_b32 s3, vcc_lo
	s_cbranch_execz .LBB176_7
; %bb.6:                                ;   in Loop: Header=BB176_4 Depth=1
	s_delay_alu instid0(VALU_DEP_1) | instskip(NEXT) | instid1(VALU_DEP_1)
	v_cndmask_b32_e64 v40, v41, v40, s2
	v_permlanex16_b32 v41, v40, s5, 0xfedcba98 op_sel:[1,1]
	s_delay_alu instid0(VALU_DEP_1) | instskip(NEXT) | instid1(VALU_DEP_1)
	v_cmp_gt_f32_e64 s2, v40, v41
	v_cndmask_b32_e64 v40, v41, v40, s2
	ds_store_b32 v20, v40
.LBB176_7:                              ;   in Loop: Header=BB176_4 Depth=1
	s_or_b32 exec_lo, exec_lo, s3
	s_waitcnt lgkmcnt(0)
	s_waitcnt_vscnt null, 0x0
	s_barrier
	buffer_gl0_inv
	ds_load_b32 v40, v21
	s_waitcnt lgkmcnt(0)
	v_mov_b32_dpp v41, v40 quad_perm:[1,0,3,2] row_mask:0xf bank_mask:0xf
	s_delay_alu instid0(VALU_DEP_1) | instskip(NEXT) | instid1(VALU_DEP_1)
	v_cmp_gt_f32_e64 s2, v40, v41
	v_cndmask_b32_e64 v40, v41, v40, s2
	s_delay_alu instid0(VALU_DEP_1) | instskip(NEXT) | instid1(VALU_DEP_1)
	v_mov_b32_dpp v41, v40 quad_perm:[2,3,0,1] row_mask:0xf bank_mask:0xf
	v_cmp_gt_f32_e64 s2, v40, v41
	s_delay_alu instid0(VALU_DEP_1) | instskip(NEXT) | instid1(VALU_DEP_1)
	v_cndmask_b32_e64 v40, v41, v40, s2
	v_mov_b32_dpp v41, v40 row_xmask:7 row_mask:0xf bank_mask:0xf
	s_delay_alu instid0(VALU_DEP_1) | instskip(NEXT) | instid1(VALU_DEP_1)
	v_cmp_gt_f32_e64 s2, v40, v41
	v_cndmask_b32_e64 v40, v41, v40, s2
	s_delay_alu instid0(VALU_DEP_1) | instskip(NEXT) | instid1(VALU_DEP_1)
	v_mov_b32_dpp v41, v40 row_xmask:15 row_mask:0xf bank_mask:0xf
	v_cmp_gt_f32_e64 s2, v40, v41
	s_delay_alu instid0(VALU_DEP_1) | instskip(SKIP_1) | instid1(VALU_DEP_1)
	v_cndmask_b32_e64 v40, v41, v40, s2
	s_add_i32 s2, s20, s21
	v_mul_f32_e32 v40, 0x3b124925, v40
	s_and_saveexec_b32 s8, s0
	s_cbranch_execz .LBB176_9
; %bb.8:                                ;   in Loop: Header=BB176_4 Depth=1
	s_ashr_i32 s3, s2, 31
	s_delay_alu instid0(SALU_CYCLE_1) | instskip(NEXT) | instid1(SALU_CYCLE_1)
	s_lshl_b64 s[16:17], s[2:3], 2
	s_add_u32 s16, s14, s16
	s_addc_u32 s17, s15, s17
	global_store_b32 v0, v40, s[16:17]
.LBB176_9:                              ;   in Loop: Header=BB176_4 Depth=1
	s_or_b32 exec_lo, exec_lo, s8
	s_and_saveexec_b32 s3, s1
	s_cbranch_execz .LBB176_2
; %bb.10:                               ;   in Loop: Header=BB176_4 Depth=1
	v_rcp_f32_e32 v40, v40
	s_mul_i32 s8, s2, s22
	s_mul_hi_i32 s2, s2, s22
	s_add_u32 s16, s12, s8
	s_addc_u32 s2, s13, s2
	s_mov_b32 s19, s11
	s_and_b32 s17, s2, 0xffff
	s_waitcnt_depctr 0xfff
	v_mul_f32_e32 v38, v38, v40
	v_mul_f32_e32 v39, v39, v40
	;; [unrolled: 1-line block ×5, first 2 shown]
	;;#ASMSTART
	v_med3_f32 v38, v38, v22, v23
v_med3_f32 v39, v39, v22, v23
v_cvt_pk_fp8_f32 v31, v38, v39
	;;#ASMEND
	;;#ASMSTART
	v_med3_f32 v36, v36, v22, v23
v_med3_f32 v37, v37, v22, v23
v_cvt_pk_fp8_f32 v38, v36, v37
	;;#ASMEND
	v_perm_b32 v36, v38, v31, 0x5040100
	v_mul_f32_e32 v34, v34, v40
	v_mul_f32_e32 v35, v35, v40
	;; [unrolled: 1-line block ×5, first 2 shown]
	;;#ASMSTART
	v_med3_f32 v34, v34, v22, v23
v_med3_f32 v35, v35, v22, v23
v_cvt_pk_fp8_f32 v30, v34, v35
	;;#ASMEND
	;;#ASMSTART
	v_med3_f32 v32, v32, v22, v23
v_med3_f32 v33, v33, v22, v23
v_cvt_pk_fp8_f32 v31, v32, v33
	;;#ASMEND
	v_mul_f32_e32 v28, v28, v40
	v_mul_f32_e32 v29, v29, v40
	v_mul_f32_e32 v26, v26, v40
	v_mul_f32_e32 v27, v27, v40
	;;#ASMSTART
	v_med3_f32 v41, v41, v22, v23
v_med3_f32 v37, v37, v22, v23
v_cvt_pk_fp8_f32 v32, v41, v37
	;;#ASMEND
	;;#ASMSTART
	v_med3_f32 v28, v28, v22, v23
v_med3_f32 v29, v29, v22, v23
v_cvt_pk_fp8_f32 v33, v28, v29
	;;#ASMEND
	v_mul_f32_e32 v24, v24, v40
	v_mul_f32_e32 v25, v25, v40
	;;#ASMSTART
	v_med3_f32 v26, v26, v22, v23
v_med3_f32 v27, v27, v22, v23
v_cvt_pk_fp8_f32 v28, v26, v27
	;;#ASMEND
	v_perm_b32 v31, v30, v31, 0x1000504
	v_perm_b32 v30, v36, v38, 0x1060504
	;; [unrolled: 1-line block ×3, first 2 shown]
	;;#ASMSTART
	v_med3_f32 v24, v24, v22, v23
v_med3_f32 v25, v25, v22, v23
v_cvt_pk_fp8_f32 v26, v24, v25
	;;#ASMEND
	v_perm_b32 v33, v28, v26, 0x1000504
	buffer_store_b128 v[30:33], v18, s[16:19], 0 offen
	;;#ASMSTART
	s_nop 0
	;;#ASMEND
	s_branch .LBB176_2
.LBB176_11:
	s_nop 0
	s_sendmsg sendmsg(MSG_DEALLOC_VGPRS)
	s_endpgm
	.section	.rodata,"a",@progbits
	.p2align	6, 0x0
	.amdhsa_kernel _ZN5aiter43moe_smooth_per_token_scaled_quant_kernel_v1IDF16_DB8_Li512ELi16ELb0ELb0ELi1024EEEvPT0_PfPT_S4_PiS7_iiiii
		.amdhsa_group_segment_fixed_size 64
		.amdhsa_private_segment_fixed_size 0
		.amdhsa_kernarg_size 68
		.amdhsa_user_sgpr_count 15
		.amdhsa_user_sgpr_dispatch_ptr 0
		.amdhsa_user_sgpr_queue_ptr 0
		.amdhsa_user_sgpr_kernarg_segment_ptr 1
		.amdhsa_user_sgpr_dispatch_id 0
		.amdhsa_user_sgpr_private_segment_size 0
		.amdhsa_wavefront_size32 1
		.amdhsa_uses_dynamic_stack 0
		.amdhsa_enable_private_segment 0
		.amdhsa_system_sgpr_workgroup_id_x 1
		.amdhsa_system_sgpr_workgroup_id_y 0
		.amdhsa_system_sgpr_workgroup_id_z 0
		.amdhsa_system_sgpr_workgroup_info 0
		.amdhsa_system_vgpr_workitem_id 0
		.amdhsa_next_free_vgpr 48
		.amdhsa_next_free_sgpr 23
		.amdhsa_reserve_vcc 1
		.amdhsa_float_round_mode_32 0
		.amdhsa_float_round_mode_16_64 0
		.amdhsa_float_denorm_mode_32 3
		.amdhsa_float_denorm_mode_16_64 3
		.amdhsa_dx10_clamp 1
		.amdhsa_ieee_mode 1
		.amdhsa_fp16_overflow 0
		.amdhsa_workgroup_processor_mode 1
		.amdhsa_memory_ordered 1
		.amdhsa_forward_progress 0
		.amdhsa_shared_vgpr_count 0
		.amdhsa_exception_fp_ieee_invalid_op 0
		.amdhsa_exception_fp_denorm_src 0
		.amdhsa_exception_fp_ieee_div_zero 0
		.amdhsa_exception_fp_ieee_overflow 0
		.amdhsa_exception_fp_ieee_underflow 0
		.amdhsa_exception_fp_ieee_inexact 0
		.amdhsa_exception_int_div_zero 0
	.end_amdhsa_kernel
	.section	.text._ZN5aiter43moe_smooth_per_token_scaled_quant_kernel_v1IDF16_DB8_Li512ELi16ELb0ELb0ELi1024EEEvPT0_PfPT_S4_PiS7_iiiii,"axG",@progbits,_ZN5aiter43moe_smooth_per_token_scaled_quant_kernel_v1IDF16_DB8_Li512ELi16ELb0ELb0ELi1024EEEvPT0_PfPT_S4_PiS7_iiiii,comdat
.Lfunc_end176:
	.size	_ZN5aiter43moe_smooth_per_token_scaled_quant_kernel_v1IDF16_DB8_Li512ELi16ELb0ELb0ELi1024EEEvPT0_PfPT_S4_PiS7_iiiii, .Lfunc_end176-_ZN5aiter43moe_smooth_per_token_scaled_quant_kernel_v1IDF16_DB8_Li512ELi16ELb0ELb0ELi1024EEEvPT0_PfPT_S4_PiS7_iiiii
                                        ; -- End function
	.section	.AMDGPU.csdata,"",@progbits
; Kernel info:
; codeLenInByte = 1768
; NumSgprs: 25
; NumVgprs: 48
; ScratchSize: 0
; MemoryBound: 0
; FloatMode: 240
; IeeeMode: 1
; LDSByteSize: 64 bytes/workgroup (compile time only)
; SGPRBlocks: 3
; VGPRBlocks: 5
; NumSGPRsForWavesPerEU: 25
; NumVGPRsForWavesPerEU: 48
; Occupancy: 16
; WaveLimiterHint : 0
; COMPUTE_PGM_RSRC2:SCRATCH_EN: 0
; COMPUTE_PGM_RSRC2:USER_SGPR: 15
; COMPUTE_PGM_RSRC2:TRAP_HANDLER: 0
; COMPUTE_PGM_RSRC2:TGID_X_EN: 1
; COMPUTE_PGM_RSRC2:TGID_Y_EN: 0
; COMPUTE_PGM_RSRC2:TGID_Z_EN: 0
; COMPUTE_PGM_RSRC2:TIDIG_COMP_CNT: 0
	.section	.text._ZN5aiter43moe_smooth_per_token_scaled_quant_kernel_v1ItDB8_Li512ELi16ELb0ELb0ELi1024EEEvPT0_PfPT_S4_PiS7_iiiii,"axG",@progbits,_ZN5aiter43moe_smooth_per_token_scaled_quant_kernel_v1ItDB8_Li512ELi16ELb0ELb0ELi1024EEEvPT0_PfPT_S4_PiS7_iiiii,comdat
	.protected	_ZN5aiter43moe_smooth_per_token_scaled_quant_kernel_v1ItDB8_Li512ELi16ELb0ELb0ELi1024EEEvPT0_PfPT_S4_PiS7_iiiii ; -- Begin function _ZN5aiter43moe_smooth_per_token_scaled_quant_kernel_v1ItDB8_Li512ELi16ELb0ELb0ELi1024EEEvPT0_PfPT_S4_PiS7_iiiii
	.globl	_ZN5aiter43moe_smooth_per_token_scaled_quant_kernel_v1ItDB8_Li512ELi16ELb0ELb0ELi1024EEEvPT0_PfPT_S4_PiS7_iiiii
	.p2align	8
	.type	_ZN5aiter43moe_smooth_per_token_scaled_quant_kernel_v1ItDB8_Li512ELi16ELb0ELb0ELi1024EEEvPT0_PfPT_S4_PiS7_iiiii,@function
_ZN5aiter43moe_smooth_per_token_scaled_quant_kernel_v1ItDB8_Li512ELi16ELb0ELb0ELi1024EEEvPT0_PfPT_S4_PiS7_iiiii: ; @_ZN5aiter43moe_smooth_per_token_scaled_quant_kernel_v1ItDB8_Li512ELi16ELb0ELb0ELi1024EEEvPT0_PfPT_S4_PiS7_iiiii
; %bb.0:
	s_clause 0x2
	s_load_b128 s[4:7], s[0:1], 0x34
	s_load_b64 s[2:3], s[0:1], 0x20
	s_load_b64 s[12:13], s[0:1], 0x10
	v_and_b32_e32 v20, 31, v0
	s_mov_b32 s11, -1
	v_lshlrev_b32_e32 v1, 5, v0
	s_delay_alu instid0(VALU_DEP_2)
	v_lshlrev_b32_e32 v2, 2, v20
	s_waitcnt lgkmcnt(0)
	s_mul_i32 s20, s15, s4
	s_mul_hi_i32 s7, s6, s15
	s_ashr_i32 s21, s20, 31
	s_mul_i32 s6, s6, s15
	s_lshl_b64 s[8:9], s[20:21], 2
	s_mov_b32 s21, 0
	s_add_u32 s8, s2, s8
	s_addc_u32 s2, s3, s9
	s_lshl_b32 s10, s4, 2
	s_and_b32 s9, s2, 0xffff
	s_lshl_b64 s[2:3], s[6:7], 1
	buffer_load_b32 v9, v2, s[8:11], 0 offen
	s_add_u32 s8, s12, s2
	s_addc_u32 s2, s13, s3
	s_lshl_b32 s10, s5, 1
	s_and_b32 s9, s2, 0xffff
	s_clause 0x1
	buffer_load_b128 v[5:8], v1, s[8:11], 0 offen
	buffer_load_b128 v[1:4], v1, s[8:11], 16 offen
	s_cmp_lt_i32 s4, 1
	s_waitcnt vmcnt(0) expcnt(2) lgkmcnt(55)
	s_barrier
	buffer_gl0_inv
	s_cbranch_scc1 .LBB177_11
; %bb.1:
	v_and_b32_e32 v10, 0xffff, v5
	s_clause 0x1
	s_load_b128 s[12:15], s[0:1], 0x0
	s_load_b64 s[6:7], s[0:1], 0x18
	v_lshrrev_b32_e32 v11, 16, v5
	v_and_b32_e32 v12, 0xffff, v6
	v_and_b32_e32 v13, 0xffff, v7
	v_lshrrev_b32_e32 v14, 16, v7
	v_cvt_f32_u32_e32 v5, v10
	v_lshrrev_b32_e32 v10, 16, v6
	v_cvt_f32_u32_e32 v6, v11
	v_cvt_f32_u32_e32 v7, v12
	;; [unrolled: 1-line block ×4, first 2 shown]
	v_and_b32_e32 v13, 0xffff, v8
	v_and_b32_e32 v14, 0xffff, v1
	v_lshrrev_b32_e32 v15, 16, v1
	v_and_b32_e32 v16, 0xffff, v2
	s_add_i32 s1, s5, 15
	v_lshrrev_b32_e32 v8, 16, v8
	s_ashr_i32 s2, s1, 31
	v_cvt_f32_u32_e32 v1, v13
	s_lshr_b32 s2, s2, 28
	v_cvt_f32_u32_e32 v13, v14
	v_cvt_f32_u32_e32 v14, v15
	;; [unrolled: 1-line block ×3, first 2 shown]
	v_lshrrev_b32_e32 v2, 16, v2
	v_and_b32_e32 v16, 0xffff, v3
	v_lshrrev_b32_e32 v17, 16, v3
	v_and_b32_e32 v18, 0xffff, v4
	v_lshrrev_b32_e32 v19, 16, v4
	v_lshrrev_b32_e32 v21, 3, v0
	v_and_b32_e32 v22, 15, v0
	s_add_i32 s3, s5, 3
	s_add_i32 s1, s1, s2
	s_ashr_i32 s2, s3, 31
	s_ashr_i32 s1, s1, 4
	s_lshr_b32 s2, s2, 30
	v_cvt_f32_u32_e32 v10, v10
	v_cvt_f32_u32_e32 v8, v8
	;; [unrolled: 1-line block ×7, first 2 shown]
	v_dual_mov_b32 v23, 0x43e00000 :: v_dual_lshlrev_b32 v18, 4, v0
	v_lshlrev_b32_e32 v19, 6, v0
	v_cmp_eq_u32_e32 vcc_lo, 31, v20
	v_and_b32_e32 v20, 0x7c, v21
	v_dual_mov_b32 v22, 0xc3e00000 :: v_dual_lshlrev_b32 v21, 2, v22
	v_cmp_eq_u32_e64 s0, 0, v0
	v_cmp_gt_u32_e64 s1, s1, v0
	v_mov_b32_e32 v0, 0
	s_add_i32 s3, s3, s2
	s_mov_b32 s22, s5
	s_lshl_b32 s10, s5, 2
	s_and_b32 s18, s3, -4
	s_mov_b32 s5, 0x76543210
	s_branch .LBB177_4
.LBB177_2:                              ;   in Loop: Header=BB177_4 Depth=1
	s_or_b32 exec_lo, exec_lo, s3
.LBB177_3:                              ;   in Loop: Header=BB177_4 Depth=1
	s_add_i32 s21, s21, 1
	s_delay_alu instid0(SALU_CYCLE_1)
	s_cmp_eq_u32 s4, s21
	s_cbranch_scc1 .LBB177_11
.LBB177_4:                              ; =>This Inner Loop Header: Depth=1
	v_readlane_b32 s2, v9, s21
	s_delay_alu instid0(VALU_DEP_1)
	s_cmp_lt_i32 s2, 0
	s_cbranch_scc1 .LBB177_3
; %bb.5:                                ;   in Loop: Header=BB177_4 Depth=1
	s_mul_i32 s2, s2, s22
	s_delay_alu instid0(SALU_CYCLE_1) | instskip(NEXT) | instid1(SALU_CYCLE_1)
	s_ashr_i32 s3, s2, 31
	s_lshl_b64 s[2:3], s[2:3], 2
	s_waitcnt lgkmcnt(0)
	s_add_u32 s8, s6, s2
	s_addc_u32 s2, s7, s3
	s_delay_alu instid0(SALU_CYCLE_1)
	s_and_b32 s9, s2, 0xffff
	s_clause 0x3
	buffer_load_b128 v[24:27], v19, s[8:11], 0 offen
	buffer_load_b128 v[28:31], v19, s[8:11], 16 offen
	;; [unrolled: 1-line block ×4, first 2 shown]
	s_waitcnt vmcnt(3)
	v_dual_mul_f32 v38, v24, v5 :: v_dual_mul_f32 v39, v25, v6
	v_dual_mul_f32 v36, v26, v7 :: v_dual_mul_f32 v37, v27, v10
	s_waitcnt vmcnt(2)
	v_dual_mul_f32 v34, v28, v11 :: v_dual_mul_f32 v35, v29, v12
	s_delay_alu instid0(VALU_DEP_3) | instskip(SKIP_3) | instid1(VALU_DEP_3)
	v_max3_f32 v24, |v38|, 0x2edbe6ff, |v39|
	v_dual_mul_f32 v32, v30, v1 :: v_dual_mul_f32 v33, v31, v8
	s_waitcnt vmcnt(1)
	v_dual_mul_f32 v31, v40, v13 :: v_dual_mul_f32 v30, v41, v14
	v_max3_f32 v24, v24, |v36|, |v37|
	v_dual_mul_f32 v28, v42, v15 :: v_dual_mul_f32 v29, v43, v2
	s_waitcnt vmcnt(0)
	v_dual_mul_f32 v26, v44, v3 :: v_dual_mul_f32 v27, v45, v4
	s_delay_alu instid0(VALU_DEP_3) | instskip(SKIP_1) | instid1(VALU_DEP_2)
	v_max3_f32 v24, v24, |v34|, |v35|
	v_mul_f32_e32 v25, v47, v17
	v_max3_f32 v24, v24, |v32|, |v33|
	s_delay_alu instid0(VALU_DEP_1) | instskip(NEXT) | instid1(VALU_DEP_1)
	v_max3_f32 v24, v24, |v31|, |v30|
	v_max3_f32 v40, v24, |v28|, |v29|
	v_mul_f32_e32 v24, v46, v16
	s_delay_alu instid0(VALU_DEP_2) | instskip(NEXT) | instid1(VALU_DEP_1)
	v_max3_f32 v40, v40, |v26|, |v27|
	v_max3_f32 v40, v40, |v24|, |v25|
	s_delay_alu instid0(VALU_DEP_1) | instskip(NEXT) | instid1(VALU_DEP_1)
	v_mov_b32_dpp v41, v40 quad_perm:[1,0,3,2] row_mask:0xf bank_mask:0xf
	v_cmp_gt_f32_e64 s2, v40, v41
	s_delay_alu instid0(VALU_DEP_1) | instskip(NEXT) | instid1(VALU_DEP_1)
	v_cndmask_b32_e64 v40, v41, v40, s2
	v_mov_b32_dpp v41, v40 quad_perm:[2,3,0,1] row_mask:0xf bank_mask:0xf
	s_delay_alu instid0(VALU_DEP_1) | instskip(NEXT) | instid1(VALU_DEP_1)
	v_cmp_gt_f32_e64 s2, v40, v41
	v_cndmask_b32_e64 v40, v41, v40, s2
	s_delay_alu instid0(VALU_DEP_1) | instskip(NEXT) | instid1(VALU_DEP_1)
	v_mov_b32_dpp v41, v40 row_xmask:7 row_mask:0xf bank_mask:0xf
	v_cmp_gt_f32_e64 s2, v40, v41
	s_delay_alu instid0(VALU_DEP_1) | instskip(NEXT) | instid1(VALU_DEP_1)
	v_cndmask_b32_e64 v40, v41, v40, s2
	v_mov_b32_dpp v41, v40 row_xmask:15 row_mask:0xf bank_mask:0xf
	s_delay_alu instid0(VALU_DEP_1)
	v_cmp_gt_f32_e64 s2, v40, v41
	s_and_saveexec_b32 s3, vcc_lo
	s_cbranch_execz .LBB177_7
; %bb.6:                                ;   in Loop: Header=BB177_4 Depth=1
	s_delay_alu instid0(VALU_DEP_1) | instskip(NEXT) | instid1(VALU_DEP_1)
	v_cndmask_b32_e64 v40, v41, v40, s2
	v_permlanex16_b32 v41, v40, s5, 0xfedcba98 op_sel:[1,1]
	s_delay_alu instid0(VALU_DEP_1) | instskip(NEXT) | instid1(VALU_DEP_1)
	v_cmp_gt_f32_e64 s2, v40, v41
	v_cndmask_b32_e64 v40, v41, v40, s2
	ds_store_b32 v20, v40
.LBB177_7:                              ;   in Loop: Header=BB177_4 Depth=1
	s_or_b32 exec_lo, exec_lo, s3
	s_waitcnt lgkmcnt(0)
	s_waitcnt_vscnt null, 0x0
	s_barrier
	buffer_gl0_inv
	ds_load_b32 v40, v21
	s_waitcnt lgkmcnt(0)
	v_mov_b32_dpp v41, v40 quad_perm:[1,0,3,2] row_mask:0xf bank_mask:0xf
	s_delay_alu instid0(VALU_DEP_1) | instskip(NEXT) | instid1(VALU_DEP_1)
	v_cmp_gt_f32_e64 s2, v40, v41
	v_cndmask_b32_e64 v40, v41, v40, s2
	s_delay_alu instid0(VALU_DEP_1) | instskip(NEXT) | instid1(VALU_DEP_1)
	v_mov_b32_dpp v41, v40 quad_perm:[2,3,0,1] row_mask:0xf bank_mask:0xf
	v_cmp_gt_f32_e64 s2, v40, v41
	s_delay_alu instid0(VALU_DEP_1) | instskip(NEXT) | instid1(VALU_DEP_1)
	v_cndmask_b32_e64 v40, v41, v40, s2
	v_mov_b32_dpp v41, v40 row_xmask:7 row_mask:0xf bank_mask:0xf
	s_delay_alu instid0(VALU_DEP_1) | instskip(NEXT) | instid1(VALU_DEP_1)
	v_cmp_gt_f32_e64 s2, v40, v41
	v_cndmask_b32_e64 v40, v41, v40, s2
	s_delay_alu instid0(VALU_DEP_1) | instskip(NEXT) | instid1(VALU_DEP_1)
	v_mov_b32_dpp v41, v40 row_xmask:15 row_mask:0xf bank_mask:0xf
	v_cmp_gt_f32_e64 s2, v40, v41
	s_delay_alu instid0(VALU_DEP_1) | instskip(SKIP_1) | instid1(VALU_DEP_1)
	v_cndmask_b32_e64 v40, v41, v40, s2
	s_add_i32 s2, s20, s21
	v_mul_f32_e32 v40, 0x3b124925, v40
	s_and_saveexec_b32 s8, s0
	s_cbranch_execz .LBB177_9
; %bb.8:                                ;   in Loop: Header=BB177_4 Depth=1
	s_ashr_i32 s3, s2, 31
	s_delay_alu instid0(SALU_CYCLE_1) | instskip(NEXT) | instid1(SALU_CYCLE_1)
	s_lshl_b64 s[16:17], s[2:3], 2
	s_add_u32 s16, s14, s16
	s_addc_u32 s17, s15, s17
	global_store_b32 v0, v40, s[16:17]
.LBB177_9:                              ;   in Loop: Header=BB177_4 Depth=1
	s_or_b32 exec_lo, exec_lo, s8
	s_and_saveexec_b32 s3, s1
	s_cbranch_execz .LBB177_2
; %bb.10:                               ;   in Loop: Header=BB177_4 Depth=1
	v_rcp_f32_e32 v40, v40
	s_mul_i32 s8, s2, s22
	s_mul_hi_i32 s2, s2, s22
	s_add_u32 s16, s12, s8
	s_addc_u32 s2, s13, s2
	s_mov_b32 s19, s11
	s_and_b32 s17, s2, 0xffff
	s_waitcnt_depctr 0xfff
	v_mul_f32_e32 v38, v38, v40
	v_mul_f32_e32 v39, v39, v40
	;; [unrolled: 1-line block ×5, first 2 shown]
	;;#ASMSTART
	v_med3_f32 v38, v38, v22, v23
v_med3_f32 v39, v39, v22, v23
v_cvt_pk_fp8_f32 v31, v38, v39
	;;#ASMEND
	;;#ASMSTART
	v_med3_f32 v36, v36, v22, v23
v_med3_f32 v37, v37, v22, v23
v_cvt_pk_fp8_f32 v38, v36, v37
	;;#ASMEND
	v_perm_b32 v36, v38, v31, 0x5040100
	v_mul_f32_e32 v34, v34, v40
	v_mul_f32_e32 v35, v35, v40
	;; [unrolled: 1-line block ×5, first 2 shown]
	;;#ASMSTART
	v_med3_f32 v34, v34, v22, v23
v_med3_f32 v35, v35, v22, v23
v_cvt_pk_fp8_f32 v30, v34, v35
	;;#ASMEND
	;;#ASMSTART
	v_med3_f32 v32, v32, v22, v23
v_med3_f32 v33, v33, v22, v23
v_cvt_pk_fp8_f32 v31, v32, v33
	;;#ASMEND
	v_mul_f32_e32 v28, v28, v40
	v_mul_f32_e32 v29, v29, v40
	;; [unrolled: 1-line block ×4, first 2 shown]
	;;#ASMSTART
	v_med3_f32 v41, v41, v22, v23
v_med3_f32 v37, v37, v22, v23
v_cvt_pk_fp8_f32 v32, v41, v37
	;;#ASMEND
	;;#ASMSTART
	v_med3_f32 v28, v28, v22, v23
v_med3_f32 v29, v29, v22, v23
v_cvt_pk_fp8_f32 v33, v28, v29
	;;#ASMEND
	v_mul_f32_e32 v24, v24, v40
	v_mul_f32_e32 v25, v25, v40
	;;#ASMSTART
	v_med3_f32 v26, v26, v22, v23
v_med3_f32 v27, v27, v22, v23
v_cvt_pk_fp8_f32 v28, v26, v27
	;;#ASMEND
	v_perm_b32 v31, v30, v31, 0x1000504
	v_perm_b32 v30, v36, v38, 0x1060504
	;; [unrolled: 1-line block ×3, first 2 shown]
	;;#ASMSTART
	v_med3_f32 v24, v24, v22, v23
v_med3_f32 v25, v25, v22, v23
v_cvt_pk_fp8_f32 v26, v24, v25
	;;#ASMEND
	v_perm_b32 v33, v28, v26, 0x1000504
	buffer_store_b128 v[30:33], v18, s[16:19], 0 offen
	;;#ASMSTART
	s_nop 0
	;;#ASMEND
	s_branch .LBB177_2
.LBB177_11:
	s_nop 0
	s_sendmsg sendmsg(MSG_DEALLOC_VGPRS)
	s_endpgm
	.section	.rodata,"a",@progbits
	.p2align	6, 0x0
	.amdhsa_kernel _ZN5aiter43moe_smooth_per_token_scaled_quant_kernel_v1ItDB8_Li512ELi16ELb0ELb0ELi1024EEEvPT0_PfPT_S4_PiS7_iiiii
		.amdhsa_group_segment_fixed_size 64
		.amdhsa_private_segment_fixed_size 0
		.amdhsa_kernarg_size 68
		.amdhsa_user_sgpr_count 15
		.amdhsa_user_sgpr_dispatch_ptr 0
		.amdhsa_user_sgpr_queue_ptr 0
		.amdhsa_user_sgpr_kernarg_segment_ptr 1
		.amdhsa_user_sgpr_dispatch_id 0
		.amdhsa_user_sgpr_private_segment_size 0
		.amdhsa_wavefront_size32 1
		.amdhsa_uses_dynamic_stack 0
		.amdhsa_enable_private_segment 0
		.amdhsa_system_sgpr_workgroup_id_x 1
		.amdhsa_system_sgpr_workgroup_id_y 0
		.amdhsa_system_sgpr_workgroup_id_z 0
		.amdhsa_system_sgpr_workgroup_info 0
		.amdhsa_system_vgpr_workitem_id 0
		.amdhsa_next_free_vgpr 48
		.amdhsa_next_free_sgpr 23
		.amdhsa_reserve_vcc 1
		.amdhsa_float_round_mode_32 0
		.amdhsa_float_round_mode_16_64 0
		.amdhsa_float_denorm_mode_32 3
		.amdhsa_float_denorm_mode_16_64 3
		.amdhsa_dx10_clamp 1
		.amdhsa_ieee_mode 1
		.amdhsa_fp16_overflow 0
		.amdhsa_workgroup_processor_mode 1
		.amdhsa_memory_ordered 1
		.amdhsa_forward_progress 0
		.amdhsa_shared_vgpr_count 0
		.amdhsa_exception_fp_ieee_invalid_op 0
		.amdhsa_exception_fp_denorm_src 0
		.amdhsa_exception_fp_ieee_div_zero 0
		.amdhsa_exception_fp_ieee_overflow 0
		.amdhsa_exception_fp_ieee_underflow 0
		.amdhsa_exception_fp_ieee_inexact 0
		.amdhsa_exception_int_div_zero 0
	.end_amdhsa_kernel
	.section	.text._ZN5aiter43moe_smooth_per_token_scaled_quant_kernel_v1ItDB8_Li512ELi16ELb0ELb0ELi1024EEEvPT0_PfPT_S4_PiS7_iiiii,"axG",@progbits,_ZN5aiter43moe_smooth_per_token_scaled_quant_kernel_v1ItDB8_Li512ELi16ELb0ELb0ELi1024EEEvPT0_PfPT_S4_PiS7_iiiii,comdat
.Lfunc_end177:
	.size	_ZN5aiter43moe_smooth_per_token_scaled_quant_kernel_v1ItDB8_Li512ELi16ELb0ELb0ELi1024EEEvPT0_PfPT_S4_PiS7_iiiii, .Lfunc_end177-_ZN5aiter43moe_smooth_per_token_scaled_quant_kernel_v1ItDB8_Li512ELi16ELb0ELb0ELi1024EEEvPT0_PfPT_S4_PiS7_iiiii
                                        ; -- End function
	.section	.AMDGPU.csdata,"",@progbits
; Kernel info:
; codeLenInByte = 1832
; NumSgprs: 25
; NumVgprs: 48
; ScratchSize: 0
; MemoryBound: 0
; FloatMode: 240
; IeeeMode: 1
; LDSByteSize: 64 bytes/workgroup (compile time only)
; SGPRBlocks: 3
; VGPRBlocks: 5
; NumSGPRsForWavesPerEU: 25
; NumVGPRsForWavesPerEU: 48
; Occupancy: 16
; WaveLimiterHint : 0
; COMPUTE_PGM_RSRC2:SCRATCH_EN: 0
; COMPUTE_PGM_RSRC2:USER_SGPR: 15
; COMPUTE_PGM_RSRC2:TRAP_HANDLER: 0
; COMPUTE_PGM_RSRC2:TGID_X_EN: 1
; COMPUTE_PGM_RSRC2:TGID_Y_EN: 0
; COMPUTE_PGM_RSRC2:TGID_Z_EN: 0
; COMPUTE_PGM_RSRC2:TIDIG_COMP_CNT: 0
	.section	.text._ZN5aiter43moe_smooth_per_token_scaled_quant_kernel_v1IDF16_aLi128ELi8ELb1ELb1ELi1024EEEvPT0_PfPT_S3_PiS6_iiiii,"axG",@progbits,_ZN5aiter43moe_smooth_per_token_scaled_quant_kernel_v1IDF16_aLi128ELi8ELb1ELb1ELi1024EEEvPT0_PfPT_S3_PiS6_iiiii,comdat
	.protected	_ZN5aiter43moe_smooth_per_token_scaled_quant_kernel_v1IDF16_aLi128ELi8ELb1ELb1ELi1024EEEvPT0_PfPT_S3_PiS6_iiiii ; -- Begin function _ZN5aiter43moe_smooth_per_token_scaled_quant_kernel_v1IDF16_aLi128ELi8ELb1ELb1ELi1024EEEvPT0_PfPT_S3_PiS6_iiiii
	.globl	_ZN5aiter43moe_smooth_per_token_scaled_quant_kernel_v1IDF16_aLi128ELi8ELb1ELb1ELi1024EEEvPT0_PfPT_S3_PiS6_iiiii
	.p2align	8
	.type	_ZN5aiter43moe_smooth_per_token_scaled_quant_kernel_v1IDF16_aLi128ELi8ELb1ELb1ELi1024EEEvPT0_PfPT_S3_PiS6_iiiii,@function
_ZN5aiter43moe_smooth_per_token_scaled_quant_kernel_v1IDF16_aLi128ELi8ELb1ELb1ELi1024EEEvPT0_PfPT_S3_PiS6_iiiii: ; @_ZN5aiter43moe_smooth_per_token_scaled_quant_kernel_v1IDF16_aLi128ELi8ELb1ELb1ELi1024EEEvPT0_PfPT_S3_PiS6_iiiii
; %bb.0:
	s_clause 0x2
	s_load_b32 s18, s[0:1], 0x40
	s_load_b256 s[4:11], s[0:1], 0x20
	s_load_b64 s[2:3], s[0:1], 0x10
	s_mov_b32 s20, s15
	v_and_b32_e32 v12, 31, v0
	v_lshlrev_b32_e32 v6, 2, v0
	s_mov_b32 s15, -1
	s_delay_alu instid0(VALU_DEP_2)
	v_lshlrev_b32_e32 v1, 2, v12
	s_waitcnt lgkmcnt(0)
	s_lshl_b32 s14, s18, 2
	s_mul_i32 s16, s20, s9
	s_and_b32 s13, s7, 0xffff
	s_ashr_i32 s17, s16, 31
	s_mov_b32 s12, s6
	s_lshl_b64 s[6:7], s[16:17], 2
	s_clause 0x7
	buffer_load_b32 v7, v6, s[12:15], 0 offen
	buffer_load_b32 v8, v6, s[12:15], 0 offen offset:512
	buffer_load_b32 v9, v6, s[12:15], 0 offen offset:1024
	;; [unrolled: 1-line block ×7, first 2 shown]
	s_add_u32 s12, s4, s6
	s_addc_u32 s4, s5, s7
	s_lshl_b32 s14, s9, 2
	s_and_b32 s13, s4, 0xffff
	s_mul_hi_i32 s5, s11, s20
	s_mul_i32 s4, s11, s20
	buffer_load_b32 v5, v1, s[12:15], 0 offen
	s_lshl_b64 s[4:5], s[4:5], 1
	v_lshlrev_b32_e32 v1, 4, v0
	s_add_u32 s12, s2, s4
	s_addc_u32 s2, s3, s5
	s_lshl_b32 s14, s10, 1
	s_and_b32 s13, s2, 0xffff
	v_cmp_gt_i32_e32 vcc_lo, s9, v12
	buffer_load_b128 v[1:4], v1, s[12:15], 0 offen
	s_waitcnt vmcnt(8)
	ds_store_2addr_stride64_b32 v6, v7, v8 offset1:2
	s_waitcnt vmcnt(6)
	ds_store_2addr_stride64_b32 v6, v9, v10 offset0:4 offset1:6
	s_waitcnt vmcnt(4)
	ds_store_2addr_stride64_b32 v6, v11, v13 offset0:8 offset1:10
	;; [unrolled: 2-line block ×3, first 2 shown]
	s_waitcnt vmcnt(0) expcnt(1) lgkmcnt(0)
	s_barrier
	buffer_gl0_inv
	v_cmp_gt_i32_e64 s2, s18, v5
	v_cmp_lt_i32_e64 s3, -1, v5
	s_delay_alu instid0(VALU_DEP_2)
	s_and_b32 s2, vcc_lo, s2
	s_delay_alu instid0(VALU_DEP_1) | instid1(SALU_CYCLE_1)
	s_and_b32 s3, s2, s3
	s_delay_alu instid0(SALU_CYCLE_1)
	s_and_saveexec_b32 s2, s3
	s_cbranch_execz .LBB178_2
; %bb.1:
	v_lshlrev_b32_e32 v5, 2, v5
	ds_load_b32 v5, v5
.LBB178_2:
	s_or_b32 exec_lo, exec_lo, s2
	s_cmp_lt_i32 s9, 1
	s_cbranch_scc1 .LBB178_13
; %bb.3:
	s_clause 0x1
	s_load_b128 s[4:7], s[0:1], 0x0
	s_load_b64 s[22:23], s[0:1], 0x18
	s_add_i32 s1, s10, 7
	v_lshrrev_b32_e32 v6, 16, v1
	s_ashr_i32 s2, s1, 31
	v_lshrrev_b32_e32 v7, 16, v2
	s_lshr_b32 s2, s2, 29
	v_lshrrev_b32_e32 v8, 16, v3
	v_lshrrev_b32_e32 v9, 16, v4
	;; [unrolled: 1-line block ×3, first 2 shown]
	v_and_b32_e32 v14, 3, v0
	s_add_i32 s11, s10, 3
	s_add_i32 s1, s1, s2
	s_ashr_i32 s2, s11, 31
	s_movk_i32 s0, 0x7c
	s_ashr_i32 s1, s1, 3
	s_lshr_b32 s2, s2, 30
	v_cvt_f32_f16_e32 v1, v1
	v_cvt_f32_f16_e32 v6, v6
	;; [unrolled: 1-line block ×8, first 2 shown]
	v_lshlrev_b32_e32 v10, 3, v0
	v_lshlrev_b32_e32 v11, 5, v0
	v_cmp_eq_u32_e32 vcc_lo, 31, v12
	v_and_or_b32 v12, v13, s0, 0x1000
	v_lshl_or_b32 v13, v14, 2, 0x1000
	v_cmp_eq_u32_e64 s0, 0, v0
	v_cmp_gt_u32_e64 s1, s1, v0
	v_mov_b32_e32 v0, 0
	s_add_i32 s11, s11, s2
	s_lshl_b32 s14, s10, 2
	s_mov_b32 s3, 0
	s_and_b32 s18, s11, -4
	s_mov_b32 s11, 0x76543210
	s_branch .LBB178_6
.LBB178_4:                              ;   in Loop: Header=BB178_6 Depth=1
	s_or_b32 exec_lo, exec_lo, s2
.LBB178_5:                              ;   in Loop: Header=BB178_6 Depth=1
	s_add_i32 s3, s3, 1
	s_add_i32 s20, s20, s8
	s_cmp_eq_u32 s9, s3
	s_cbranch_scc1 .LBB178_13
.LBB178_6:                              ; =>This Inner Loop Header: Depth=1
	s_waitcnt lgkmcnt(0)
	v_readlane_b32 s2, v5, s3
	s_delay_alu instid0(VALU_DEP_1)
	s_cmp_lt_i32 s2, 0
	s_cbranch_scc1 .LBB178_5
; %bb.7:                                ;   in Loop: Header=BB178_6 Depth=1
	s_mul_i32 s12, s2, s10
	s_delay_alu instid0(SALU_CYCLE_1) | instskip(NEXT) | instid1(SALU_CYCLE_1)
	s_ashr_i32 s13, s12, 31
	s_lshl_b64 s[12:13], s[12:13], 2
	s_delay_alu instid0(SALU_CYCLE_1) | instskip(SKIP_1) | instid1(SALU_CYCLE_1)
	s_add_u32 s12, s22, s12
	s_addc_u32 s2, s23, s13
	s_and_b32 s13, s2, 0xffff
	s_clause 0x1
	buffer_load_b128 v[14:17], v11, s[12:15], 0 offen
	buffer_load_b128 v[22:25], v11, s[12:15], 16 offen
	s_waitcnt vmcnt(1)
	v_dual_mul_f32 v20, v14, v1 :: v_dual_mul_f32 v21, v15, v6
	v_dual_mul_f32 v14, v16, v2 :: v_dual_mul_f32 v15, v17, v7
	s_waitcnt vmcnt(0)
	v_dual_mul_f32 v16, v22, v3 :: v_dual_mul_f32 v17, v23, v8
	s_delay_alu instid0(VALU_DEP_3) | instskip(SKIP_1) | instid1(VALU_DEP_2)
	v_max3_f32 v18, |v20|, 0x2edbe6ff, |v21|
	v_mul_f32_e32 v19, v25, v9
	v_max3_f32 v22, v18, |v14|, |v15|
	v_mul_f32_e32 v18, v24, v4
	s_delay_alu instid0(VALU_DEP_2) | instskip(NEXT) | instid1(VALU_DEP_1)
	v_max3_f32 v22, v22, |v16|, |v17|
	v_max3_f32 v22, v22, |v18|, |v19|
	s_delay_alu instid0(VALU_DEP_1) | instskip(NEXT) | instid1(VALU_DEP_1)
	v_mov_b32_dpp v23, v22 quad_perm:[1,0,3,2] row_mask:0xf bank_mask:0xf
	v_cmp_gt_f32_e64 s2, v22, v23
	s_delay_alu instid0(VALU_DEP_1) | instskip(NEXT) | instid1(VALU_DEP_1)
	v_cndmask_b32_e64 v22, v23, v22, s2
	v_mov_b32_dpp v23, v22 quad_perm:[2,3,0,1] row_mask:0xf bank_mask:0xf
	s_delay_alu instid0(VALU_DEP_1) | instskip(NEXT) | instid1(VALU_DEP_1)
	v_cmp_gt_f32_e64 s2, v22, v23
	v_cndmask_b32_e64 v22, v23, v22, s2
	s_delay_alu instid0(VALU_DEP_1) | instskip(NEXT) | instid1(VALU_DEP_1)
	v_mov_b32_dpp v23, v22 row_xmask:7 row_mask:0xf bank_mask:0xf
	v_cmp_gt_f32_e64 s2, v22, v23
	s_delay_alu instid0(VALU_DEP_1) | instskip(NEXT) | instid1(VALU_DEP_1)
	v_cndmask_b32_e64 v22, v23, v22, s2
	v_mov_b32_dpp v23, v22 row_xmask:15 row_mask:0xf bank_mask:0xf
	s_delay_alu instid0(VALU_DEP_1)
	v_cmp_gt_f32_e64 s2, v22, v23
	s_and_saveexec_b32 s12, vcc_lo
	s_cbranch_execz .LBB178_9
; %bb.8:                                ;   in Loop: Header=BB178_6 Depth=1
	s_delay_alu instid0(VALU_DEP_1) | instskip(NEXT) | instid1(VALU_DEP_1)
	v_cndmask_b32_e64 v22, v23, v22, s2
	v_permlanex16_b32 v23, v22, s11, 0xfedcba98 op_sel:[1,1]
	s_delay_alu instid0(VALU_DEP_1) | instskip(NEXT) | instid1(VALU_DEP_1)
	v_cmp_gt_f32_e64 s2, v22, v23
	v_cndmask_b32_e64 v22, v23, v22, s2
	ds_store_b32 v12, v22
.LBB178_9:                              ;   in Loop: Header=BB178_6 Depth=1
	s_or_b32 exec_lo, exec_lo, s12
	s_waitcnt lgkmcnt(0)
	s_waitcnt_vscnt null, 0x0
	s_barrier
	buffer_gl0_inv
	ds_load_b32 v22, v13
	s_waitcnt lgkmcnt(0)
	v_mov_b32_dpp v23, v22 quad_perm:[1,0,3,2] row_mask:0xf bank_mask:0xf
	s_delay_alu instid0(VALU_DEP_1) | instskip(NEXT) | instid1(VALU_DEP_1)
	v_cmp_gt_f32_e64 s2, v22, v23
	v_cndmask_b32_e64 v22, v23, v22, s2
	s_delay_alu instid0(VALU_DEP_1) | instskip(NEXT) | instid1(VALU_DEP_1)
	v_mov_b32_dpp v23, v22 quad_perm:[2,3,0,1] row_mask:0xf bank_mask:0xf
	v_cmp_gt_f32_e64 s2, v22, v23
	s_delay_alu instid0(VALU_DEP_1) | instskip(NEXT) | instid1(VALU_DEP_1)
	v_cndmask_b32_e64 v22, v23, v22, s2
	v_mul_f32_e32 v22, 0x3c010204, v22
	s_and_saveexec_b32 s2, s0
	s_cbranch_execz .LBB178_11
; %bb.10:                               ;   in Loop: Header=BB178_6 Depth=1
	s_ashr_i32 s21, s20, 31
	s_delay_alu instid0(SALU_CYCLE_1) | instskip(NEXT) | instid1(SALU_CYCLE_1)
	s_lshl_b64 s[12:13], s[20:21], 2
	s_add_u32 s12, s6, s12
	s_addc_u32 s13, s7, s13
	global_store_b32 v0, v22, s[12:13]
.LBB178_11:                             ;   in Loop: Header=BB178_6 Depth=1
	s_or_b32 exec_lo, exec_lo, s2
	s_and_saveexec_b32 s2, s1
	s_cbranch_execz .LBB178_4
; %bb.12:                               ;   in Loop: Header=BB178_6 Depth=1
	v_rcp_f32_e32 v22, v22
	s_mul_i32 s12, s20, s10
	s_mul_hi_i32 s13, s20, s10
	s_add_u32 s16, s4, s12
	s_addc_u32 s12, s5, s13
	s_mov_b32 s19, s15
	s_and_b32 s17, s12, 0xffff
	s_waitcnt_depctr 0xfff
	v_mul_f32_e32 v16, v16, v22
	v_mul_f32_e32 v17, v17, v22
	v_mul_f32_e32 v14, v14, v22
	v_mul_f32_e32 v15, v15, v22
	v_mul_f32_e32 v18, v18, v22
	v_cvt_i32_f32_e32 v16, v16
	v_cvt_i32_f32_e32 v17, v17
	v_mul_f32_e32 v21, v21, v22
	v_cvt_i32_f32_e32 v14, v14
	v_cvt_i32_f32_e32 v15, v15
	v_and_b32_e32 v16, 0xff, v16
	v_lshlrev_b16 v17, 8, v17
	v_mul_f32_e32 v19, v19, v22
	v_and_b32_e32 v14, 0xff, v14
	v_lshlrev_b16 v15, 8, v15
	v_cvt_i32_f32_e32 v21, v21
	v_or_b32_e32 v16, v16, v17
	v_mul_f32_e32 v20, v20, v22
	v_cvt_i32_f32_e32 v19, v19
	v_cvt_i32_f32_e32 v18, v18
	v_or_b32_e32 v14, v14, v15
	v_and_b32_e32 v15, 0xffff, v16
	v_cvt_i32_f32_e32 v20, v20
	v_lshlrev_b16 v19, 8, v19
	v_and_b32_e32 v18, 0xff, v18
	v_lshlrev_b16 v21, 8, v21
	v_lshlrev_b32_e32 v14, 16, v14
	v_and_b32_e32 v20, 0xff, v20
	s_delay_alu instid0(VALU_DEP_4) | instskip(NEXT) | instid1(VALU_DEP_2)
	v_or_b32_e32 v17, v18, v19
	v_or_b32_e32 v18, v20, v21
	s_delay_alu instid0(VALU_DEP_2) | instskip(NEXT) | instid1(VALU_DEP_2)
	v_lshlrev_b32_e32 v16, 16, v17
	v_and_b32_e32 v17, 0xffff, v18
	s_delay_alu instid0(VALU_DEP_2) | instskip(NEXT) | instid1(VALU_DEP_2)
	v_or_b32_e32 v15, v15, v16
	v_or_b32_e32 v14, v17, v14
	buffer_store_b64 v[14:15], v10, s[16:19], 0 offen
	;;#ASMSTART
	s_nop 0
	;;#ASMEND
	s_branch .LBB178_4
.LBB178_13:
	s_nop 0
	s_sendmsg sendmsg(MSG_DEALLOC_VGPRS)
	s_endpgm
	.section	.rodata,"a",@progbits
	.p2align	6, 0x0
	.amdhsa_kernel _ZN5aiter43moe_smooth_per_token_scaled_quant_kernel_v1IDF16_aLi128ELi8ELb1ELb1ELi1024EEEvPT0_PfPT_S3_PiS6_iiiii
		.amdhsa_group_segment_fixed_size 4112
		.amdhsa_private_segment_fixed_size 0
		.amdhsa_kernarg_size 68
		.amdhsa_user_sgpr_count 15
		.amdhsa_user_sgpr_dispatch_ptr 0
		.amdhsa_user_sgpr_queue_ptr 0
		.amdhsa_user_sgpr_kernarg_segment_ptr 1
		.amdhsa_user_sgpr_dispatch_id 0
		.amdhsa_user_sgpr_private_segment_size 0
		.amdhsa_wavefront_size32 1
		.amdhsa_uses_dynamic_stack 0
		.amdhsa_enable_private_segment 0
		.amdhsa_system_sgpr_workgroup_id_x 1
		.amdhsa_system_sgpr_workgroup_id_y 0
		.amdhsa_system_sgpr_workgroup_id_z 0
		.amdhsa_system_sgpr_workgroup_info 0
		.amdhsa_system_vgpr_workitem_id 0
		.amdhsa_next_free_vgpr 26
		.amdhsa_next_free_sgpr 24
		.amdhsa_reserve_vcc 1
		.amdhsa_float_round_mode_32 0
		.amdhsa_float_round_mode_16_64 0
		.amdhsa_float_denorm_mode_32 3
		.amdhsa_float_denorm_mode_16_64 3
		.amdhsa_dx10_clamp 1
		.amdhsa_ieee_mode 1
		.amdhsa_fp16_overflow 0
		.amdhsa_workgroup_processor_mode 1
		.amdhsa_memory_ordered 1
		.amdhsa_forward_progress 0
		.amdhsa_shared_vgpr_count 0
		.amdhsa_exception_fp_ieee_invalid_op 0
		.amdhsa_exception_fp_denorm_src 0
		.amdhsa_exception_fp_ieee_div_zero 0
		.amdhsa_exception_fp_ieee_overflow 0
		.amdhsa_exception_fp_ieee_underflow 0
		.amdhsa_exception_fp_ieee_inexact 0
		.amdhsa_exception_int_div_zero 0
	.end_amdhsa_kernel
	.section	.text._ZN5aiter43moe_smooth_per_token_scaled_quant_kernel_v1IDF16_aLi128ELi8ELb1ELb1ELi1024EEEvPT0_PfPT_S3_PiS6_iiiii,"axG",@progbits,_ZN5aiter43moe_smooth_per_token_scaled_quant_kernel_v1IDF16_aLi128ELi8ELb1ELb1ELi1024EEEvPT0_PfPT_S3_PiS6_iiiii,comdat
.Lfunc_end178:
	.size	_ZN5aiter43moe_smooth_per_token_scaled_quant_kernel_v1IDF16_aLi128ELi8ELb1ELb1ELi1024EEEvPT0_PfPT_S3_PiS6_iiiii, .Lfunc_end178-_ZN5aiter43moe_smooth_per_token_scaled_quant_kernel_v1IDF16_aLi128ELi8ELb1ELb1ELi1024EEEvPT0_PfPT_S3_PiS6_iiiii
                                        ; -- End function
	.section	.AMDGPU.csdata,"",@progbits
; Kernel info:
; codeLenInByte = 1332
; NumSgprs: 26
; NumVgprs: 26
; ScratchSize: 0
; MemoryBound: 0
; FloatMode: 240
; IeeeMode: 1
; LDSByteSize: 4112 bytes/workgroup (compile time only)
; SGPRBlocks: 3
; VGPRBlocks: 3
; NumSGPRsForWavesPerEU: 26
; NumVGPRsForWavesPerEU: 26
; Occupancy: 16
; WaveLimiterHint : 0
; COMPUTE_PGM_RSRC2:SCRATCH_EN: 0
; COMPUTE_PGM_RSRC2:USER_SGPR: 15
; COMPUTE_PGM_RSRC2:TRAP_HANDLER: 0
; COMPUTE_PGM_RSRC2:TGID_X_EN: 1
; COMPUTE_PGM_RSRC2:TGID_Y_EN: 0
; COMPUTE_PGM_RSRC2:TGID_Z_EN: 0
; COMPUTE_PGM_RSRC2:TIDIG_COMP_CNT: 0
	.section	.text._ZN5aiter43moe_smooth_per_token_scaled_quant_kernel_v1ItaLi128ELi8ELb1ELb1ELi1024EEEvPT0_PfPT_S3_PiS6_iiiii,"axG",@progbits,_ZN5aiter43moe_smooth_per_token_scaled_quant_kernel_v1ItaLi128ELi8ELb1ELb1ELi1024EEEvPT0_PfPT_S3_PiS6_iiiii,comdat
	.protected	_ZN5aiter43moe_smooth_per_token_scaled_quant_kernel_v1ItaLi128ELi8ELb1ELb1ELi1024EEEvPT0_PfPT_S3_PiS6_iiiii ; -- Begin function _ZN5aiter43moe_smooth_per_token_scaled_quant_kernel_v1ItaLi128ELi8ELb1ELb1ELi1024EEEvPT0_PfPT_S3_PiS6_iiiii
	.globl	_ZN5aiter43moe_smooth_per_token_scaled_quant_kernel_v1ItaLi128ELi8ELb1ELb1ELi1024EEEvPT0_PfPT_S3_PiS6_iiiii
	.p2align	8
	.type	_ZN5aiter43moe_smooth_per_token_scaled_quant_kernel_v1ItaLi128ELi8ELb1ELb1ELi1024EEEvPT0_PfPT_S3_PiS6_iiiii,@function
_ZN5aiter43moe_smooth_per_token_scaled_quant_kernel_v1ItaLi128ELi8ELb1ELb1ELi1024EEEvPT0_PfPT_S3_PiS6_iiiii: ; @_ZN5aiter43moe_smooth_per_token_scaled_quant_kernel_v1ItaLi128ELi8ELb1ELb1ELi1024EEEvPT0_PfPT_S3_PiS6_iiiii
; %bb.0:
	s_clause 0x2
	s_load_b32 s18, s[0:1], 0x40
	s_load_b256 s[4:11], s[0:1], 0x20
	s_load_b64 s[2:3], s[0:1], 0x10
	s_mov_b32 s20, s15
	v_and_b32_e32 v12, 31, v0
	v_lshlrev_b32_e32 v6, 2, v0
	s_mov_b32 s15, -1
	s_delay_alu instid0(VALU_DEP_2)
	v_lshlrev_b32_e32 v1, 2, v12
	s_waitcnt lgkmcnt(0)
	s_lshl_b32 s14, s18, 2
	s_mul_i32 s16, s20, s9
	s_and_b32 s13, s7, 0xffff
	s_ashr_i32 s17, s16, 31
	s_mov_b32 s12, s6
	s_lshl_b64 s[6:7], s[16:17], 2
	s_clause 0x7
	buffer_load_b32 v7, v6, s[12:15], 0 offen
	buffer_load_b32 v8, v6, s[12:15], 0 offen offset:512
	buffer_load_b32 v9, v6, s[12:15], 0 offen offset:1024
	;; [unrolled: 1-line block ×7, first 2 shown]
	s_add_u32 s12, s4, s6
	s_addc_u32 s4, s5, s7
	s_lshl_b32 s14, s9, 2
	s_and_b32 s13, s4, 0xffff
	s_mul_hi_i32 s5, s11, s20
	s_mul_i32 s4, s11, s20
	buffer_load_b32 v5, v1, s[12:15], 0 offen
	s_lshl_b64 s[4:5], s[4:5], 1
	v_lshlrev_b32_e32 v1, 4, v0
	s_add_u32 s12, s2, s4
	s_addc_u32 s2, s3, s5
	s_lshl_b32 s14, s10, 1
	s_and_b32 s13, s2, 0xffff
	v_cmp_gt_i32_e32 vcc_lo, s9, v12
	buffer_load_b128 v[1:4], v1, s[12:15], 0 offen
	s_waitcnt vmcnt(8)
	ds_store_2addr_stride64_b32 v6, v7, v8 offset1:2
	s_waitcnt vmcnt(6)
	ds_store_2addr_stride64_b32 v6, v9, v10 offset0:4 offset1:6
	s_waitcnt vmcnt(4)
	ds_store_2addr_stride64_b32 v6, v11, v13 offset0:8 offset1:10
	;; [unrolled: 2-line block ×3, first 2 shown]
	s_waitcnt vmcnt(0) expcnt(1) lgkmcnt(0)
	s_barrier
	buffer_gl0_inv
	v_cmp_gt_i32_e64 s2, s18, v5
	v_cmp_lt_i32_e64 s3, -1, v5
	s_delay_alu instid0(VALU_DEP_2)
	s_and_b32 s2, vcc_lo, s2
	s_delay_alu instid0(VALU_DEP_1) | instid1(SALU_CYCLE_1)
	s_and_b32 s3, s2, s3
	s_delay_alu instid0(SALU_CYCLE_1)
	s_and_saveexec_b32 s2, s3
	s_cbranch_execz .LBB179_2
; %bb.1:
	v_lshlrev_b32_e32 v5, 2, v5
	ds_load_b32 v5, v5
.LBB179_2:
	s_or_b32 exec_lo, exec_lo, s2
	s_cmp_lt_i32 s9, 1
	s_cbranch_scc1 .LBB179_13
; %bb.3:
	s_clause 0x1
	s_load_b128 s[4:7], s[0:1], 0x0
	s_load_b64 s[22:23], s[0:1], 0x18
	v_and_b32_e32 v6, 0xffff, v1
	v_lshrrev_b32_e32 v7, 16, v1
	v_and_b32_e32 v8, 0xffff, v2
	s_add_i32 s1, s10, 7
	v_lshrrev_b32_e32 v2, 16, v2
	s_ashr_i32 s2, s1, 31
	v_cvt_f32_u32_e32 v1, v6
	s_lshr_b32 s2, s2, 29
	v_cvt_f32_u32_e32 v6, v7
	v_cvt_f32_u32_e32 v7, v8
	v_and_b32_e32 v8, 0xffff, v3
	v_lshrrev_b32_e32 v9, 16, v3
	v_and_b32_e32 v10, 0xffff, v4
	v_lshrrev_b32_e32 v11, 16, v4
	v_lshrrev_b32_e32 v13, 3, v0
	v_and_b32_e32 v14, 3, v0
	s_add_i32 s11, s10, 3
	s_add_i32 s1, s1, s2
	s_ashr_i32 s2, s11, 31
	s_movk_i32 s0, 0x7c
	s_ashr_i32 s1, s1, 3
	s_lshr_b32 s2, s2, 30
	v_cvt_f32_u32_e32 v2, v2
	v_cvt_f32_u32_e32 v3, v8
	;; [unrolled: 1-line block ×5, first 2 shown]
	v_lshlrev_b32_e32 v10, 3, v0
	v_lshlrev_b32_e32 v11, 5, v0
	v_cmp_eq_u32_e32 vcc_lo, 31, v12
	v_and_or_b32 v12, v13, s0, 0x1000
	v_lshl_or_b32 v13, v14, 2, 0x1000
	v_cmp_eq_u32_e64 s0, 0, v0
	v_cmp_gt_u32_e64 s1, s1, v0
	v_mov_b32_e32 v0, 0
	s_add_i32 s11, s11, s2
	s_lshl_b32 s14, s10, 2
	s_mov_b32 s3, 0
	s_and_b32 s18, s11, -4
	s_mov_b32 s11, 0x76543210
	s_branch .LBB179_6
.LBB179_4:                              ;   in Loop: Header=BB179_6 Depth=1
	s_or_b32 exec_lo, exec_lo, s2
.LBB179_5:                              ;   in Loop: Header=BB179_6 Depth=1
	s_add_i32 s3, s3, 1
	s_add_i32 s20, s20, s8
	s_cmp_eq_u32 s9, s3
	s_cbranch_scc1 .LBB179_13
.LBB179_6:                              ; =>This Inner Loop Header: Depth=1
	s_waitcnt lgkmcnt(0)
	v_readlane_b32 s2, v5, s3
	s_delay_alu instid0(VALU_DEP_1)
	s_cmp_lt_i32 s2, 0
	s_cbranch_scc1 .LBB179_5
; %bb.7:                                ;   in Loop: Header=BB179_6 Depth=1
	s_mul_i32 s12, s2, s10
	s_delay_alu instid0(SALU_CYCLE_1) | instskip(NEXT) | instid1(SALU_CYCLE_1)
	s_ashr_i32 s13, s12, 31
	s_lshl_b64 s[12:13], s[12:13], 2
	s_delay_alu instid0(SALU_CYCLE_1) | instskip(SKIP_1) | instid1(SALU_CYCLE_1)
	s_add_u32 s12, s22, s12
	s_addc_u32 s2, s23, s13
	s_and_b32 s13, s2, 0xffff
	s_clause 0x1
	buffer_load_b128 v[14:17], v11, s[12:15], 0 offen
	buffer_load_b128 v[22:25], v11, s[12:15], 16 offen
	s_waitcnt vmcnt(1)
	v_dual_mul_f32 v20, v14, v1 :: v_dual_mul_f32 v21, v15, v6
	v_dual_mul_f32 v14, v16, v7 :: v_dual_mul_f32 v15, v17, v2
	s_waitcnt vmcnt(0)
	v_dual_mul_f32 v16, v22, v3 :: v_dual_mul_f32 v17, v23, v4
	s_delay_alu instid0(VALU_DEP_3) | instskip(SKIP_1) | instid1(VALU_DEP_2)
	v_max3_f32 v18, |v20|, 0x2edbe6ff, |v21|
	v_mul_f32_e32 v19, v25, v9
	v_max3_f32 v22, v18, |v14|, |v15|
	v_mul_f32_e32 v18, v24, v8
	s_delay_alu instid0(VALU_DEP_2) | instskip(NEXT) | instid1(VALU_DEP_1)
	v_max3_f32 v22, v22, |v16|, |v17|
	v_max3_f32 v22, v22, |v18|, |v19|
	s_delay_alu instid0(VALU_DEP_1) | instskip(NEXT) | instid1(VALU_DEP_1)
	v_mov_b32_dpp v23, v22 quad_perm:[1,0,3,2] row_mask:0xf bank_mask:0xf
	v_cmp_gt_f32_e64 s2, v22, v23
	s_delay_alu instid0(VALU_DEP_1) | instskip(NEXT) | instid1(VALU_DEP_1)
	v_cndmask_b32_e64 v22, v23, v22, s2
	v_mov_b32_dpp v23, v22 quad_perm:[2,3,0,1] row_mask:0xf bank_mask:0xf
	s_delay_alu instid0(VALU_DEP_1) | instskip(NEXT) | instid1(VALU_DEP_1)
	v_cmp_gt_f32_e64 s2, v22, v23
	v_cndmask_b32_e64 v22, v23, v22, s2
	s_delay_alu instid0(VALU_DEP_1) | instskip(NEXT) | instid1(VALU_DEP_1)
	v_mov_b32_dpp v23, v22 row_xmask:7 row_mask:0xf bank_mask:0xf
	v_cmp_gt_f32_e64 s2, v22, v23
	s_delay_alu instid0(VALU_DEP_1) | instskip(NEXT) | instid1(VALU_DEP_1)
	v_cndmask_b32_e64 v22, v23, v22, s2
	v_mov_b32_dpp v23, v22 row_xmask:15 row_mask:0xf bank_mask:0xf
	s_delay_alu instid0(VALU_DEP_1)
	v_cmp_gt_f32_e64 s2, v22, v23
	s_and_saveexec_b32 s12, vcc_lo
	s_cbranch_execz .LBB179_9
; %bb.8:                                ;   in Loop: Header=BB179_6 Depth=1
	s_delay_alu instid0(VALU_DEP_1) | instskip(NEXT) | instid1(VALU_DEP_1)
	v_cndmask_b32_e64 v22, v23, v22, s2
	v_permlanex16_b32 v23, v22, s11, 0xfedcba98 op_sel:[1,1]
	s_delay_alu instid0(VALU_DEP_1) | instskip(NEXT) | instid1(VALU_DEP_1)
	v_cmp_gt_f32_e64 s2, v22, v23
	v_cndmask_b32_e64 v22, v23, v22, s2
	ds_store_b32 v12, v22
.LBB179_9:                              ;   in Loop: Header=BB179_6 Depth=1
	s_or_b32 exec_lo, exec_lo, s12
	s_waitcnt lgkmcnt(0)
	s_waitcnt_vscnt null, 0x0
	s_barrier
	buffer_gl0_inv
	ds_load_b32 v22, v13
	s_waitcnt lgkmcnt(0)
	v_mov_b32_dpp v23, v22 quad_perm:[1,0,3,2] row_mask:0xf bank_mask:0xf
	s_delay_alu instid0(VALU_DEP_1) | instskip(NEXT) | instid1(VALU_DEP_1)
	v_cmp_gt_f32_e64 s2, v22, v23
	v_cndmask_b32_e64 v22, v23, v22, s2
	s_delay_alu instid0(VALU_DEP_1) | instskip(NEXT) | instid1(VALU_DEP_1)
	v_mov_b32_dpp v23, v22 quad_perm:[2,3,0,1] row_mask:0xf bank_mask:0xf
	v_cmp_gt_f32_e64 s2, v22, v23
	s_delay_alu instid0(VALU_DEP_1) | instskip(NEXT) | instid1(VALU_DEP_1)
	v_cndmask_b32_e64 v22, v23, v22, s2
	v_mul_f32_e32 v22, 0x3c010204, v22
	s_and_saveexec_b32 s2, s0
	s_cbranch_execz .LBB179_11
; %bb.10:                               ;   in Loop: Header=BB179_6 Depth=1
	s_ashr_i32 s21, s20, 31
	s_delay_alu instid0(SALU_CYCLE_1) | instskip(NEXT) | instid1(SALU_CYCLE_1)
	s_lshl_b64 s[12:13], s[20:21], 2
	s_add_u32 s12, s6, s12
	s_addc_u32 s13, s7, s13
	global_store_b32 v0, v22, s[12:13]
.LBB179_11:                             ;   in Loop: Header=BB179_6 Depth=1
	s_or_b32 exec_lo, exec_lo, s2
	s_and_saveexec_b32 s2, s1
	s_cbranch_execz .LBB179_4
; %bb.12:                               ;   in Loop: Header=BB179_6 Depth=1
	v_rcp_f32_e32 v22, v22
	s_mul_i32 s12, s20, s10
	s_mul_hi_i32 s13, s20, s10
	s_add_u32 s16, s4, s12
	s_addc_u32 s12, s5, s13
	s_mov_b32 s19, s15
	s_and_b32 s17, s12, 0xffff
	s_waitcnt_depctr 0xfff
	v_mul_f32_e32 v16, v16, v22
	v_mul_f32_e32 v17, v17, v22
	v_mul_f32_e32 v14, v14, v22
	v_mul_f32_e32 v15, v15, v22
	v_mul_f32_e32 v18, v18, v22
	v_cvt_i32_f32_e32 v16, v16
	v_cvt_i32_f32_e32 v17, v17
	v_mul_f32_e32 v21, v21, v22
	v_cvt_i32_f32_e32 v14, v14
	v_cvt_i32_f32_e32 v15, v15
	v_and_b32_e32 v16, 0xff, v16
	v_lshlrev_b16 v17, 8, v17
	v_mul_f32_e32 v19, v19, v22
	v_and_b32_e32 v14, 0xff, v14
	v_lshlrev_b16 v15, 8, v15
	v_cvt_i32_f32_e32 v21, v21
	v_or_b32_e32 v16, v16, v17
	v_mul_f32_e32 v20, v20, v22
	v_cvt_i32_f32_e32 v19, v19
	v_cvt_i32_f32_e32 v18, v18
	v_or_b32_e32 v14, v14, v15
	v_and_b32_e32 v15, 0xffff, v16
	v_cvt_i32_f32_e32 v20, v20
	v_lshlrev_b16 v19, 8, v19
	v_and_b32_e32 v18, 0xff, v18
	v_lshlrev_b16 v21, 8, v21
	v_lshlrev_b32_e32 v14, 16, v14
	v_and_b32_e32 v20, 0xff, v20
	s_delay_alu instid0(VALU_DEP_4) | instskip(NEXT) | instid1(VALU_DEP_2)
	v_or_b32_e32 v17, v18, v19
	v_or_b32_e32 v18, v20, v21
	s_delay_alu instid0(VALU_DEP_2) | instskip(NEXT) | instid1(VALU_DEP_2)
	v_lshlrev_b32_e32 v16, 16, v17
	v_and_b32_e32 v17, 0xffff, v18
	s_delay_alu instid0(VALU_DEP_2) | instskip(NEXT) | instid1(VALU_DEP_2)
	v_or_b32_e32 v15, v15, v16
	v_or_b32_e32 v14, v17, v14
	buffer_store_b64 v[14:15], v10, s[16:19], 0 offen
	;;#ASMSTART
	s_nop 0
	;;#ASMEND
	s_branch .LBB179_4
.LBB179_13:
	s_nop 0
	s_sendmsg sendmsg(MSG_DEALLOC_VGPRS)
	s_endpgm
	.section	.rodata,"a",@progbits
	.p2align	6, 0x0
	.amdhsa_kernel _ZN5aiter43moe_smooth_per_token_scaled_quant_kernel_v1ItaLi128ELi8ELb1ELb1ELi1024EEEvPT0_PfPT_S3_PiS6_iiiii
		.amdhsa_group_segment_fixed_size 4112
		.amdhsa_private_segment_fixed_size 0
		.amdhsa_kernarg_size 68
		.amdhsa_user_sgpr_count 15
		.amdhsa_user_sgpr_dispatch_ptr 0
		.amdhsa_user_sgpr_queue_ptr 0
		.amdhsa_user_sgpr_kernarg_segment_ptr 1
		.amdhsa_user_sgpr_dispatch_id 0
		.amdhsa_user_sgpr_private_segment_size 0
		.amdhsa_wavefront_size32 1
		.amdhsa_uses_dynamic_stack 0
		.amdhsa_enable_private_segment 0
		.amdhsa_system_sgpr_workgroup_id_x 1
		.amdhsa_system_sgpr_workgroup_id_y 0
		.amdhsa_system_sgpr_workgroup_id_z 0
		.amdhsa_system_sgpr_workgroup_info 0
		.amdhsa_system_vgpr_workitem_id 0
		.amdhsa_next_free_vgpr 26
		.amdhsa_next_free_sgpr 24
		.amdhsa_reserve_vcc 1
		.amdhsa_float_round_mode_32 0
		.amdhsa_float_round_mode_16_64 0
		.amdhsa_float_denorm_mode_32 3
		.amdhsa_float_denorm_mode_16_64 3
		.amdhsa_dx10_clamp 1
		.amdhsa_ieee_mode 1
		.amdhsa_fp16_overflow 0
		.amdhsa_workgroup_processor_mode 1
		.amdhsa_memory_ordered 1
		.amdhsa_forward_progress 0
		.amdhsa_shared_vgpr_count 0
		.amdhsa_exception_fp_ieee_invalid_op 0
		.amdhsa_exception_fp_denorm_src 0
		.amdhsa_exception_fp_ieee_div_zero 0
		.amdhsa_exception_fp_ieee_overflow 0
		.amdhsa_exception_fp_ieee_underflow 0
		.amdhsa_exception_fp_ieee_inexact 0
		.amdhsa_exception_int_div_zero 0
	.end_amdhsa_kernel
	.section	.text._ZN5aiter43moe_smooth_per_token_scaled_quant_kernel_v1ItaLi128ELi8ELb1ELb1ELi1024EEEvPT0_PfPT_S3_PiS6_iiiii,"axG",@progbits,_ZN5aiter43moe_smooth_per_token_scaled_quant_kernel_v1ItaLi128ELi8ELb1ELb1ELi1024EEEvPT0_PfPT_S3_PiS6_iiiii,comdat
.Lfunc_end179:
	.size	_ZN5aiter43moe_smooth_per_token_scaled_quant_kernel_v1ItaLi128ELi8ELb1ELb1ELi1024EEEvPT0_PfPT_S3_PiS6_iiiii, .Lfunc_end179-_ZN5aiter43moe_smooth_per_token_scaled_quant_kernel_v1ItaLi128ELi8ELb1ELb1ELi1024EEEvPT0_PfPT_S3_PiS6_iiiii
                                        ; -- End function
	.section	.AMDGPU.csdata,"",@progbits
; Kernel info:
; codeLenInByte = 1364
; NumSgprs: 26
; NumVgprs: 26
; ScratchSize: 0
; MemoryBound: 0
; FloatMode: 240
; IeeeMode: 1
; LDSByteSize: 4112 bytes/workgroup (compile time only)
; SGPRBlocks: 3
; VGPRBlocks: 3
; NumSGPRsForWavesPerEU: 26
; NumVGPRsForWavesPerEU: 26
; Occupancy: 16
; WaveLimiterHint : 0
; COMPUTE_PGM_RSRC2:SCRATCH_EN: 0
; COMPUTE_PGM_RSRC2:USER_SGPR: 15
; COMPUTE_PGM_RSRC2:TRAP_HANDLER: 0
; COMPUTE_PGM_RSRC2:TGID_X_EN: 1
; COMPUTE_PGM_RSRC2:TGID_Y_EN: 0
; COMPUTE_PGM_RSRC2:TGID_Z_EN: 0
; COMPUTE_PGM_RSRC2:TIDIG_COMP_CNT: 0
	.section	.text._ZN5aiter43moe_smooth_per_token_scaled_quant_kernel_v1IDF16_aLi128ELi8ELb1ELb0ELi1024EEEvPT0_PfPT_S3_PiS6_iiiii,"axG",@progbits,_ZN5aiter43moe_smooth_per_token_scaled_quant_kernel_v1IDF16_aLi128ELi8ELb1ELb0ELi1024EEEvPT0_PfPT_S3_PiS6_iiiii,comdat
	.protected	_ZN5aiter43moe_smooth_per_token_scaled_quant_kernel_v1IDF16_aLi128ELi8ELb1ELb0ELi1024EEEvPT0_PfPT_S3_PiS6_iiiii ; -- Begin function _ZN5aiter43moe_smooth_per_token_scaled_quant_kernel_v1IDF16_aLi128ELi8ELb1ELb0ELi1024EEEvPT0_PfPT_S3_PiS6_iiiii
	.globl	_ZN5aiter43moe_smooth_per_token_scaled_quant_kernel_v1IDF16_aLi128ELi8ELb1ELb0ELi1024EEEvPT0_PfPT_S3_PiS6_iiiii
	.p2align	8
	.type	_ZN5aiter43moe_smooth_per_token_scaled_quant_kernel_v1IDF16_aLi128ELi8ELb1ELb0ELi1024EEEvPT0_PfPT_S3_PiS6_iiiii,@function
_ZN5aiter43moe_smooth_per_token_scaled_quant_kernel_v1IDF16_aLi128ELi8ELb1ELb0ELi1024EEEvPT0_PfPT_S3_PiS6_iiiii: ; @_ZN5aiter43moe_smooth_per_token_scaled_quant_kernel_v1IDF16_aLi128ELi8ELb1ELb0ELi1024EEEvPT0_PfPT_S3_PiS6_iiiii
; %bb.0:
	s_clause 0x2
	s_load_b128 s[4:7], s[0:1], 0x30
	s_load_b64 s[2:3], s[0:1], 0x20
	s_load_b64 s[12:13], s[0:1], 0x10
	v_and_b32_e32 v12, 31, v0
	s_mov_b32 s20, s15
	s_mov_b32 s11, -1
	s_delay_alu instid0(VALU_DEP_1)
	v_lshlrev_b32_e32 v1, 2, v12
	s_waitcnt lgkmcnt(0)
	s_mul_i32 s8, s15, s5
	s_mul_hi_i32 s15, s7, s15
	s_ashr_i32 s9, s8, 31
	s_mul_i32 s14, s7, s20
	s_lshl_b64 s[8:9], s[8:9], 2
	s_delay_alu instid0(SALU_CYCLE_1)
	s_add_u32 s8, s2, s8
	s_addc_u32 s2, s3, s9
	s_lshl_b32 s10, s5, 2
	s_and_b32 s9, s2, 0xffff
	s_lshl_b64 s[2:3], s[14:15], 1
	buffer_load_b32 v5, v1, s[8:11], 0 offen
	s_add_u32 s8, s12, s2
	v_lshlrev_b32_e32 v1, 4, v0
	s_addc_u32 s2, s13, s3
	s_lshl_b32 s10, s6, 1
	s_and_b32 s9, s2, 0xffff
	s_mov_b32 s3, 0
	buffer_load_b128 v[1:4], v1, s[8:11], 0 offen
	s_cmp_lt_i32 s5, 1
	s_waitcnt vmcnt(0) expcnt(1) lgkmcnt(55)
	s_barrier
	buffer_gl0_inv
	s_cbranch_scc1 .LBB180_11
; %bb.1:
	s_clause 0x1
	s_load_b128 s[12:15], s[0:1], 0x0
	s_load_b64 s[22:23], s[0:1], 0x18
	s_add_i32 s1, s6, 7
	v_lshrrev_b32_e32 v6, 16, v1
	s_ashr_i32 s2, s1, 31
	v_lshrrev_b32_e32 v7, 16, v2
	s_lshr_b32 s2, s2, 29
	v_lshrrev_b32_e32 v8, 16, v3
	v_lshrrev_b32_e32 v9, 16, v4
	v_lshrrev_b32_e32 v13, 3, v0
	v_and_b32_e32 v14, 3, v0
	s_add_i32 s7, s6, 3
	s_add_i32 s1, s1, s2
	s_ashr_i32 s2, s7, 31
	s_ashr_i32 s1, s1, 3
	s_lshr_b32 s2, s2, 30
	v_cvt_f32_f16_e32 v1, v1
	v_cvt_f32_f16_e32 v6, v6
	;; [unrolled: 1-line block ×8, first 2 shown]
	v_lshlrev_b32_e32 v10, 3, v0
	v_lshlrev_b32_e32 v11, 5, v0
	v_cmp_eq_u32_e32 vcc_lo, 31, v12
	v_and_b32_e32 v12, 0x7c, v13
	v_lshlrev_b32_e32 v13, 2, v14
	v_cmp_eq_u32_e64 s0, 0, v0
	v_cmp_gt_u32_e64 s1, s1, v0
	v_mov_b32_e32 v0, 0
	s_add_i32 s7, s7, s2
	s_lshl_b32 s10, s6, 2
	s_and_b32 s18, s7, -4
	s_mov_b32 s7, 0x76543210
	s_branch .LBB180_4
.LBB180_2:                              ;   in Loop: Header=BB180_4 Depth=1
	s_or_b32 exec_lo, exec_lo, s2
.LBB180_3:                              ;   in Loop: Header=BB180_4 Depth=1
	s_add_i32 s3, s3, 1
	s_add_i32 s20, s20, s4
	s_cmp_eq_u32 s5, s3
	s_cbranch_scc1 .LBB180_11
.LBB180_4:                              ; =>This Inner Loop Header: Depth=1
	v_readlane_b32 s2, v5, s3
	s_delay_alu instid0(VALU_DEP_1)
	s_cmp_lt_i32 s2, 0
	s_cbranch_scc1 .LBB180_3
; %bb.5:                                ;   in Loop: Header=BB180_4 Depth=1
	s_mul_i32 s8, s2, s6
	s_delay_alu instid0(SALU_CYCLE_1) | instskip(NEXT) | instid1(SALU_CYCLE_1)
	s_ashr_i32 s9, s8, 31
	s_lshl_b64 s[8:9], s[8:9], 2
	s_waitcnt lgkmcnt(0)
	s_add_u32 s8, s22, s8
	s_addc_u32 s2, s23, s9
	s_delay_alu instid0(SALU_CYCLE_1)
	s_and_b32 s9, s2, 0xffff
	s_clause 0x1
	buffer_load_b128 v[14:17], v11, s[8:11], 0 offen
	buffer_load_b128 v[22:25], v11, s[8:11], 16 offen
	s_waitcnt vmcnt(1)
	v_dual_mul_f32 v20, v14, v1 :: v_dual_mul_f32 v21, v15, v6
	v_dual_mul_f32 v14, v16, v2 :: v_dual_mul_f32 v15, v17, v7
	s_waitcnt vmcnt(0)
	v_dual_mul_f32 v16, v22, v3 :: v_dual_mul_f32 v17, v23, v8
	s_delay_alu instid0(VALU_DEP_3) | instskip(SKIP_1) | instid1(VALU_DEP_2)
	v_max3_f32 v18, |v20|, 0x2edbe6ff, |v21|
	v_mul_f32_e32 v19, v25, v9
	v_max3_f32 v22, v18, |v14|, |v15|
	v_mul_f32_e32 v18, v24, v4
	s_delay_alu instid0(VALU_DEP_2) | instskip(NEXT) | instid1(VALU_DEP_1)
	v_max3_f32 v22, v22, |v16|, |v17|
	v_max3_f32 v22, v22, |v18|, |v19|
	s_delay_alu instid0(VALU_DEP_1) | instskip(NEXT) | instid1(VALU_DEP_1)
	v_mov_b32_dpp v23, v22 quad_perm:[1,0,3,2] row_mask:0xf bank_mask:0xf
	v_cmp_gt_f32_e64 s2, v22, v23
	s_delay_alu instid0(VALU_DEP_1) | instskip(NEXT) | instid1(VALU_DEP_1)
	v_cndmask_b32_e64 v22, v23, v22, s2
	v_mov_b32_dpp v23, v22 quad_perm:[2,3,0,1] row_mask:0xf bank_mask:0xf
	s_delay_alu instid0(VALU_DEP_1) | instskip(NEXT) | instid1(VALU_DEP_1)
	v_cmp_gt_f32_e64 s2, v22, v23
	v_cndmask_b32_e64 v22, v23, v22, s2
	s_delay_alu instid0(VALU_DEP_1) | instskip(NEXT) | instid1(VALU_DEP_1)
	v_mov_b32_dpp v23, v22 row_xmask:7 row_mask:0xf bank_mask:0xf
	v_cmp_gt_f32_e64 s2, v22, v23
	s_delay_alu instid0(VALU_DEP_1) | instskip(NEXT) | instid1(VALU_DEP_1)
	v_cndmask_b32_e64 v22, v23, v22, s2
	v_mov_b32_dpp v23, v22 row_xmask:15 row_mask:0xf bank_mask:0xf
	s_delay_alu instid0(VALU_DEP_1)
	v_cmp_gt_f32_e64 s2, v22, v23
	s_and_saveexec_b32 s8, vcc_lo
	s_cbranch_execz .LBB180_7
; %bb.6:                                ;   in Loop: Header=BB180_4 Depth=1
	s_delay_alu instid0(VALU_DEP_1) | instskip(NEXT) | instid1(VALU_DEP_1)
	v_cndmask_b32_e64 v22, v23, v22, s2
	v_permlanex16_b32 v23, v22, s7, 0xfedcba98 op_sel:[1,1]
	s_delay_alu instid0(VALU_DEP_1) | instskip(NEXT) | instid1(VALU_DEP_1)
	v_cmp_gt_f32_e64 s2, v22, v23
	v_cndmask_b32_e64 v22, v23, v22, s2
	ds_store_b32 v12, v22
.LBB180_7:                              ;   in Loop: Header=BB180_4 Depth=1
	s_or_b32 exec_lo, exec_lo, s8
	s_waitcnt lgkmcnt(0)
	s_waitcnt_vscnt null, 0x0
	s_barrier
	buffer_gl0_inv
	ds_load_b32 v22, v13
	s_waitcnt lgkmcnt(0)
	v_mov_b32_dpp v23, v22 quad_perm:[1,0,3,2] row_mask:0xf bank_mask:0xf
	s_delay_alu instid0(VALU_DEP_1) | instskip(NEXT) | instid1(VALU_DEP_1)
	v_cmp_gt_f32_e64 s2, v22, v23
	v_cndmask_b32_e64 v22, v23, v22, s2
	s_delay_alu instid0(VALU_DEP_1) | instskip(NEXT) | instid1(VALU_DEP_1)
	v_mov_b32_dpp v23, v22 quad_perm:[2,3,0,1] row_mask:0xf bank_mask:0xf
	v_cmp_gt_f32_e64 s2, v22, v23
	s_delay_alu instid0(VALU_DEP_1) | instskip(NEXT) | instid1(VALU_DEP_1)
	v_cndmask_b32_e64 v22, v23, v22, s2
	v_mul_f32_e32 v22, 0x3c010204, v22
	s_and_saveexec_b32 s2, s0
	s_cbranch_execz .LBB180_9
; %bb.8:                                ;   in Loop: Header=BB180_4 Depth=1
	s_ashr_i32 s21, s20, 31
	s_delay_alu instid0(SALU_CYCLE_1) | instskip(NEXT) | instid1(SALU_CYCLE_1)
	s_lshl_b64 s[8:9], s[20:21], 2
	s_add_u32 s8, s14, s8
	s_addc_u32 s9, s15, s9
	global_store_b32 v0, v22, s[8:9]
.LBB180_9:                              ;   in Loop: Header=BB180_4 Depth=1
	s_or_b32 exec_lo, exec_lo, s2
	s_and_saveexec_b32 s2, s1
	s_cbranch_execz .LBB180_2
; %bb.10:                               ;   in Loop: Header=BB180_4 Depth=1
	v_rcp_f32_e32 v22, v22
	s_mul_i32 s8, s20, s6
	s_mul_hi_i32 s9, s20, s6
	s_add_u32 s16, s12, s8
	s_addc_u32 s8, s13, s9
	s_mov_b32 s19, s11
	s_and_b32 s17, s8, 0xffff
	s_waitcnt_depctr 0xfff
	v_mul_f32_e32 v16, v16, v22
	v_mul_f32_e32 v17, v17, v22
	v_mul_f32_e32 v14, v14, v22
	v_mul_f32_e32 v15, v15, v22
	v_mul_f32_e32 v18, v18, v22
	v_cvt_i32_f32_e32 v16, v16
	v_cvt_i32_f32_e32 v17, v17
	v_mul_f32_e32 v21, v21, v22
	v_cvt_i32_f32_e32 v14, v14
	v_cvt_i32_f32_e32 v15, v15
	v_and_b32_e32 v16, 0xff, v16
	v_lshlrev_b16 v17, 8, v17
	v_mul_f32_e32 v19, v19, v22
	v_and_b32_e32 v14, 0xff, v14
	v_lshlrev_b16 v15, 8, v15
	v_cvt_i32_f32_e32 v21, v21
	v_or_b32_e32 v16, v16, v17
	v_mul_f32_e32 v20, v20, v22
	v_cvt_i32_f32_e32 v19, v19
	v_cvt_i32_f32_e32 v18, v18
	v_or_b32_e32 v14, v14, v15
	v_and_b32_e32 v15, 0xffff, v16
	v_cvt_i32_f32_e32 v20, v20
	v_lshlrev_b16 v19, 8, v19
	v_and_b32_e32 v18, 0xff, v18
	v_lshlrev_b16 v21, 8, v21
	v_lshlrev_b32_e32 v14, 16, v14
	v_and_b32_e32 v20, 0xff, v20
	s_delay_alu instid0(VALU_DEP_4) | instskip(NEXT) | instid1(VALU_DEP_2)
	v_or_b32_e32 v17, v18, v19
	v_or_b32_e32 v18, v20, v21
	s_delay_alu instid0(VALU_DEP_2) | instskip(NEXT) | instid1(VALU_DEP_2)
	v_lshlrev_b32_e32 v16, 16, v17
	v_and_b32_e32 v17, 0xffff, v18
	s_delay_alu instid0(VALU_DEP_2) | instskip(NEXT) | instid1(VALU_DEP_2)
	v_or_b32_e32 v15, v15, v16
	v_or_b32_e32 v14, v17, v14
	buffer_store_b64 v[14:15], v10, s[16:19], 0 offen
	;;#ASMSTART
	s_nop 0
	;;#ASMEND
	s_branch .LBB180_2
.LBB180_11:
	s_nop 0
	s_sendmsg sendmsg(MSG_DEALLOC_VGPRS)
	s_endpgm
	.section	.rodata,"a",@progbits
	.p2align	6, 0x0
	.amdhsa_kernel _ZN5aiter43moe_smooth_per_token_scaled_quant_kernel_v1IDF16_aLi128ELi8ELb1ELb0ELi1024EEEvPT0_PfPT_S3_PiS6_iiiii
		.amdhsa_group_segment_fixed_size 16
		.amdhsa_private_segment_fixed_size 0
		.amdhsa_kernarg_size 68
		.amdhsa_user_sgpr_count 15
		.amdhsa_user_sgpr_dispatch_ptr 0
		.amdhsa_user_sgpr_queue_ptr 0
		.amdhsa_user_sgpr_kernarg_segment_ptr 1
		.amdhsa_user_sgpr_dispatch_id 0
		.amdhsa_user_sgpr_private_segment_size 0
		.amdhsa_wavefront_size32 1
		.amdhsa_uses_dynamic_stack 0
		.amdhsa_enable_private_segment 0
		.amdhsa_system_sgpr_workgroup_id_x 1
		.amdhsa_system_sgpr_workgroup_id_y 0
		.amdhsa_system_sgpr_workgroup_id_z 0
		.amdhsa_system_sgpr_workgroup_info 0
		.amdhsa_system_vgpr_workitem_id 0
		.amdhsa_next_free_vgpr 26
		.amdhsa_next_free_sgpr 24
		.amdhsa_reserve_vcc 1
		.amdhsa_float_round_mode_32 0
		.amdhsa_float_round_mode_16_64 0
		.amdhsa_float_denorm_mode_32 3
		.amdhsa_float_denorm_mode_16_64 3
		.amdhsa_dx10_clamp 1
		.amdhsa_ieee_mode 1
		.amdhsa_fp16_overflow 0
		.amdhsa_workgroup_processor_mode 1
		.amdhsa_memory_ordered 1
		.amdhsa_forward_progress 0
		.amdhsa_shared_vgpr_count 0
		.amdhsa_exception_fp_ieee_invalid_op 0
		.amdhsa_exception_fp_denorm_src 0
		.amdhsa_exception_fp_ieee_div_zero 0
		.amdhsa_exception_fp_ieee_overflow 0
		.amdhsa_exception_fp_ieee_underflow 0
		.amdhsa_exception_fp_ieee_inexact 0
		.amdhsa_exception_int_div_zero 0
	.end_amdhsa_kernel
	.section	.text._ZN5aiter43moe_smooth_per_token_scaled_quant_kernel_v1IDF16_aLi128ELi8ELb1ELb0ELi1024EEEvPT0_PfPT_S3_PiS6_iiiii,"axG",@progbits,_ZN5aiter43moe_smooth_per_token_scaled_quant_kernel_v1IDF16_aLi128ELi8ELb1ELb0ELi1024EEEvPT0_PfPT_S3_PiS6_iiiii,comdat
.Lfunc_end180:
	.size	_ZN5aiter43moe_smooth_per_token_scaled_quant_kernel_v1IDF16_aLi128ELi8ELb1ELb0ELi1024EEEvPT0_PfPT_S3_PiS6_iiiii, .Lfunc_end180-_ZN5aiter43moe_smooth_per_token_scaled_quant_kernel_v1IDF16_aLi128ELi8ELb1ELb0ELi1024EEEvPT0_PfPT_S3_PiS6_iiiii
                                        ; -- End function
	.section	.AMDGPU.csdata,"",@progbits
; Kernel info:
; codeLenInByte = 1120
; NumSgprs: 26
; NumVgprs: 26
; ScratchSize: 0
; MemoryBound: 0
; FloatMode: 240
; IeeeMode: 1
; LDSByteSize: 16 bytes/workgroup (compile time only)
; SGPRBlocks: 3
; VGPRBlocks: 3
; NumSGPRsForWavesPerEU: 26
; NumVGPRsForWavesPerEU: 26
; Occupancy: 16
; WaveLimiterHint : 0
; COMPUTE_PGM_RSRC2:SCRATCH_EN: 0
; COMPUTE_PGM_RSRC2:USER_SGPR: 15
; COMPUTE_PGM_RSRC2:TRAP_HANDLER: 0
; COMPUTE_PGM_RSRC2:TGID_X_EN: 1
; COMPUTE_PGM_RSRC2:TGID_Y_EN: 0
; COMPUTE_PGM_RSRC2:TGID_Z_EN: 0
; COMPUTE_PGM_RSRC2:TIDIG_COMP_CNT: 0
	.section	.text._ZN5aiter43moe_smooth_per_token_scaled_quant_kernel_v1ItaLi128ELi8ELb1ELb0ELi1024EEEvPT0_PfPT_S3_PiS6_iiiii,"axG",@progbits,_ZN5aiter43moe_smooth_per_token_scaled_quant_kernel_v1ItaLi128ELi8ELb1ELb0ELi1024EEEvPT0_PfPT_S3_PiS6_iiiii,comdat
	.protected	_ZN5aiter43moe_smooth_per_token_scaled_quant_kernel_v1ItaLi128ELi8ELb1ELb0ELi1024EEEvPT0_PfPT_S3_PiS6_iiiii ; -- Begin function _ZN5aiter43moe_smooth_per_token_scaled_quant_kernel_v1ItaLi128ELi8ELb1ELb0ELi1024EEEvPT0_PfPT_S3_PiS6_iiiii
	.globl	_ZN5aiter43moe_smooth_per_token_scaled_quant_kernel_v1ItaLi128ELi8ELb1ELb0ELi1024EEEvPT0_PfPT_S3_PiS6_iiiii
	.p2align	8
	.type	_ZN5aiter43moe_smooth_per_token_scaled_quant_kernel_v1ItaLi128ELi8ELb1ELb0ELi1024EEEvPT0_PfPT_S3_PiS6_iiiii,@function
_ZN5aiter43moe_smooth_per_token_scaled_quant_kernel_v1ItaLi128ELi8ELb1ELb0ELi1024EEEvPT0_PfPT_S3_PiS6_iiiii: ; @_ZN5aiter43moe_smooth_per_token_scaled_quant_kernel_v1ItaLi128ELi8ELb1ELb0ELi1024EEEvPT0_PfPT_S3_PiS6_iiiii
; %bb.0:
	s_clause 0x2
	s_load_b128 s[4:7], s[0:1], 0x30
	s_load_b64 s[2:3], s[0:1], 0x20
	s_load_b64 s[12:13], s[0:1], 0x10
	v_and_b32_e32 v12, 31, v0
	s_mov_b32 s20, s15
	s_mov_b32 s11, -1
	s_delay_alu instid0(VALU_DEP_1)
	v_lshlrev_b32_e32 v1, 2, v12
	s_waitcnt lgkmcnt(0)
	s_mul_i32 s8, s15, s5
	s_mul_hi_i32 s15, s7, s15
	s_ashr_i32 s9, s8, 31
	s_mul_i32 s14, s7, s20
	s_lshl_b64 s[8:9], s[8:9], 2
	s_delay_alu instid0(SALU_CYCLE_1)
	s_add_u32 s8, s2, s8
	s_addc_u32 s2, s3, s9
	s_lshl_b32 s10, s5, 2
	s_and_b32 s9, s2, 0xffff
	s_lshl_b64 s[2:3], s[14:15], 1
	buffer_load_b32 v5, v1, s[8:11], 0 offen
	s_add_u32 s8, s12, s2
	v_lshlrev_b32_e32 v1, 4, v0
	s_addc_u32 s2, s13, s3
	s_lshl_b32 s10, s6, 1
	s_and_b32 s9, s2, 0xffff
	s_mov_b32 s3, 0
	buffer_load_b128 v[1:4], v1, s[8:11], 0 offen
	s_cmp_lt_i32 s5, 1
	s_waitcnt vmcnt(0) expcnt(1) lgkmcnt(55)
	s_barrier
	buffer_gl0_inv
	s_cbranch_scc1 .LBB181_11
; %bb.1:
	s_clause 0x1
	s_load_b128 s[12:15], s[0:1], 0x0
	s_load_b64 s[22:23], s[0:1], 0x18
	v_and_b32_e32 v6, 0xffff, v1
	v_lshrrev_b32_e32 v7, 16, v1
	v_and_b32_e32 v8, 0xffff, v2
	s_add_i32 s1, s6, 7
	v_lshrrev_b32_e32 v2, 16, v2
	s_ashr_i32 s2, s1, 31
	v_cvt_f32_u32_e32 v1, v6
	s_lshr_b32 s2, s2, 29
	v_cvt_f32_u32_e32 v6, v7
	v_cvt_f32_u32_e32 v7, v8
	v_and_b32_e32 v8, 0xffff, v3
	v_lshrrev_b32_e32 v9, 16, v3
	v_and_b32_e32 v10, 0xffff, v4
	v_lshrrev_b32_e32 v11, 16, v4
	v_lshrrev_b32_e32 v13, 3, v0
	v_and_b32_e32 v14, 3, v0
	s_add_i32 s7, s6, 3
	s_add_i32 s1, s1, s2
	s_ashr_i32 s2, s7, 31
	s_ashr_i32 s1, s1, 3
	s_lshr_b32 s2, s2, 30
	v_cvt_f32_u32_e32 v2, v2
	v_cvt_f32_u32_e32 v3, v8
	;; [unrolled: 1-line block ×5, first 2 shown]
	v_lshlrev_b32_e32 v10, 3, v0
	v_lshlrev_b32_e32 v11, 5, v0
	v_cmp_eq_u32_e32 vcc_lo, 31, v12
	v_and_b32_e32 v12, 0x7c, v13
	v_lshlrev_b32_e32 v13, 2, v14
	v_cmp_eq_u32_e64 s0, 0, v0
	v_cmp_gt_u32_e64 s1, s1, v0
	v_mov_b32_e32 v0, 0
	s_add_i32 s7, s7, s2
	s_lshl_b32 s10, s6, 2
	s_and_b32 s18, s7, -4
	s_mov_b32 s7, 0x76543210
	s_branch .LBB181_4
.LBB181_2:                              ;   in Loop: Header=BB181_4 Depth=1
	s_or_b32 exec_lo, exec_lo, s2
.LBB181_3:                              ;   in Loop: Header=BB181_4 Depth=1
	s_add_i32 s3, s3, 1
	s_add_i32 s20, s20, s4
	s_cmp_eq_u32 s5, s3
	s_cbranch_scc1 .LBB181_11
.LBB181_4:                              ; =>This Inner Loop Header: Depth=1
	v_readlane_b32 s2, v5, s3
	s_delay_alu instid0(VALU_DEP_1)
	s_cmp_lt_i32 s2, 0
	s_cbranch_scc1 .LBB181_3
; %bb.5:                                ;   in Loop: Header=BB181_4 Depth=1
	s_mul_i32 s8, s2, s6
	s_delay_alu instid0(SALU_CYCLE_1) | instskip(NEXT) | instid1(SALU_CYCLE_1)
	s_ashr_i32 s9, s8, 31
	s_lshl_b64 s[8:9], s[8:9], 2
	s_waitcnt lgkmcnt(0)
	s_add_u32 s8, s22, s8
	s_addc_u32 s2, s23, s9
	s_delay_alu instid0(SALU_CYCLE_1)
	s_and_b32 s9, s2, 0xffff
	s_clause 0x1
	buffer_load_b128 v[14:17], v11, s[8:11], 0 offen
	buffer_load_b128 v[22:25], v11, s[8:11], 16 offen
	s_waitcnt vmcnt(1)
	v_dual_mul_f32 v20, v14, v1 :: v_dual_mul_f32 v21, v15, v6
	v_dual_mul_f32 v14, v16, v7 :: v_dual_mul_f32 v15, v17, v2
	s_waitcnt vmcnt(0)
	v_dual_mul_f32 v16, v22, v3 :: v_dual_mul_f32 v17, v23, v4
	s_delay_alu instid0(VALU_DEP_3) | instskip(SKIP_1) | instid1(VALU_DEP_2)
	v_max3_f32 v18, |v20|, 0x2edbe6ff, |v21|
	v_mul_f32_e32 v19, v25, v9
	v_max3_f32 v22, v18, |v14|, |v15|
	v_mul_f32_e32 v18, v24, v8
	s_delay_alu instid0(VALU_DEP_2) | instskip(NEXT) | instid1(VALU_DEP_1)
	v_max3_f32 v22, v22, |v16|, |v17|
	v_max3_f32 v22, v22, |v18|, |v19|
	s_delay_alu instid0(VALU_DEP_1) | instskip(NEXT) | instid1(VALU_DEP_1)
	v_mov_b32_dpp v23, v22 quad_perm:[1,0,3,2] row_mask:0xf bank_mask:0xf
	v_cmp_gt_f32_e64 s2, v22, v23
	s_delay_alu instid0(VALU_DEP_1) | instskip(NEXT) | instid1(VALU_DEP_1)
	v_cndmask_b32_e64 v22, v23, v22, s2
	v_mov_b32_dpp v23, v22 quad_perm:[2,3,0,1] row_mask:0xf bank_mask:0xf
	s_delay_alu instid0(VALU_DEP_1) | instskip(NEXT) | instid1(VALU_DEP_1)
	v_cmp_gt_f32_e64 s2, v22, v23
	v_cndmask_b32_e64 v22, v23, v22, s2
	s_delay_alu instid0(VALU_DEP_1) | instskip(NEXT) | instid1(VALU_DEP_1)
	v_mov_b32_dpp v23, v22 row_xmask:7 row_mask:0xf bank_mask:0xf
	v_cmp_gt_f32_e64 s2, v22, v23
	s_delay_alu instid0(VALU_DEP_1) | instskip(NEXT) | instid1(VALU_DEP_1)
	v_cndmask_b32_e64 v22, v23, v22, s2
	v_mov_b32_dpp v23, v22 row_xmask:15 row_mask:0xf bank_mask:0xf
	s_delay_alu instid0(VALU_DEP_1)
	v_cmp_gt_f32_e64 s2, v22, v23
	s_and_saveexec_b32 s8, vcc_lo
	s_cbranch_execz .LBB181_7
; %bb.6:                                ;   in Loop: Header=BB181_4 Depth=1
	s_delay_alu instid0(VALU_DEP_1) | instskip(NEXT) | instid1(VALU_DEP_1)
	v_cndmask_b32_e64 v22, v23, v22, s2
	v_permlanex16_b32 v23, v22, s7, 0xfedcba98 op_sel:[1,1]
	s_delay_alu instid0(VALU_DEP_1) | instskip(NEXT) | instid1(VALU_DEP_1)
	v_cmp_gt_f32_e64 s2, v22, v23
	v_cndmask_b32_e64 v22, v23, v22, s2
	ds_store_b32 v12, v22
.LBB181_7:                              ;   in Loop: Header=BB181_4 Depth=1
	s_or_b32 exec_lo, exec_lo, s8
	s_waitcnt lgkmcnt(0)
	s_waitcnt_vscnt null, 0x0
	s_barrier
	buffer_gl0_inv
	ds_load_b32 v22, v13
	s_waitcnt lgkmcnt(0)
	v_mov_b32_dpp v23, v22 quad_perm:[1,0,3,2] row_mask:0xf bank_mask:0xf
	s_delay_alu instid0(VALU_DEP_1) | instskip(NEXT) | instid1(VALU_DEP_1)
	v_cmp_gt_f32_e64 s2, v22, v23
	v_cndmask_b32_e64 v22, v23, v22, s2
	s_delay_alu instid0(VALU_DEP_1) | instskip(NEXT) | instid1(VALU_DEP_1)
	v_mov_b32_dpp v23, v22 quad_perm:[2,3,0,1] row_mask:0xf bank_mask:0xf
	v_cmp_gt_f32_e64 s2, v22, v23
	s_delay_alu instid0(VALU_DEP_1) | instskip(NEXT) | instid1(VALU_DEP_1)
	v_cndmask_b32_e64 v22, v23, v22, s2
	v_mul_f32_e32 v22, 0x3c010204, v22
	s_and_saveexec_b32 s2, s0
	s_cbranch_execz .LBB181_9
; %bb.8:                                ;   in Loop: Header=BB181_4 Depth=1
	s_ashr_i32 s21, s20, 31
	s_delay_alu instid0(SALU_CYCLE_1) | instskip(NEXT) | instid1(SALU_CYCLE_1)
	s_lshl_b64 s[8:9], s[20:21], 2
	s_add_u32 s8, s14, s8
	s_addc_u32 s9, s15, s9
	global_store_b32 v0, v22, s[8:9]
.LBB181_9:                              ;   in Loop: Header=BB181_4 Depth=1
	s_or_b32 exec_lo, exec_lo, s2
	s_and_saveexec_b32 s2, s1
	s_cbranch_execz .LBB181_2
; %bb.10:                               ;   in Loop: Header=BB181_4 Depth=1
	v_rcp_f32_e32 v22, v22
	s_mul_i32 s8, s20, s6
	s_mul_hi_i32 s9, s20, s6
	s_add_u32 s16, s12, s8
	s_addc_u32 s8, s13, s9
	s_mov_b32 s19, s11
	s_and_b32 s17, s8, 0xffff
	s_waitcnt_depctr 0xfff
	v_mul_f32_e32 v16, v16, v22
	v_mul_f32_e32 v17, v17, v22
	;; [unrolled: 1-line block ×5, first 2 shown]
	v_cvt_i32_f32_e32 v16, v16
	v_cvt_i32_f32_e32 v17, v17
	v_mul_f32_e32 v21, v21, v22
	v_cvt_i32_f32_e32 v14, v14
	v_cvt_i32_f32_e32 v15, v15
	v_and_b32_e32 v16, 0xff, v16
	v_lshlrev_b16 v17, 8, v17
	v_mul_f32_e32 v19, v19, v22
	v_and_b32_e32 v14, 0xff, v14
	v_lshlrev_b16 v15, 8, v15
	v_cvt_i32_f32_e32 v21, v21
	v_or_b32_e32 v16, v16, v17
	v_mul_f32_e32 v20, v20, v22
	v_cvt_i32_f32_e32 v19, v19
	v_cvt_i32_f32_e32 v18, v18
	v_or_b32_e32 v14, v14, v15
	v_and_b32_e32 v15, 0xffff, v16
	v_cvt_i32_f32_e32 v20, v20
	v_lshlrev_b16 v19, 8, v19
	v_and_b32_e32 v18, 0xff, v18
	v_lshlrev_b16 v21, 8, v21
	v_lshlrev_b32_e32 v14, 16, v14
	v_and_b32_e32 v20, 0xff, v20
	s_delay_alu instid0(VALU_DEP_4) | instskip(NEXT) | instid1(VALU_DEP_2)
	v_or_b32_e32 v17, v18, v19
	v_or_b32_e32 v18, v20, v21
	s_delay_alu instid0(VALU_DEP_2) | instskip(NEXT) | instid1(VALU_DEP_2)
	v_lshlrev_b32_e32 v16, 16, v17
	v_and_b32_e32 v17, 0xffff, v18
	s_delay_alu instid0(VALU_DEP_2) | instskip(NEXT) | instid1(VALU_DEP_2)
	v_or_b32_e32 v15, v15, v16
	v_or_b32_e32 v14, v17, v14
	buffer_store_b64 v[14:15], v10, s[16:19], 0 offen
	;;#ASMSTART
	s_nop 0
	;;#ASMEND
	s_branch .LBB181_2
.LBB181_11:
	s_nop 0
	s_sendmsg sendmsg(MSG_DEALLOC_VGPRS)
	s_endpgm
	.section	.rodata,"a",@progbits
	.p2align	6, 0x0
	.amdhsa_kernel _ZN5aiter43moe_smooth_per_token_scaled_quant_kernel_v1ItaLi128ELi8ELb1ELb0ELi1024EEEvPT0_PfPT_S3_PiS6_iiiii
		.amdhsa_group_segment_fixed_size 16
		.amdhsa_private_segment_fixed_size 0
		.amdhsa_kernarg_size 68
		.amdhsa_user_sgpr_count 15
		.amdhsa_user_sgpr_dispatch_ptr 0
		.amdhsa_user_sgpr_queue_ptr 0
		.amdhsa_user_sgpr_kernarg_segment_ptr 1
		.amdhsa_user_sgpr_dispatch_id 0
		.amdhsa_user_sgpr_private_segment_size 0
		.amdhsa_wavefront_size32 1
		.amdhsa_uses_dynamic_stack 0
		.amdhsa_enable_private_segment 0
		.amdhsa_system_sgpr_workgroup_id_x 1
		.amdhsa_system_sgpr_workgroup_id_y 0
		.amdhsa_system_sgpr_workgroup_id_z 0
		.amdhsa_system_sgpr_workgroup_info 0
		.amdhsa_system_vgpr_workitem_id 0
		.amdhsa_next_free_vgpr 26
		.amdhsa_next_free_sgpr 24
		.amdhsa_reserve_vcc 1
		.amdhsa_float_round_mode_32 0
		.amdhsa_float_round_mode_16_64 0
		.amdhsa_float_denorm_mode_32 3
		.amdhsa_float_denorm_mode_16_64 3
		.amdhsa_dx10_clamp 1
		.amdhsa_ieee_mode 1
		.amdhsa_fp16_overflow 0
		.amdhsa_workgroup_processor_mode 1
		.amdhsa_memory_ordered 1
		.amdhsa_forward_progress 0
		.amdhsa_shared_vgpr_count 0
		.amdhsa_exception_fp_ieee_invalid_op 0
		.amdhsa_exception_fp_denorm_src 0
		.amdhsa_exception_fp_ieee_div_zero 0
		.amdhsa_exception_fp_ieee_overflow 0
		.amdhsa_exception_fp_ieee_underflow 0
		.amdhsa_exception_fp_ieee_inexact 0
		.amdhsa_exception_int_div_zero 0
	.end_amdhsa_kernel
	.section	.text._ZN5aiter43moe_smooth_per_token_scaled_quant_kernel_v1ItaLi128ELi8ELb1ELb0ELi1024EEEvPT0_PfPT_S3_PiS6_iiiii,"axG",@progbits,_ZN5aiter43moe_smooth_per_token_scaled_quant_kernel_v1ItaLi128ELi8ELb1ELb0ELi1024EEEvPT0_PfPT_S3_PiS6_iiiii,comdat
.Lfunc_end181:
	.size	_ZN5aiter43moe_smooth_per_token_scaled_quant_kernel_v1ItaLi128ELi8ELb1ELb0ELi1024EEEvPT0_PfPT_S3_PiS6_iiiii, .Lfunc_end181-_ZN5aiter43moe_smooth_per_token_scaled_quant_kernel_v1ItaLi128ELi8ELb1ELb0ELi1024EEEvPT0_PfPT_S3_PiS6_iiiii
                                        ; -- End function
	.section	.AMDGPU.csdata,"",@progbits
; Kernel info:
; codeLenInByte = 1152
; NumSgprs: 26
; NumVgprs: 26
; ScratchSize: 0
; MemoryBound: 0
; FloatMode: 240
; IeeeMode: 1
; LDSByteSize: 16 bytes/workgroup (compile time only)
; SGPRBlocks: 3
; VGPRBlocks: 3
; NumSGPRsForWavesPerEU: 26
; NumVGPRsForWavesPerEU: 26
; Occupancy: 16
; WaveLimiterHint : 0
; COMPUTE_PGM_RSRC2:SCRATCH_EN: 0
; COMPUTE_PGM_RSRC2:USER_SGPR: 15
; COMPUTE_PGM_RSRC2:TRAP_HANDLER: 0
; COMPUTE_PGM_RSRC2:TGID_X_EN: 1
; COMPUTE_PGM_RSRC2:TGID_Y_EN: 0
; COMPUTE_PGM_RSRC2:TGID_Z_EN: 0
; COMPUTE_PGM_RSRC2:TIDIG_COMP_CNT: 0
	.section	.text._ZN5aiter43moe_smooth_per_token_scaled_quant_kernel_v1IDF16_aLi128ELi8ELb0ELb1ELi1024EEEvPT0_PfPT_S3_PiS6_iiiii,"axG",@progbits,_ZN5aiter43moe_smooth_per_token_scaled_quant_kernel_v1IDF16_aLi128ELi8ELb0ELb1ELi1024EEEvPT0_PfPT_S3_PiS6_iiiii,comdat
	.protected	_ZN5aiter43moe_smooth_per_token_scaled_quant_kernel_v1IDF16_aLi128ELi8ELb0ELb1ELi1024EEEvPT0_PfPT_S3_PiS6_iiiii ; -- Begin function _ZN5aiter43moe_smooth_per_token_scaled_quant_kernel_v1IDF16_aLi128ELi8ELb0ELb1ELi1024EEEvPT0_PfPT_S3_PiS6_iiiii
	.globl	_ZN5aiter43moe_smooth_per_token_scaled_quant_kernel_v1IDF16_aLi128ELi8ELb0ELb1ELi1024EEEvPT0_PfPT_S3_PiS6_iiiii
	.p2align	8
	.type	_ZN5aiter43moe_smooth_per_token_scaled_quant_kernel_v1IDF16_aLi128ELi8ELb0ELb1ELi1024EEEvPT0_PfPT_S3_PiS6_iiiii,@function
_ZN5aiter43moe_smooth_per_token_scaled_quant_kernel_v1IDF16_aLi128ELi8ELb0ELb1ELi1024EEEvPT0_PfPT_S3_PiS6_iiiii: ; @_ZN5aiter43moe_smooth_per_token_scaled_quant_kernel_v1IDF16_aLi128ELi8ELb0ELb1ELi1024EEEvPT0_PfPT_S3_PiS6_iiiii
; %bb.0:
	s_clause 0x2
	s_load_b128 s[4:7], s[0:1], 0x34
	s_load_b128 s[8:11], s[0:1], 0x20
	s_load_b64 s[2:3], s[0:1], 0x10
	v_and_b32_e32 v12, 31, v0
	v_lshlrev_b32_e32 v6, 2, v0
	s_mov_b32 s19, -1
	s_delay_alu instid0(VALU_DEP_2)
	v_lshlrev_b32_e32 v1, 2, v12
	s_waitcnt lgkmcnt(0)
	s_mul_i32 s20, s15, s4
	s_lshl_b32 s18, s7, 2
	s_ashr_i32 s21, s20, 31
	s_and_b32 s17, s11, 0xffff
	s_mov_b32 s16, s10
	s_lshl_b64 s[10:11], s[20:21], 2
	s_clause 0x7
	buffer_load_b32 v7, v6, s[16:19], 0 offen
	buffer_load_b32 v8, v6, s[16:19], 0 offen offset:512
	buffer_load_b32 v9, v6, s[16:19], 0 offen offset:1024
	;; [unrolled: 1-line block ×7, first 2 shown]
	s_add_u32 s16, s8, s10
	s_addc_u32 s8, s9, s11
	s_lshl_b32 s18, s4, 2
	s_and_b32 s17, s8, 0xffff
	s_mul_hi_i32 s9, s6, s15
	s_mul_i32 s8, s6, s15
	buffer_load_b32 v5, v1, s[16:19], 0 offen
	s_lshl_b64 s[8:9], s[8:9], 1
	v_lshlrev_b32_e32 v1, 4, v0
	s_add_u32 s16, s2, s8
	s_addc_u32 s2, s3, s9
	s_lshl_b32 s18, s5, 1
	s_and_b32 s17, s2, 0xffff
	v_cmp_gt_i32_e32 vcc_lo, s4, v12
	buffer_load_b128 v[1:4], v1, s[16:19], 0 offen
	s_waitcnt vmcnt(8)
	ds_store_2addr_stride64_b32 v6, v7, v8 offset1:2
	s_waitcnt vmcnt(6)
	ds_store_2addr_stride64_b32 v6, v9, v10 offset0:4 offset1:6
	s_waitcnt vmcnt(4)
	ds_store_2addr_stride64_b32 v6, v11, v13 offset0:8 offset1:10
	;; [unrolled: 2-line block ×3, first 2 shown]
	s_waitcnt vmcnt(0) expcnt(1) lgkmcnt(0)
	s_barrier
	buffer_gl0_inv
	v_cmp_gt_i32_e64 s2, s7, v5
	v_cmp_lt_i32_e64 s3, -1, v5
	s_delay_alu instid0(VALU_DEP_2)
	s_and_b32 s2, vcc_lo, s2
	s_delay_alu instid0(VALU_DEP_1) | instid1(SALU_CYCLE_1)
	s_and_b32 s3, s2, s3
	s_delay_alu instid0(SALU_CYCLE_1)
	s_and_saveexec_b32 s2, s3
	s_cbranch_execz .LBB182_2
; %bb.1:
	v_lshlrev_b32_e32 v5, 2, v5
	ds_load_b32 v5, v5
.LBB182_2:
	s_or_b32 exec_lo, exec_lo, s2
	s_cmp_lt_i32 s4, 1
	s_cbranch_scc1 .LBB182_13
; %bb.3:
	s_clause 0x1
	s_load_b128 s[8:11], s[0:1], 0x0
	s_load_b64 s[6:7], s[0:1], 0x18
	s_add_i32 s1, s5, 7
	v_lshrrev_b32_e32 v6, 16, v1
	s_ashr_i32 s2, s1, 31
	v_lshrrev_b32_e32 v7, 16, v2
	s_lshr_b32 s2, s2, 29
	v_lshrrev_b32_e32 v8, 16, v3
	v_lshrrev_b32_e32 v9, 16, v4
	;; [unrolled: 1-line block ×3, first 2 shown]
	v_and_b32_e32 v14, 3, v0
	s_add_i32 s3, s5, 3
	s_add_i32 s1, s1, s2
	s_ashr_i32 s2, s3, 31
	s_movk_i32 s0, 0x7c
	s_ashr_i32 s1, s1, 3
	s_lshr_b32 s2, s2, 30
	v_cvt_f32_f16_e32 v1, v1
	v_cvt_f32_f16_e32 v6, v6
	;; [unrolled: 1-line block ×8, first 2 shown]
	v_lshlrev_b32_e32 v10, 3, v0
	v_lshlrev_b32_e32 v11, 5, v0
	v_cmp_eq_u32_e32 vcc_lo, 31, v12
	v_and_or_b32 v12, v13, s0, 0x1000
	v_lshl_or_b32 v13, v14, 2, 0x1000
	v_cmp_eq_u32_e64 s0, 0, v0
	v_cmp_gt_u32_e64 s1, s1, v0
	v_mov_b32_e32 v0, 0
	s_add_i32 s3, s3, s2
	s_mov_b32 s21, s5
	s_lshl_b32 s14, s5, 2
	s_mov_b32 s22, 0
	s_and_b32 s18, s3, -4
	s_mov_b32 s15, -1
	s_mov_b32 s5, 0x76543210
	s_branch .LBB182_6
.LBB182_4:                              ;   in Loop: Header=BB182_6 Depth=1
	s_or_b32 exec_lo, exec_lo, s3
.LBB182_5:                              ;   in Loop: Header=BB182_6 Depth=1
	s_add_i32 s22, s22, 1
	s_delay_alu instid0(SALU_CYCLE_1)
	s_cmp_eq_u32 s4, s22
	s_cbranch_scc1 .LBB182_13
.LBB182_6:                              ; =>This Inner Loop Header: Depth=1
	s_waitcnt lgkmcnt(0)
	v_readlane_b32 s2, v5, s22
	s_delay_alu instid0(VALU_DEP_1)
	s_cmp_lt_i32 s2, 0
	s_cbranch_scc1 .LBB182_5
; %bb.7:                                ;   in Loop: Header=BB182_6 Depth=1
	s_mul_i32 s2, s2, s21
	s_delay_alu instid0(SALU_CYCLE_1) | instskip(NEXT) | instid1(SALU_CYCLE_1)
	s_ashr_i32 s3, s2, 31
	s_lshl_b64 s[2:3], s[2:3], 2
	s_delay_alu instid0(SALU_CYCLE_1) | instskip(SKIP_1) | instid1(SALU_CYCLE_1)
	s_add_u32 s12, s6, s2
	s_addc_u32 s2, s7, s3
	s_and_b32 s13, s2, 0xffff
	s_clause 0x1
	buffer_load_b128 v[14:17], v11, s[12:15], 0 offen
	buffer_load_b128 v[22:25], v11, s[12:15], 16 offen
	s_waitcnt vmcnt(1)
	v_dual_mul_f32 v20, v14, v1 :: v_dual_mul_f32 v21, v15, v6
	v_dual_mul_f32 v14, v16, v2 :: v_dual_mul_f32 v15, v17, v7
	s_waitcnt vmcnt(0)
	v_dual_mul_f32 v16, v22, v3 :: v_dual_mul_f32 v17, v23, v8
	s_delay_alu instid0(VALU_DEP_3) | instskip(SKIP_1) | instid1(VALU_DEP_2)
	v_max3_f32 v18, |v20|, 0x2edbe6ff, |v21|
	v_mul_f32_e32 v19, v25, v9
	v_max3_f32 v22, v18, |v14|, |v15|
	v_mul_f32_e32 v18, v24, v4
	s_delay_alu instid0(VALU_DEP_2) | instskip(NEXT) | instid1(VALU_DEP_1)
	v_max3_f32 v22, v22, |v16|, |v17|
	v_max3_f32 v22, v22, |v18|, |v19|
	s_delay_alu instid0(VALU_DEP_1) | instskip(NEXT) | instid1(VALU_DEP_1)
	v_mov_b32_dpp v23, v22 quad_perm:[1,0,3,2] row_mask:0xf bank_mask:0xf
	v_cmp_gt_f32_e64 s2, v22, v23
	s_delay_alu instid0(VALU_DEP_1) | instskip(NEXT) | instid1(VALU_DEP_1)
	v_cndmask_b32_e64 v22, v23, v22, s2
	v_mov_b32_dpp v23, v22 quad_perm:[2,3,0,1] row_mask:0xf bank_mask:0xf
	s_delay_alu instid0(VALU_DEP_1) | instskip(NEXT) | instid1(VALU_DEP_1)
	v_cmp_gt_f32_e64 s2, v22, v23
	v_cndmask_b32_e64 v22, v23, v22, s2
	s_delay_alu instid0(VALU_DEP_1) | instskip(NEXT) | instid1(VALU_DEP_1)
	v_mov_b32_dpp v23, v22 row_xmask:7 row_mask:0xf bank_mask:0xf
	v_cmp_gt_f32_e64 s2, v22, v23
	s_delay_alu instid0(VALU_DEP_1) | instskip(NEXT) | instid1(VALU_DEP_1)
	v_cndmask_b32_e64 v22, v23, v22, s2
	v_mov_b32_dpp v23, v22 row_xmask:15 row_mask:0xf bank_mask:0xf
	s_delay_alu instid0(VALU_DEP_1)
	v_cmp_gt_f32_e64 s2, v22, v23
	s_and_saveexec_b32 s3, vcc_lo
	s_cbranch_execz .LBB182_9
; %bb.8:                                ;   in Loop: Header=BB182_6 Depth=1
	s_delay_alu instid0(VALU_DEP_1) | instskip(NEXT) | instid1(VALU_DEP_1)
	v_cndmask_b32_e64 v22, v23, v22, s2
	v_permlanex16_b32 v23, v22, s5, 0xfedcba98 op_sel:[1,1]
	s_delay_alu instid0(VALU_DEP_1) | instskip(NEXT) | instid1(VALU_DEP_1)
	v_cmp_gt_f32_e64 s2, v22, v23
	v_cndmask_b32_e64 v22, v23, v22, s2
	ds_store_b32 v12, v22
.LBB182_9:                              ;   in Loop: Header=BB182_6 Depth=1
	s_or_b32 exec_lo, exec_lo, s3
	s_waitcnt lgkmcnt(0)
	s_waitcnt_vscnt null, 0x0
	s_barrier
	buffer_gl0_inv
	ds_load_b32 v22, v13
	s_waitcnt lgkmcnt(0)
	v_mov_b32_dpp v23, v22 quad_perm:[1,0,3,2] row_mask:0xf bank_mask:0xf
	s_delay_alu instid0(VALU_DEP_1) | instskip(NEXT) | instid1(VALU_DEP_1)
	v_cmp_gt_f32_e64 s2, v22, v23
	v_cndmask_b32_e64 v22, v23, v22, s2
	s_delay_alu instid0(VALU_DEP_1) | instskip(NEXT) | instid1(VALU_DEP_1)
	v_mov_b32_dpp v23, v22 quad_perm:[2,3,0,1] row_mask:0xf bank_mask:0xf
	v_cmp_gt_f32_e64 s2, v22, v23
	s_delay_alu instid0(VALU_DEP_1) | instskip(SKIP_1) | instid1(VALU_DEP_1)
	v_cndmask_b32_e64 v22, v23, v22, s2
	s_add_i32 s2, s20, s22
	v_mul_f32_e32 v22, 0x3c010204, v22
	s_and_saveexec_b32 s12, s0
	s_cbranch_execz .LBB182_11
; %bb.10:                               ;   in Loop: Header=BB182_6 Depth=1
	s_ashr_i32 s3, s2, 31
	s_delay_alu instid0(SALU_CYCLE_1) | instskip(NEXT) | instid1(SALU_CYCLE_1)
	s_lshl_b64 s[16:17], s[2:3], 2
	s_add_u32 s16, s10, s16
	s_addc_u32 s17, s11, s17
	global_store_b32 v0, v22, s[16:17]
.LBB182_11:                             ;   in Loop: Header=BB182_6 Depth=1
	s_or_b32 exec_lo, exec_lo, s12
	s_and_saveexec_b32 s3, s1
	s_cbranch_execz .LBB182_4
; %bb.12:                               ;   in Loop: Header=BB182_6 Depth=1
	v_rcp_f32_e32 v22, v22
	s_mul_i32 s12, s2, s21
	s_mul_hi_i32 s2, s2, s21
	s_add_u32 s16, s8, s12
	s_addc_u32 s2, s9, s2
	s_mov_b32 s19, s15
	s_and_b32 s17, s2, 0xffff
	s_waitcnt_depctr 0xfff
	v_mul_f32_e32 v16, v16, v22
	v_mul_f32_e32 v17, v17, v22
	;; [unrolled: 1-line block ×5, first 2 shown]
	v_cvt_i32_f32_e32 v16, v16
	v_cvt_i32_f32_e32 v17, v17
	v_mul_f32_e32 v21, v21, v22
	v_cvt_i32_f32_e32 v14, v14
	v_cvt_i32_f32_e32 v15, v15
	v_and_b32_e32 v16, 0xff, v16
	v_lshlrev_b16 v17, 8, v17
	v_mul_f32_e32 v19, v19, v22
	v_and_b32_e32 v14, 0xff, v14
	v_lshlrev_b16 v15, 8, v15
	v_cvt_i32_f32_e32 v21, v21
	v_or_b32_e32 v16, v16, v17
	v_mul_f32_e32 v20, v20, v22
	v_cvt_i32_f32_e32 v19, v19
	v_cvt_i32_f32_e32 v18, v18
	v_or_b32_e32 v14, v14, v15
	v_and_b32_e32 v15, 0xffff, v16
	v_cvt_i32_f32_e32 v20, v20
	v_lshlrev_b16 v19, 8, v19
	v_and_b32_e32 v18, 0xff, v18
	v_lshlrev_b16 v21, 8, v21
	v_lshlrev_b32_e32 v14, 16, v14
	v_and_b32_e32 v20, 0xff, v20
	s_delay_alu instid0(VALU_DEP_4) | instskip(NEXT) | instid1(VALU_DEP_2)
	v_or_b32_e32 v17, v18, v19
	v_or_b32_e32 v18, v20, v21
	s_delay_alu instid0(VALU_DEP_2) | instskip(NEXT) | instid1(VALU_DEP_2)
	v_lshlrev_b32_e32 v16, 16, v17
	v_and_b32_e32 v17, 0xffff, v18
	s_delay_alu instid0(VALU_DEP_2) | instskip(NEXT) | instid1(VALU_DEP_2)
	v_or_b32_e32 v15, v15, v16
	v_or_b32_e32 v14, v17, v14
	buffer_store_b64 v[14:15], v10, s[16:19], 0 offen
	;;#ASMSTART
	s_nop 0
	;;#ASMEND
	s_branch .LBB182_4
.LBB182_13:
	s_nop 0
	s_sendmsg sendmsg(MSG_DEALLOC_VGPRS)
	s_endpgm
	.section	.rodata,"a",@progbits
	.p2align	6, 0x0
	.amdhsa_kernel _ZN5aiter43moe_smooth_per_token_scaled_quant_kernel_v1IDF16_aLi128ELi8ELb0ELb1ELi1024EEEvPT0_PfPT_S3_PiS6_iiiii
		.amdhsa_group_segment_fixed_size 4112
		.amdhsa_private_segment_fixed_size 0
		.amdhsa_kernarg_size 68
		.amdhsa_user_sgpr_count 15
		.amdhsa_user_sgpr_dispatch_ptr 0
		.amdhsa_user_sgpr_queue_ptr 0
		.amdhsa_user_sgpr_kernarg_segment_ptr 1
		.amdhsa_user_sgpr_dispatch_id 0
		.amdhsa_user_sgpr_private_segment_size 0
		.amdhsa_wavefront_size32 1
		.amdhsa_uses_dynamic_stack 0
		.amdhsa_enable_private_segment 0
		.amdhsa_system_sgpr_workgroup_id_x 1
		.amdhsa_system_sgpr_workgroup_id_y 0
		.amdhsa_system_sgpr_workgroup_id_z 0
		.amdhsa_system_sgpr_workgroup_info 0
		.amdhsa_system_vgpr_workitem_id 0
		.amdhsa_next_free_vgpr 26
		.amdhsa_next_free_sgpr 23
		.amdhsa_reserve_vcc 1
		.amdhsa_float_round_mode_32 0
		.amdhsa_float_round_mode_16_64 0
		.amdhsa_float_denorm_mode_32 3
		.amdhsa_float_denorm_mode_16_64 3
		.amdhsa_dx10_clamp 1
		.amdhsa_ieee_mode 1
		.amdhsa_fp16_overflow 0
		.amdhsa_workgroup_processor_mode 1
		.amdhsa_memory_ordered 1
		.amdhsa_forward_progress 0
		.amdhsa_shared_vgpr_count 0
		.amdhsa_exception_fp_ieee_invalid_op 0
		.amdhsa_exception_fp_denorm_src 0
		.amdhsa_exception_fp_ieee_div_zero 0
		.amdhsa_exception_fp_ieee_overflow 0
		.amdhsa_exception_fp_ieee_underflow 0
		.amdhsa_exception_fp_ieee_inexact 0
		.amdhsa_exception_int_div_zero 0
	.end_amdhsa_kernel
	.section	.text._ZN5aiter43moe_smooth_per_token_scaled_quant_kernel_v1IDF16_aLi128ELi8ELb0ELb1ELi1024EEEvPT0_PfPT_S3_PiS6_iiiii,"axG",@progbits,_ZN5aiter43moe_smooth_per_token_scaled_quant_kernel_v1IDF16_aLi128ELi8ELb0ELb1ELi1024EEEvPT0_PfPT_S3_PiS6_iiiii,comdat
.Lfunc_end182:
	.size	_ZN5aiter43moe_smooth_per_token_scaled_quant_kernel_v1IDF16_aLi128ELi8ELb0ELb1ELi1024EEEvPT0_PfPT_S3_PiS6_iiiii, .Lfunc_end182-_ZN5aiter43moe_smooth_per_token_scaled_quant_kernel_v1IDF16_aLi128ELi8ELb0ELb1ELi1024EEEvPT0_PfPT_S3_PiS6_iiiii
                                        ; -- End function
	.section	.AMDGPU.csdata,"",@progbits
; Kernel info:
; codeLenInByte = 1340
; NumSgprs: 25
; NumVgprs: 26
; ScratchSize: 0
; MemoryBound: 0
; FloatMode: 240
; IeeeMode: 1
; LDSByteSize: 4112 bytes/workgroup (compile time only)
; SGPRBlocks: 3
; VGPRBlocks: 3
; NumSGPRsForWavesPerEU: 25
; NumVGPRsForWavesPerEU: 26
; Occupancy: 16
; WaveLimiterHint : 0
; COMPUTE_PGM_RSRC2:SCRATCH_EN: 0
; COMPUTE_PGM_RSRC2:USER_SGPR: 15
; COMPUTE_PGM_RSRC2:TRAP_HANDLER: 0
; COMPUTE_PGM_RSRC2:TGID_X_EN: 1
; COMPUTE_PGM_RSRC2:TGID_Y_EN: 0
; COMPUTE_PGM_RSRC2:TGID_Z_EN: 0
; COMPUTE_PGM_RSRC2:TIDIG_COMP_CNT: 0
	.section	.text._ZN5aiter43moe_smooth_per_token_scaled_quant_kernel_v1ItaLi128ELi8ELb0ELb1ELi1024EEEvPT0_PfPT_S3_PiS6_iiiii,"axG",@progbits,_ZN5aiter43moe_smooth_per_token_scaled_quant_kernel_v1ItaLi128ELi8ELb0ELb1ELi1024EEEvPT0_PfPT_S3_PiS6_iiiii,comdat
	.protected	_ZN5aiter43moe_smooth_per_token_scaled_quant_kernel_v1ItaLi128ELi8ELb0ELb1ELi1024EEEvPT0_PfPT_S3_PiS6_iiiii ; -- Begin function _ZN5aiter43moe_smooth_per_token_scaled_quant_kernel_v1ItaLi128ELi8ELb0ELb1ELi1024EEEvPT0_PfPT_S3_PiS6_iiiii
	.globl	_ZN5aiter43moe_smooth_per_token_scaled_quant_kernel_v1ItaLi128ELi8ELb0ELb1ELi1024EEEvPT0_PfPT_S3_PiS6_iiiii
	.p2align	8
	.type	_ZN5aiter43moe_smooth_per_token_scaled_quant_kernel_v1ItaLi128ELi8ELb0ELb1ELi1024EEEvPT0_PfPT_S3_PiS6_iiiii,@function
_ZN5aiter43moe_smooth_per_token_scaled_quant_kernel_v1ItaLi128ELi8ELb0ELb1ELi1024EEEvPT0_PfPT_S3_PiS6_iiiii: ; @_ZN5aiter43moe_smooth_per_token_scaled_quant_kernel_v1ItaLi128ELi8ELb0ELb1ELi1024EEEvPT0_PfPT_S3_PiS6_iiiii
; %bb.0:
	s_clause 0x2
	s_load_b128 s[4:7], s[0:1], 0x34
	s_load_b128 s[8:11], s[0:1], 0x20
	s_load_b64 s[2:3], s[0:1], 0x10
	v_and_b32_e32 v12, 31, v0
	v_lshlrev_b32_e32 v6, 2, v0
	s_mov_b32 s19, -1
	s_delay_alu instid0(VALU_DEP_2)
	v_lshlrev_b32_e32 v1, 2, v12
	s_waitcnt lgkmcnt(0)
	s_mul_i32 s20, s15, s4
	s_lshl_b32 s18, s7, 2
	s_ashr_i32 s21, s20, 31
	s_and_b32 s17, s11, 0xffff
	s_mov_b32 s16, s10
	s_lshl_b64 s[10:11], s[20:21], 2
	s_clause 0x7
	buffer_load_b32 v7, v6, s[16:19], 0 offen
	buffer_load_b32 v8, v6, s[16:19], 0 offen offset:512
	buffer_load_b32 v9, v6, s[16:19], 0 offen offset:1024
	;; [unrolled: 1-line block ×7, first 2 shown]
	s_add_u32 s16, s8, s10
	s_addc_u32 s8, s9, s11
	s_lshl_b32 s18, s4, 2
	s_and_b32 s17, s8, 0xffff
	s_mul_hi_i32 s9, s6, s15
	s_mul_i32 s8, s6, s15
	buffer_load_b32 v5, v1, s[16:19], 0 offen
	s_lshl_b64 s[8:9], s[8:9], 1
	v_lshlrev_b32_e32 v1, 4, v0
	s_add_u32 s16, s2, s8
	s_addc_u32 s2, s3, s9
	s_lshl_b32 s18, s5, 1
	s_and_b32 s17, s2, 0xffff
	v_cmp_gt_i32_e32 vcc_lo, s4, v12
	buffer_load_b128 v[1:4], v1, s[16:19], 0 offen
	s_waitcnt vmcnt(8)
	ds_store_2addr_stride64_b32 v6, v7, v8 offset1:2
	s_waitcnt vmcnt(6)
	ds_store_2addr_stride64_b32 v6, v9, v10 offset0:4 offset1:6
	s_waitcnt vmcnt(4)
	ds_store_2addr_stride64_b32 v6, v11, v13 offset0:8 offset1:10
	;; [unrolled: 2-line block ×3, first 2 shown]
	s_waitcnt vmcnt(0) expcnt(1) lgkmcnt(0)
	s_barrier
	buffer_gl0_inv
	v_cmp_gt_i32_e64 s2, s7, v5
	v_cmp_lt_i32_e64 s3, -1, v5
	s_delay_alu instid0(VALU_DEP_2)
	s_and_b32 s2, vcc_lo, s2
	s_delay_alu instid0(VALU_DEP_1) | instid1(SALU_CYCLE_1)
	s_and_b32 s3, s2, s3
	s_delay_alu instid0(SALU_CYCLE_1)
	s_and_saveexec_b32 s2, s3
	s_cbranch_execz .LBB183_2
; %bb.1:
	v_lshlrev_b32_e32 v5, 2, v5
	ds_load_b32 v5, v5
.LBB183_2:
	s_or_b32 exec_lo, exec_lo, s2
	s_cmp_lt_i32 s4, 1
	s_cbranch_scc1 .LBB183_13
; %bb.3:
	s_clause 0x1
	s_load_b128 s[8:11], s[0:1], 0x0
	s_load_b64 s[6:7], s[0:1], 0x18
	v_and_b32_e32 v6, 0xffff, v1
	v_lshrrev_b32_e32 v7, 16, v1
	v_and_b32_e32 v8, 0xffff, v2
	s_add_i32 s1, s5, 7
	v_lshrrev_b32_e32 v2, 16, v2
	s_ashr_i32 s2, s1, 31
	v_cvt_f32_u32_e32 v1, v6
	s_lshr_b32 s2, s2, 29
	v_cvt_f32_u32_e32 v6, v7
	v_cvt_f32_u32_e32 v7, v8
	v_and_b32_e32 v8, 0xffff, v3
	v_lshrrev_b32_e32 v9, 16, v3
	v_and_b32_e32 v10, 0xffff, v4
	v_lshrrev_b32_e32 v11, 16, v4
	v_lshrrev_b32_e32 v13, 3, v0
	v_and_b32_e32 v14, 3, v0
	s_add_i32 s3, s5, 3
	s_add_i32 s1, s1, s2
	s_ashr_i32 s2, s3, 31
	s_movk_i32 s0, 0x7c
	s_ashr_i32 s1, s1, 3
	s_lshr_b32 s2, s2, 30
	v_cvt_f32_u32_e32 v2, v2
	v_cvt_f32_u32_e32 v3, v8
	;; [unrolled: 1-line block ×5, first 2 shown]
	v_lshlrev_b32_e32 v10, 3, v0
	v_lshlrev_b32_e32 v11, 5, v0
	v_cmp_eq_u32_e32 vcc_lo, 31, v12
	v_and_or_b32 v12, v13, s0, 0x1000
	v_lshl_or_b32 v13, v14, 2, 0x1000
	v_cmp_eq_u32_e64 s0, 0, v0
	v_cmp_gt_u32_e64 s1, s1, v0
	v_mov_b32_e32 v0, 0
	s_add_i32 s3, s3, s2
	s_mov_b32 s21, s5
	s_lshl_b32 s14, s5, 2
	s_mov_b32 s22, 0
	s_and_b32 s18, s3, -4
	s_mov_b32 s15, -1
	s_mov_b32 s5, 0x76543210
	s_branch .LBB183_6
.LBB183_4:                              ;   in Loop: Header=BB183_6 Depth=1
	s_or_b32 exec_lo, exec_lo, s3
.LBB183_5:                              ;   in Loop: Header=BB183_6 Depth=1
	s_add_i32 s22, s22, 1
	s_delay_alu instid0(SALU_CYCLE_1)
	s_cmp_eq_u32 s4, s22
	s_cbranch_scc1 .LBB183_13
.LBB183_6:                              ; =>This Inner Loop Header: Depth=1
	s_waitcnt lgkmcnt(0)
	v_readlane_b32 s2, v5, s22
	s_delay_alu instid0(VALU_DEP_1)
	s_cmp_lt_i32 s2, 0
	s_cbranch_scc1 .LBB183_5
; %bb.7:                                ;   in Loop: Header=BB183_6 Depth=1
	s_mul_i32 s2, s2, s21
	s_delay_alu instid0(SALU_CYCLE_1) | instskip(NEXT) | instid1(SALU_CYCLE_1)
	s_ashr_i32 s3, s2, 31
	s_lshl_b64 s[2:3], s[2:3], 2
	s_delay_alu instid0(SALU_CYCLE_1) | instskip(SKIP_1) | instid1(SALU_CYCLE_1)
	s_add_u32 s12, s6, s2
	s_addc_u32 s2, s7, s3
	s_and_b32 s13, s2, 0xffff
	s_clause 0x1
	buffer_load_b128 v[14:17], v11, s[12:15], 0 offen
	buffer_load_b128 v[22:25], v11, s[12:15], 16 offen
	s_waitcnt vmcnt(1)
	v_dual_mul_f32 v20, v14, v1 :: v_dual_mul_f32 v21, v15, v6
	v_dual_mul_f32 v14, v16, v7 :: v_dual_mul_f32 v15, v17, v2
	s_waitcnt vmcnt(0)
	v_dual_mul_f32 v16, v22, v3 :: v_dual_mul_f32 v17, v23, v4
	s_delay_alu instid0(VALU_DEP_3) | instskip(SKIP_1) | instid1(VALU_DEP_2)
	v_max3_f32 v18, |v20|, 0x2edbe6ff, |v21|
	v_mul_f32_e32 v19, v25, v9
	v_max3_f32 v22, v18, |v14|, |v15|
	v_mul_f32_e32 v18, v24, v8
	s_delay_alu instid0(VALU_DEP_2) | instskip(NEXT) | instid1(VALU_DEP_1)
	v_max3_f32 v22, v22, |v16|, |v17|
	v_max3_f32 v22, v22, |v18|, |v19|
	s_delay_alu instid0(VALU_DEP_1) | instskip(NEXT) | instid1(VALU_DEP_1)
	v_mov_b32_dpp v23, v22 quad_perm:[1,0,3,2] row_mask:0xf bank_mask:0xf
	v_cmp_gt_f32_e64 s2, v22, v23
	s_delay_alu instid0(VALU_DEP_1) | instskip(NEXT) | instid1(VALU_DEP_1)
	v_cndmask_b32_e64 v22, v23, v22, s2
	v_mov_b32_dpp v23, v22 quad_perm:[2,3,0,1] row_mask:0xf bank_mask:0xf
	s_delay_alu instid0(VALU_DEP_1) | instskip(NEXT) | instid1(VALU_DEP_1)
	v_cmp_gt_f32_e64 s2, v22, v23
	v_cndmask_b32_e64 v22, v23, v22, s2
	s_delay_alu instid0(VALU_DEP_1) | instskip(NEXT) | instid1(VALU_DEP_1)
	v_mov_b32_dpp v23, v22 row_xmask:7 row_mask:0xf bank_mask:0xf
	v_cmp_gt_f32_e64 s2, v22, v23
	s_delay_alu instid0(VALU_DEP_1) | instskip(NEXT) | instid1(VALU_DEP_1)
	v_cndmask_b32_e64 v22, v23, v22, s2
	v_mov_b32_dpp v23, v22 row_xmask:15 row_mask:0xf bank_mask:0xf
	s_delay_alu instid0(VALU_DEP_1)
	v_cmp_gt_f32_e64 s2, v22, v23
	s_and_saveexec_b32 s3, vcc_lo
	s_cbranch_execz .LBB183_9
; %bb.8:                                ;   in Loop: Header=BB183_6 Depth=1
	s_delay_alu instid0(VALU_DEP_1) | instskip(NEXT) | instid1(VALU_DEP_1)
	v_cndmask_b32_e64 v22, v23, v22, s2
	v_permlanex16_b32 v23, v22, s5, 0xfedcba98 op_sel:[1,1]
	s_delay_alu instid0(VALU_DEP_1) | instskip(NEXT) | instid1(VALU_DEP_1)
	v_cmp_gt_f32_e64 s2, v22, v23
	v_cndmask_b32_e64 v22, v23, v22, s2
	ds_store_b32 v12, v22
.LBB183_9:                              ;   in Loop: Header=BB183_6 Depth=1
	s_or_b32 exec_lo, exec_lo, s3
	s_waitcnt lgkmcnt(0)
	s_waitcnt_vscnt null, 0x0
	s_barrier
	buffer_gl0_inv
	ds_load_b32 v22, v13
	s_waitcnt lgkmcnt(0)
	v_mov_b32_dpp v23, v22 quad_perm:[1,0,3,2] row_mask:0xf bank_mask:0xf
	s_delay_alu instid0(VALU_DEP_1) | instskip(NEXT) | instid1(VALU_DEP_1)
	v_cmp_gt_f32_e64 s2, v22, v23
	v_cndmask_b32_e64 v22, v23, v22, s2
	s_delay_alu instid0(VALU_DEP_1) | instskip(NEXT) | instid1(VALU_DEP_1)
	v_mov_b32_dpp v23, v22 quad_perm:[2,3,0,1] row_mask:0xf bank_mask:0xf
	v_cmp_gt_f32_e64 s2, v22, v23
	s_delay_alu instid0(VALU_DEP_1) | instskip(SKIP_1) | instid1(VALU_DEP_1)
	v_cndmask_b32_e64 v22, v23, v22, s2
	s_add_i32 s2, s20, s22
	v_mul_f32_e32 v22, 0x3c010204, v22
	s_and_saveexec_b32 s12, s0
	s_cbranch_execz .LBB183_11
; %bb.10:                               ;   in Loop: Header=BB183_6 Depth=1
	s_ashr_i32 s3, s2, 31
	s_delay_alu instid0(SALU_CYCLE_1) | instskip(NEXT) | instid1(SALU_CYCLE_1)
	s_lshl_b64 s[16:17], s[2:3], 2
	s_add_u32 s16, s10, s16
	s_addc_u32 s17, s11, s17
	global_store_b32 v0, v22, s[16:17]
.LBB183_11:                             ;   in Loop: Header=BB183_6 Depth=1
	s_or_b32 exec_lo, exec_lo, s12
	s_and_saveexec_b32 s3, s1
	s_cbranch_execz .LBB183_4
; %bb.12:                               ;   in Loop: Header=BB183_6 Depth=1
	v_rcp_f32_e32 v22, v22
	s_mul_i32 s12, s2, s21
	s_mul_hi_i32 s2, s2, s21
	s_add_u32 s16, s8, s12
	s_addc_u32 s2, s9, s2
	s_mov_b32 s19, s15
	s_and_b32 s17, s2, 0xffff
	s_waitcnt_depctr 0xfff
	v_mul_f32_e32 v16, v16, v22
	v_mul_f32_e32 v17, v17, v22
	;; [unrolled: 1-line block ×5, first 2 shown]
	v_cvt_i32_f32_e32 v16, v16
	v_cvt_i32_f32_e32 v17, v17
	v_mul_f32_e32 v21, v21, v22
	v_cvt_i32_f32_e32 v14, v14
	v_cvt_i32_f32_e32 v15, v15
	v_and_b32_e32 v16, 0xff, v16
	v_lshlrev_b16 v17, 8, v17
	v_mul_f32_e32 v19, v19, v22
	v_and_b32_e32 v14, 0xff, v14
	v_lshlrev_b16 v15, 8, v15
	v_cvt_i32_f32_e32 v21, v21
	v_or_b32_e32 v16, v16, v17
	v_mul_f32_e32 v20, v20, v22
	v_cvt_i32_f32_e32 v19, v19
	v_cvt_i32_f32_e32 v18, v18
	v_or_b32_e32 v14, v14, v15
	v_and_b32_e32 v15, 0xffff, v16
	v_cvt_i32_f32_e32 v20, v20
	v_lshlrev_b16 v19, 8, v19
	v_and_b32_e32 v18, 0xff, v18
	v_lshlrev_b16 v21, 8, v21
	v_lshlrev_b32_e32 v14, 16, v14
	v_and_b32_e32 v20, 0xff, v20
	s_delay_alu instid0(VALU_DEP_4) | instskip(NEXT) | instid1(VALU_DEP_2)
	v_or_b32_e32 v17, v18, v19
	v_or_b32_e32 v18, v20, v21
	s_delay_alu instid0(VALU_DEP_2) | instskip(NEXT) | instid1(VALU_DEP_2)
	v_lshlrev_b32_e32 v16, 16, v17
	v_and_b32_e32 v17, 0xffff, v18
	s_delay_alu instid0(VALU_DEP_2) | instskip(NEXT) | instid1(VALU_DEP_2)
	v_or_b32_e32 v15, v15, v16
	v_or_b32_e32 v14, v17, v14
	buffer_store_b64 v[14:15], v10, s[16:19], 0 offen
	;;#ASMSTART
	s_nop 0
	;;#ASMEND
	s_branch .LBB183_4
.LBB183_13:
	s_nop 0
	s_sendmsg sendmsg(MSG_DEALLOC_VGPRS)
	s_endpgm
	.section	.rodata,"a",@progbits
	.p2align	6, 0x0
	.amdhsa_kernel _ZN5aiter43moe_smooth_per_token_scaled_quant_kernel_v1ItaLi128ELi8ELb0ELb1ELi1024EEEvPT0_PfPT_S3_PiS6_iiiii
		.amdhsa_group_segment_fixed_size 4112
		.amdhsa_private_segment_fixed_size 0
		.amdhsa_kernarg_size 68
		.amdhsa_user_sgpr_count 15
		.amdhsa_user_sgpr_dispatch_ptr 0
		.amdhsa_user_sgpr_queue_ptr 0
		.amdhsa_user_sgpr_kernarg_segment_ptr 1
		.amdhsa_user_sgpr_dispatch_id 0
		.amdhsa_user_sgpr_private_segment_size 0
		.amdhsa_wavefront_size32 1
		.amdhsa_uses_dynamic_stack 0
		.amdhsa_enable_private_segment 0
		.amdhsa_system_sgpr_workgroup_id_x 1
		.amdhsa_system_sgpr_workgroup_id_y 0
		.amdhsa_system_sgpr_workgroup_id_z 0
		.amdhsa_system_sgpr_workgroup_info 0
		.amdhsa_system_vgpr_workitem_id 0
		.amdhsa_next_free_vgpr 26
		.amdhsa_next_free_sgpr 23
		.amdhsa_reserve_vcc 1
		.amdhsa_float_round_mode_32 0
		.amdhsa_float_round_mode_16_64 0
		.amdhsa_float_denorm_mode_32 3
		.amdhsa_float_denorm_mode_16_64 3
		.amdhsa_dx10_clamp 1
		.amdhsa_ieee_mode 1
		.amdhsa_fp16_overflow 0
		.amdhsa_workgroup_processor_mode 1
		.amdhsa_memory_ordered 1
		.amdhsa_forward_progress 0
		.amdhsa_shared_vgpr_count 0
		.amdhsa_exception_fp_ieee_invalid_op 0
		.amdhsa_exception_fp_denorm_src 0
		.amdhsa_exception_fp_ieee_div_zero 0
		.amdhsa_exception_fp_ieee_overflow 0
		.amdhsa_exception_fp_ieee_underflow 0
		.amdhsa_exception_fp_ieee_inexact 0
		.amdhsa_exception_int_div_zero 0
	.end_amdhsa_kernel
	.section	.text._ZN5aiter43moe_smooth_per_token_scaled_quant_kernel_v1ItaLi128ELi8ELb0ELb1ELi1024EEEvPT0_PfPT_S3_PiS6_iiiii,"axG",@progbits,_ZN5aiter43moe_smooth_per_token_scaled_quant_kernel_v1ItaLi128ELi8ELb0ELb1ELi1024EEEvPT0_PfPT_S3_PiS6_iiiii,comdat
.Lfunc_end183:
	.size	_ZN5aiter43moe_smooth_per_token_scaled_quant_kernel_v1ItaLi128ELi8ELb0ELb1ELi1024EEEvPT0_PfPT_S3_PiS6_iiiii, .Lfunc_end183-_ZN5aiter43moe_smooth_per_token_scaled_quant_kernel_v1ItaLi128ELi8ELb0ELb1ELi1024EEEvPT0_PfPT_S3_PiS6_iiiii
                                        ; -- End function
	.section	.AMDGPU.csdata,"",@progbits
; Kernel info:
; codeLenInByte = 1372
; NumSgprs: 25
; NumVgprs: 26
; ScratchSize: 0
; MemoryBound: 0
; FloatMode: 240
; IeeeMode: 1
; LDSByteSize: 4112 bytes/workgroup (compile time only)
; SGPRBlocks: 3
; VGPRBlocks: 3
; NumSGPRsForWavesPerEU: 25
; NumVGPRsForWavesPerEU: 26
; Occupancy: 16
; WaveLimiterHint : 0
; COMPUTE_PGM_RSRC2:SCRATCH_EN: 0
; COMPUTE_PGM_RSRC2:USER_SGPR: 15
; COMPUTE_PGM_RSRC2:TRAP_HANDLER: 0
; COMPUTE_PGM_RSRC2:TGID_X_EN: 1
; COMPUTE_PGM_RSRC2:TGID_Y_EN: 0
; COMPUTE_PGM_RSRC2:TGID_Z_EN: 0
; COMPUTE_PGM_RSRC2:TIDIG_COMP_CNT: 0
	.section	.text._ZN5aiter43moe_smooth_per_token_scaled_quant_kernel_v1IDF16_aLi128ELi8ELb0ELb0ELi1024EEEvPT0_PfPT_S3_PiS6_iiiii,"axG",@progbits,_ZN5aiter43moe_smooth_per_token_scaled_quant_kernel_v1IDF16_aLi128ELi8ELb0ELb0ELi1024EEEvPT0_PfPT_S3_PiS6_iiiii,comdat
	.protected	_ZN5aiter43moe_smooth_per_token_scaled_quant_kernel_v1IDF16_aLi128ELi8ELb0ELb0ELi1024EEEvPT0_PfPT_S3_PiS6_iiiii ; -- Begin function _ZN5aiter43moe_smooth_per_token_scaled_quant_kernel_v1IDF16_aLi128ELi8ELb0ELb0ELi1024EEEvPT0_PfPT_S3_PiS6_iiiii
	.globl	_ZN5aiter43moe_smooth_per_token_scaled_quant_kernel_v1IDF16_aLi128ELi8ELb0ELb0ELi1024EEEvPT0_PfPT_S3_PiS6_iiiii
	.p2align	8
	.type	_ZN5aiter43moe_smooth_per_token_scaled_quant_kernel_v1IDF16_aLi128ELi8ELb0ELb0ELi1024EEEvPT0_PfPT_S3_PiS6_iiiii,@function
_ZN5aiter43moe_smooth_per_token_scaled_quant_kernel_v1IDF16_aLi128ELi8ELb0ELb0ELi1024EEEvPT0_PfPT_S3_PiS6_iiiii: ; @_ZN5aiter43moe_smooth_per_token_scaled_quant_kernel_v1IDF16_aLi128ELi8ELb0ELb0ELi1024EEEvPT0_PfPT_S3_PiS6_iiiii
; %bb.0:
	s_clause 0x2
	s_load_b128 s[4:7], s[0:1], 0x34
	s_load_b64 s[2:3], s[0:1], 0x20
	s_load_b64 s[12:13], s[0:1], 0x10
	v_and_b32_e32 v12, 31, v0
	s_mov_b32 s11, -1
	s_delay_alu instid0(VALU_DEP_1)
	v_lshlrev_b32_e32 v1, 2, v12
	s_waitcnt lgkmcnt(0)
	s_mul_i32 s20, s15, s4
	s_mul_hi_i32 s7, s6, s15
	s_ashr_i32 s21, s20, 31
	s_mul_i32 s6, s6, s15
	s_lshl_b64 s[8:9], s[20:21], 2
	s_mov_b32 s21, 0
	s_add_u32 s8, s2, s8
	s_addc_u32 s2, s3, s9
	s_lshl_b32 s10, s4, 2
	s_and_b32 s9, s2, 0xffff
	s_lshl_b64 s[2:3], s[6:7], 1
	buffer_load_b32 v5, v1, s[8:11], 0 offen
	s_add_u32 s8, s12, s2
	v_lshlrev_b32_e32 v1, 4, v0
	s_addc_u32 s2, s13, s3
	s_lshl_b32 s10, s5, 1
	s_and_b32 s9, s2, 0xffff
	s_cmp_lt_i32 s4, 1
	buffer_load_b128 v[1:4], v1, s[8:11], 0 offen
	s_waitcnt vmcnt(0) expcnt(1) lgkmcnt(55)
	s_barrier
	buffer_gl0_inv
	s_cbranch_scc1 .LBB184_11
; %bb.1:
	s_clause 0x1
	s_load_b128 s[12:15], s[0:1], 0x0
	s_load_b64 s[6:7], s[0:1], 0x18
	s_add_i32 s1, s5, 7
	v_lshrrev_b32_e32 v6, 16, v1
	s_ashr_i32 s2, s1, 31
	v_lshrrev_b32_e32 v7, 16, v2
	s_lshr_b32 s2, s2, 29
	v_lshrrev_b32_e32 v8, 16, v3
	v_lshrrev_b32_e32 v9, 16, v4
	;; [unrolled: 1-line block ×3, first 2 shown]
	v_and_b32_e32 v14, 3, v0
	s_add_i32 s3, s5, 3
	s_add_i32 s1, s1, s2
	s_ashr_i32 s2, s3, 31
	s_ashr_i32 s1, s1, 3
	s_lshr_b32 s2, s2, 30
	v_cvt_f32_f16_e32 v1, v1
	v_cvt_f32_f16_e32 v6, v6
	;; [unrolled: 1-line block ×8, first 2 shown]
	v_lshlrev_b32_e32 v10, 3, v0
	v_lshlrev_b32_e32 v11, 5, v0
	v_cmp_eq_u32_e32 vcc_lo, 31, v12
	v_and_b32_e32 v12, 0x7c, v13
	v_lshlrev_b32_e32 v13, 2, v14
	v_cmp_eq_u32_e64 s0, 0, v0
	v_cmp_gt_u32_e64 s1, s1, v0
	v_mov_b32_e32 v0, 0
	s_add_i32 s3, s3, s2
	s_mov_b32 s22, s5
	s_lshl_b32 s10, s5, 2
	s_and_b32 s18, s3, -4
	s_mov_b32 s5, 0x76543210
	s_branch .LBB184_4
.LBB184_2:                              ;   in Loop: Header=BB184_4 Depth=1
	s_or_b32 exec_lo, exec_lo, s3
.LBB184_3:                              ;   in Loop: Header=BB184_4 Depth=1
	s_add_i32 s21, s21, 1
	s_delay_alu instid0(SALU_CYCLE_1)
	s_cmp_eq_u32 s4, s21
	s_cbranch_scc1 .LBB184_11
.LBB184_4:                              ; =>This Inner Loop Header: Depth=1
	v_readlane_b32 s2, v5, s21
	s_delay_alu instid0(VALU_DEP_1)
	s_cmp_lt_i32 s2, 0
	s_cbranch_scc1 .LBB184_3
; %bb.5:                                ;   in Loop: Header=BB184_4 Depth=1
	s_mul_i32 s2, s2, s22
	s_delay_alu instid0(SALU_CYCLE_1) | instskip(NEXT) | instid1(SALU_CYCLE_1)
	s_ashr_i32 s3, s2, 31
	s_lshl_b64 s[2:3], s[2:3], 2
	s_waitcnt lgkmcnt(0)
	s_add_u32 s8, s6, s2
	s_addc_u32 s2, s7, s3
	s_delay_alu instid0(SALU_CYCLE_1)
	s_and_b32 s9, s2, 0xffff
	s_clause 0x1
	buffer_load_b128 v[14:17], v11, s[8:11], 0 offen
	buffer_load_b128 v[22:25], v11, s[8:11], 16 offen
	s_waitcnt vmcnt(1)
	v_dual_mul_f32 v20, v14, v1 :: v_dual_mul_f32 v21, v15, v6
	v_dual_mul_f32 v14, v16, v2 :: v_dual_mul_f32 v15, v17, v7
	s_waitcnt vmcnt(0)
	v_dual_mul_f32 v16, v22, v3 :: v_dual_mul_f32 v17, v23, v8
	s_delay_alu instid0(VALU_DEP_3) | instskip(SKIP_1) | instid1(VALU_DEP_2)
	v_max3_f32 v18, |v20|, 0x2edbe6ff, |v21|
	v_mul_f32_e32 v19, v25, v9
	v_max3_f32 v22, v18, |v14|, |v15|
	v_mul_f32_e32 v18, v24, v4
	s_delay_alu instid0(VALU_DEP_2) | instskip(NEXT) | instid1(VALU_DEP_1)
	v_max3_f32 v22, v22, |v16|, |v17|
	v_max3_f32 v22, v22, |v18|, |v19|
	s_delay_alu instid0(VALU_DEP_1) | instskip(NEXT) | instid1(VALU_DEP_1)
	v_mov_b32_dpp v23, v22 quad_perm:[1,0,3,2] row_mask:0xf bank_mask:0xf
	v_cmp_gt_f32_e64 s2, v22, v23
	s_delay_alu instid0(VALU_DEP_1) | instskip(NEXT) | instid1(VALU_DEP_1)
	v_cndmask_b32_e64 v22, v23, v22, s2
	v_mov_b32_dpp v23, v22 quad_perm:[2,3,0,1] row_mask:0xf bank_mask:0xf
	s_delay_alu instid0(VALU_DEP_1) | instskip(NEXT) | instid1(VALU_DEP_1)
	v_cmp_gt_f32_e64 s2, v22, v23
	v_cndmask_b32_e64 v22, v23, v22, s2
	s_delay_alu instid0(VALU_DEP_1) | instskip(NEXT) | instid1(VALU_DEP_1)
	v_mov_b32_dpp v23, v22 row_xmask:7 row_mask:0xf bank_mask:0xf
	v_cmp_gt_f32_e64 s2, v22, v23
	s_delay_alu instid0(VALU_DEP_1) | instskip(NEXT) | instid1(VALU_DEP_1)
	v_cndmask_b32_e64 v22, v23, v22, s2
	v_mov_b32_dpp v23, v22 row_xmask:15 row_mask:0xf bank_mask:0xf
	s_delay_alu instid0(VALU_DEP_1)
	v_cmp_gt_f32_e64 s2, v22, v23
	s_and_saveexec_b32 s3, vcc_lo
	s_cbranch_execz .LBB184_7
; %bb.6:                                ;   in Loop: Header=BB184_4 Depth=1
	s_delay_alu instid0(VALU_DEP_1) | instskip(NEXT) | instid1(VALU_DEP_1)
	v_cndmask_b32_e64 v22, v23, v22, s2
	v_permlanex16_b32 v23, v22, s5, 0xfedcba98 op_sel:[1,1]
	s_delay_alu instid0(VALU_DEP_1) | instskip(NEXT) | instid1(VALU_DEP_1)
	v_cmp_gt_f32_e64 s2, v22, v23
	v_cndmask_b32_e64 v22, v23, v22, s2
	ds_store_b32 v12, v22
.LBB184_7:                              ;   in Loop: Header=BB184_4 Depth=1
	s_or_b32 exec_lo, exec_lo, s3
	s_waitcnt lgkmcnt(0)
	s_waitcnt_vscnt null, 0x0
	s_barrier
	buffer_gl0_inv
	ds_load_b32 v22, v13
	s_waitcnt lgkmcnt(0)
	v_mov_b32_dpp v23, v22 quad_perm:[1,0,3,2] row_mask:0xf bank_mask:0xf
	s_delay_alu instid0(VALU_DEP_1) | instskip(NEXT) | instid1(VALU_DEP_1)
	v_cmp_gt_f32_e64 s2, v22, v23
	v_cndmask_b32_e64 v22, v23, v22, s2
	s_delay_alu instid0(VALU_DEP_1) | instskip(NEXT) | instid1(VALU_DEP_1)
	v_mov_b32_dpp v23, v22 quad_perm:[2,3,0,1] row_mask:0xf bank_mask:0xf
	v_cmp_gt_f32_e64 s2, v22, v23
	s_delay_alu instid0(VALU_DEP_1) | instskip(SKIP_1) | instid1(VALU_DEP_1)
	v_cndmask_b32_e64 v22, v23, v22, s2
	s_add_i32 s2, s20, s21
	v_mul_f32_e32 v22, 0x3c010204, v22
	s_and_saveexec_b32 s8, s0
	s_cbranch_execz .LBB184_9
; %bb.8:                                ;   in Loop: Header=BB184_4 Depth=1
	s_ashr_i32 s3, s2, 31
	s_delay_alu instid0(SALU_CYCLE_1) | instskip(NEXT) | instid1(SALU_CYCLE_1)
	s_lshl_b64 s[16:17], s[2:3], 2
	s_add_u32 s16, s14, s16
	s_addc_u32 s17, s15, s17
	global_store_b32 v0, v22, s[16:17]
.LBB184_9:                              ;   in Loop: Header=BB184_4 Depth=1
	s_or_b32 exec_lo, exec_lo, s8
	s_and_saveexec_b32 s3, s1
	s_cbranch_execz .LBB184_2
; %bb.10:                               ;   in Loop: Header=BB184_4 Depth=1
	v_rcp_f32_e32 v22, v22
	s_mul_i32 s8, s2, s22
	s_mul_hi_i32 s2, s2, s22
	s_add_u32 s16, s12, s8
	s_addc_u32 s2, s13, s2
	s_mov_b32 s19, s11
	s_and_b32 s17, s2, 0xffff
	s_waitcnt_depctr 0xfff
	v_mul_f32_e32 v16, v16, v22
	v_mul_f32_e32 v17, v17, v22
	;; [unrolled: 1-line block ×5, first 2 shown]
	v_cvt_i32_f32_e32 v16, v16
	v_cvt_i32_f32_e32 v17, v17
	v_mul_f32_e32 v21, v21, v22
	v_cvt_i32_f32_e32 v14, v14
	v_cvt_i32_f32_e32 v15, v15
	v_and_b32_e32 v16, 0xff, v16
	v_lshlrev_b16 v17, 8, v17
	v_mul_f32_e32 v19, v19, v22
	v_and_b32_e32 v14, 0xff, v14
	v_lshlrev_b16 v15, 8, v15
	v_cvt_i32_f32_e32 v21, v21
	v_or_b32_e32 v16, v16, v17
	v_mul_f32_e32 v20, v20, v22
	v_cvt_i32_f32_e32 v19, v19
	v_cvt_i32_f32_e32 v18, v18
	v_or_b32_e32 v14, v14, v15
	v_and_b32_e32 v15, 0xffff, v16
	v_cvt_i32_f32_e32 v20, v20
	v_lshlrev_b16 v19, 8, v19
	v_and_b32_e32 v18, 0xff, v18
	v_lshlrev_b16 v21, 8, v21
	v_lshlrev_b32_e32 v14, 16, v14
	v_and_b32_e32 v20, 0xff, v20
	s_delay_alu instid0(VALU_DEP_4) | instskip(NEXT) | instid1(VALU_DEP_2)
	v_or_b32_e32 v17, v18, v19
	v_or_b32_e32 v18, v20, v21
	s_delay_alu instid0(VALU_DEP_2) | instskip(NEXT) | instid1(VALU_DEP_2)
	v_lshlrev_b32_e32 v16, 16, v17
	v_and_b32_e32 v17, 0xffff, v18
	s_delay_alu instid0(VALU_DEP_2) | instskip(NEXT) | instid1(VALU_DEP_2)
	v_or_b32_e32 v15, v15, v16
	v_or_b32_e32 v14, v17, v14
	buffer_store_b64 v[14:15], v10, s[16:19], 0 offen
	;;#ASMSTART
	s_nop 0
	;;#ASMEND
	s_branch .LBB184_2
.LBB184_11:
	s_nop 0
	s_sendmsg sendmsg(MSG_DEALLOC_VGPRS)
	s_endpgm
	.section	.rodata,"a",@progbits
	.p2align	6, 0x0
	.amdhsa_kernel _ZN5aiter43moe_smooth_per_token_scaled_quant_kernel_v1IDF16_aLi128ELi8ELb0ELb0ELi1024EEEvPT0_PfPT_S3_PiS6_iiiii
		.amdhsa_group_segment_fixed_size 16
		.amdhsa_private_segment_fixed_size 0
		.amdhsa_kernarg_size 68
		.amdhsa_user_sgpr_count 15
		.amdhsa_user_sgpr_dispatch_ptr 0
		.amdhsa_user_sgpr_queue_ptr 0
		.amdhsa_user_sgpr_kernarg_segment_ptr 1
		.amdhsa_user_sgpr_dispatch_id 0
		.amdhsa_user_sgpr_private_segment_size 0
		.amdhsa_wavefront_size32 1
		.amdhsa_uses_dynamic_stack 0
		.amdhsa_enable_private_segment 0
		.amdhsa_system_sgpr_workgroup_id_x 1
		.amdhsa_system_sgpr_workgroup_id_y 0
		.amdhsa_system_sgpr_workgroup_id_z 0
		.amdhsa_system_sgpr_workgroup_info 0
		.amdhsa_system_vgpr_workitem_id 0
		.amdhsa_next_free_vgpr 26
		.amdhsa_next_free_sgpr 23
		.amdhsa_reserve_vcc 1
		.amdhsa_float_round_mode_32 0
		.amdhsa_float_round_mode_16_64 0
		.amdhsa_float_denorm_mode_32 3
		.amdhsa_float_denorm_mode_16_64 3
		.amdhsa_dx10_clamp 1
		.amdhsa_ieee_mode 1
		.amdhsa_fp16_overflow 0
		.amdhsa_workgroup_processor_mode 1
		.amdhsa_memory_ordered 1
		.amdhsa_forward_progress 0
		.amdhsa_shared_vgpr_count 0
		.amdhsa_exception_fp_ieee_invalid_op 0
		.amdhsa_exception_fp_denorm_src 0
		.amdhsa_exception_fp_ieee_div_zero 0
		.amdhsa_exception_fp_ieee_overflow 0
		.amdhsa_exception_fp_ieee_underflow 0
		.amdhsa_exception_fp_ieee_inexact 0
		.amdhsa_exception_int_div_zero 0
	.end_amdhsa_kernel
	.section	.text._ZN5aiter43moe_smooth_per_token_scaled_quant_kernel_v1IDF16_aLi128ELi8ELb0ELb0ELi1024EEEvPT0_PfPT_S3_PiS6_iiiii,"axG",@progbits,_ZN5aiter43moe_smooth_per_token_scaled_quant_kernel_v1IDF16_aLi128ELi8ELb0ELb0ELi1024EEEvPT0_PfPT_S3_PiS6_iiiii,comdat
.Lfunc_end184:
	.size	_ZN5aiter43moe_smooth_per_token_scaled_quant_kernel_v1IDF16_aLi128ELi8ELb0ELb0ELi1024EEEvPT0_PfPT_S3_PiS6_iiiii, .Lfunc_end184-_ZN5aiter43moe_smooth_per_token_scaled_quant_kernel_v1IDF16_aLi128ELi8ELb0ELb0ELi1024EEEvPT0_PfPT_S3_PiS6_iiiii
                                        ; -- End function
	.section	.AMDGPU.csdata,"",@progbits
; Kernel info:
; codeLenInByte = 1120
; NumSgprs: 25
; NumVgprs: 26
; ScratchSize: 0
; MemoryBound: 0
; FloatMode: 240
; IeeeMode: 1
; LDSByteSize: 16 bytes/workgroup (compile time only)
; SGPRBlocks: 3
; VGPRBlocks: 3
; NumSGPRsForWavesPerEU: 25
; NumVGPRsForWavesPerEU: 26
; Occupancy: 16
; WaveLimiterHint : 0
; COMPUTE_PGM_RSRC2:SCRATCH_EN: 0
; COMPUTE_PGM_RSRC2:USER_SGPR: 15
; COMPUTE_PGM_RSRC2:TRAP_HANDLER: 0
; COMPUTE_PGM_RSRC2:TGID_X_EN: 1
; COMPUTE_PGM_RSRC2:TGID_Y_EN: 0
; COMPUTE_PGM_RSRC2:TGID_Z_EN: 0
; COMPUTE_PGM_RSRC2:TIDIG_COMP_CNT: 0
	.section	.text._ZN5aiter43moe_smooth_per_token_scaled_quant_kernel_v1ItaLi128ELi8ELb0ELb0ELi1024EEEvPT0_PfPT_S3_PiS6_iiiii,"axG",@progbits,_ZN5aiter43moe_smooth_per_token_scaled_quant_kernel_v1ItaLi128ELi8ELb0ELb0ELi1024EEEvPT0_PfPT_S3_PiS6_iiiii,comdat
	.protected	_ZN5aiter43moe_smooth_per_token_scaled_quant_kernel_v1ItaLi128ELi8ELb0ELb0ELi1024EEEvPT0_PfPT_S3_PiS6_iiiii ; -- Begin function _ZN5aiter43moe_smooth_per_token_scaled_quant_kernel_v1ItaLi128ELi8ELb0ELb0ELi1024EEEvPT0_PfPT_S3_PiS6_iiiii
	.globl	_ZN5aiter43moe_smooth_per_token_scaled_quant_kernel_v1ItaLi128ELi8ELb0ELb0ELi1024EEEvPT0_PfPT_S3_PiS6_iiiii
	.p2align	8
	.type	_ZN5aiter43moe_smooth_per_token_scaled_quant_kernel_v1ItaLi128ELi8ELb0ELb0ELi1024EEEvPT0_PfPT_S3_PiS6_iiiii,@function
_ZN5aiter43moe_smooth_per_token_scaled_quant_kernel_v1ItaLi128ELi8ELb0ELb0ELi1024EEEvPT0_PfPT_S3_PiS6_iiiii: ; @_ZN5aiter43moe_smooth_per_token_scaled_quant_kernel_v1ItaLi128ELi8ELb0ELb0ELi1024EEEvPT0_PfPT_S3_PiS6_iiiii
; %bb.0:
	s_clause 0x2
	s_load_b128 s[4:7], s[0:1], 0x34
	s_load_b64 s[2:3], s[0:1], 0x20
	s_load_b64 s[12:13], s[0:1], 0x10
	v_and_b32_e32 v12, 31, v0
	s_mov_b32 s11, -1
	s_delay_alu instid0(VALU_DEP_1)
	v_lshlrev_b32_e32 v1, 2, v12
	s_waitcnt lgkmcnt(0)
	s_mul_i32 s20, s15, s4
	s_mul_hi_i32 s7, s6, s15
	s_ashr_i32 s21, s20, 31
	s_mul_i32 s6, s6, s15
	s_lshl_b64 s[8:9], s[20:21], 2
	s_mov_b32 s21, 0
	s_add_u32 s8, s2, s8
	s_addc_u32 s2, s3, s9
	s_lshl_b32 s10, s4, 2
	s_and_b32 s9, s2, 0xffff
	s_lshl_b64 s[2:3], s[6:7], 1
	buffer_load_b32 v5, v1, s[8:11], 0 offen
	s_add_u32 s8, s12, s2
	v_lshlrev_b32_e32 v1, 4, v0
	s_addc_u32 s2, s13, s3
	s_lshl_b32 s10, s5, 1
	s_and_b32 s9, s2, 0xffff
	s_cmp_lt_i32 s4, 1
	buffer_load_b128 v[1:4], v1, s[8:11], 0 offen
	s_waitcnt vmcnt(0) expcnt(1) lgkmcnt(55)
	s_barrier
	buffer_gl0_inv
	s_cbranch_scc1 .LBB185_11
; %bb.1:
	s_clause 0x1
	s_load_b128 s[12:15], s[0:1], 0x0
	s_load_b64 s[6:7], s[0:1], 0x18
	v_and_b32_e32 v6, 0xffff, v1
	v_lshrrev_b32_e32 v7, 16, v1
	v_and_b32_e32 v8, 0xffff, v2
	s_add_i32 s1, s5, 7
	v_lshrrev_b32_e32 v2, 16, v2
	s_ashr_i32 s2, s1, 31
	v_cvt_f32_u32_e32 v1, v6
	s_lshr_b32 s2, s2, 29
	v_cvt_f32_u32_e32 v6, v7
	v_cvt_f32_u32_e32 v7, v8
	v_and_b32_e32 v8, 0xffff, v3
	v_lshrrev_b32_e32 v9, 16, v3
	v_and_b32_e32 v10, 0xffff, v4
	v_lshrrev_b32_e32 v11, 16, v4
	v_lshrrev_b32_e32 v13, 3, v0
	v_and_b32_e32 v14, 3, v0
	s_add_i32 s3, s5, 3
	s_add_i32 s1, s1, s2
	s_ashr_i32 s2, s3, 31
	s_ashr_i32 s1, s1, 3
	s_lshr_b32 s2, s2, 30
	v_cvt_f32_u32_e32 v2, v2
	v_cvt_f32_u32_e32 v3, v8
	;; [unrolled: 1-line block ×5, first 2 shown]
	v_lshlrev_b32_e32 v10, 3, v0
	v_lshlrev_b32_e32 v11, 5, v0
	v_cmp_eq_u32_e32 vcc_lo, 31, v12
	v_and_b32_e32 v12, 0x7c, v13
	v_lshlrev_b32_e32 v13, 2, v14
	v_cmp_eq_u32_e64 s0, 0, v0
	v_cmp_gt_u32_e64 s1, s1, v0
	v_mov_b32_e32 v0, 0
	s_add_i32 s3, s3, s2
	s_mov_b32 s22, s5
	s_lshl_b32 s10, s5, 2
	s_and_b32 s18, s3, -4
	s_mov_b32 s5, 0x76543210
	s_branch .LBB185_4
.LBB185_2:                              ;   in Loop: Header=BB185_4 Depth=1
	s_or_b32 exec_lo, exec_lo, s3
.LBB185_3:                              ;   in Loop: Header=BB185_4 Depth=1
	s_add_i32 s21, s21, 1
	s_delay_alu instid0(SALU_CYCLE_1)
	s_cmp_eq_u32 s4, s21
	s_cbranch_scc1 .LBB185_11
.LBB185_4:                              ; =>This Inner Loop Header: Depth=1
	v_readlane_b32 s2, v5, s21
	s_delay_alu instid0(VALU_DEP_1)
	s_cmp_lt_i32 s2, 0
	s_cbranch_scc1 .LBB185_3
; %bb.5:                                ;   in Loop: Header=BB185_4 Depth=1
	s_mul_i32 s2, s2, s22
	s_delay_alu instid0(SALU_CYCLE_1) | instskip(NEXT) | instid1(SALU_CYCLE_1)
	s_ashr_i32 s3, s2, 31
	s_lshl_b64 s[2:3], s[2:3], 2
	s_waitcnt lgkmcnt(0)
	s_add_u32 s8, s6, s2
	s_addc_u32 s2, s7, s3
	s_delay_alu instid0(SALU_CYCLE_1)
	s_and_b32 s9, s2, 0xffff
	s_clause 0x1
	buffer_load_b128 v[14:17], v11, s[8:11], 0 offen
	buffer_load_b128 v[22:25], v11, s[8:11], 16 offen
	s_waitcnt vmcnt(1)
	v_dual_mul_f32 v20, v14, v1 :: v_dual_mul_f32 v21, v15, v6
	v_dual_mul_f32 v14, v16, v7 :: v_dual_mul_f32 v15, v17, v2
	s_waitcnt vmcnt(0)
	v_dual_mul_f32 v16, v22, v3 :: v_dual_mul_f32 v17, v23, v4
	s_delay_alu instid0(VALU_DEP_3) | instskip(SKIP_1) | instid1(VALU_DEP_2)
	v_max3_f32 v18, |v20|, 0x2edbe6ff, |v21|
	v_mul_f32_e32 v19, v25, v9
	v_max3_f32 v22, v18, |v14|, |v15|
	v_mul_f32_e32 v18, v24, v8
	s_delay_alu instid0(VALU_DEP_2) | instskip(NEXT) | instid1(VALU_DEP_1)
	v_max3_f32 v22, v22, |v16|, |v17|
	v_max3_f32 v22, v22, |v18|, |v19|
	s_delay_alu instid0(VALU_DEP_1) | instskip(NEXT) | instid1(VALU_DEP_1)
	v_mov_b32_dpp v23, v22 quad_perm:[1,0,3,2] row_mask:0xf bank_mask:0xf
	v_cmp_gt_f32_e64 s2, v22, v23
	s_delay_alu instid0(VALU_DEP_1) | instskip(NEXT) | instid1(VALU_DEP_1)
	v_cndmask_b32_e64 v22, v23, v22, s2
	v_mov_b32_dpp v23, v22 quad_perm:[2,3,0,1] row_mask:0xf bank_mask:0xf
	s_delay_alu instid0(VALU_DEP_1) | instskip(NEXT) | instid1(VALU_DEP_1)
	v_cmp_gt_f32_e64 s2, v22, v23
	v_cndmask_b32_e64 v22, v23, v22, s2
	s_delay_alu instid0(VALU_DEP_1) | instskip(NEXT) | instid1(VALU_DEP_1)
	v_mov_b32_dpp v23, v22 row_xmask:7 row_mask:0xf bank_mask:0xf
	v_cmp_gt_f32_e64 s2, v22, v23
	s_delay_alu instid0(VALU_DEP_1) | instskip(NEXT) | instid1(VALU_DEP_1)
	v_cndmask_b32_e64 v22, v23, v22, s2
	v_mov_b32_dpp v23, v22 row_xmask:15 row_mask:0xf bank_mask:0xf
	s_delay_alu instid0(VALU_DEP_1)
	v_cmp_gt_f32_e64 s2, v22, v23
	s_and_saveexec_b32 s3, vcc_lo
	s_cbranch_execz .LBB185_7
; %bb.6:                                ;   in Loop: Header=BB185_4 Depth=1
	s_delay_alu instid0(VALU_DEP_1) | instskip(NEXT) | instid1(VALU_DEP_1)
	v_cndmask_b32_e64 v22, v23, v22, s2
	v_permlanex16_b32 v23, v22, s5, 0xfedcba98 op_sel:[1,1]
	s_delay_alu instid0(VALU_DEP_1) | instskip(NEXT) | instid1(VALU_DEP_1)
	v_cmp_gt_f32_e64 s2, v22, v23
	v_cndmask_b32_e64 v22, v23, v22, s2
	ds_store_b32 v12, v22
.LBB185_7:                              ;   in Loop: Header=BB185_4 Depth=1
	s_or_b32 exec_lo, exec_lo, s3
	s_waitcnt lgkmcnt(0)
	s_waitcnt_vscnt null, 0x0
	s_barrier
	buffer_gl0_inv
	ds_load_b32 v22, v13
	s_waitcnt lgkmcnt(0)
	v_mov_b32_dpp v23, v22 quad_perm:[1,0,3,2] row_mask:0xf bank_mask:0xf
	s_delay_alu instid0(VALU_DEP_1) | instskip(NEXT) | instid1(VALU_DEP_1)
	v_cmp_gt_f32_e64 s2, v22, v23
	v_cndmask_b32_e64 v22, v23, v22, s2
	s_delay_alu instid0(VALU_DEP_1) | instskip(NEXT) | instid1(VALU_DEP_1)
	v_mov_b32_dpp v23, v22 quad_perm:[2,3,0,1] row_mask:0xf bank_mask:0xf
	v_cmp_gt_f32_e64 s2, v22, v23
	s_delay_alu instid0(VALU_DEP_1) | instskip(SKIP_1) | instid1(VALU_DEP_1)
	v_cndmask_b32_e64 v22, v23, v22, s2
	s_add_i32 s2, s20, s21
	v_mul_f32_e32 v22, 0x3c010204, v22
	s_and_saveexec_b32 s8, s0
	s_cbranch_execz .LBB185_9
; %bb.8:                                ;   in Loop: Header=BB185_4 Depth=1
	s_ashr_i32 s3, s2, 31
	s_delay_alu instid0(SALU_CYCLE_1) | instskip(NEXT) | instid1(SALU_CYCLE_1)
	s_lshl_b64 s[16:17], s[2:3], 2
	s_add_u32 s16, s14, s16
	s_addc_u32 s17, s15, s17
	global_store_b32 v0, v22, s[16:17]
.LBB185_9:                              ;   in Loop: Header=BB185_4 Depth=1
	s_or_b32 exec_lo, exec_lo, s8
	s_and_saveexec_b32 s3, s1
	s_cbranch_execz .LBB185_2
; %bb.10:                               ;   in Loop: Header=BB185_4 Depth=1
	v_rcp_f32_e32 v22, v22
	s_mul_i32 s8, s2, s22
	s_mul_hi_i32 s2, s2, s22
	s_add_u32 s16, s12, s8
	s_addc_u32 s2, s13, s2
	s_mov_b32 s19, s11
	s_and_b32 s17, s2, 0xffff
	s_waitcnt_depctr 0xfff
	v_mul_f32_e32 v16, v16, v22
	v_mul_f32_e32 v17, v17, v22
	;; [unrolled: 1-line block ×5, first 2 shown]
	v_cvt_i32_f32_e32 v16, v16
	v_cvt_i32_f32_e32 v17, v17
	v_mul_f32_e32 v21, v21, v22
	v_cvt_i32_f32_e32 v14, v14
	v_cvt_i32_f32_e32 v15, v15
	v_and_b32_e32 v16, 0xff, v16
	v_lshlrev_b16 v17, 8, v17
	v_mul_f32_e32 v19, v19, v22
	v_and_b32_e32 v14, 0xff, v14
	v_lshlrev_b16 v15, 8, v15
	v_cvt_i32_f32_e32 v21, v21
	v_or_b32_e32 v16, v16, v17
	v_mul_f32_e32 v20, v20, v22
	v_cvt_i32_f32_e32 v19, v19
	v_cvt_i32_f32_e32 v18, v18
	v_or_b32_e32 v14, v14, v15
	v_and_b32_e32 v15, 0xffff, v16
	v_cvt_i32_f32_e32 v20, v20
	v_lshlrev_b16 v19, 8, v19
	v_and_b32_e32 v18, 0xff, v18
	v_lshlrev_b16 v21, 8, v21
	v_lshlrev_b32_e32 v14, 16, v14
	v_and_b32_e32 v20, 0xff, v20
	s_delay_alu instid0(VALU_DEP_4) | instskip(NEXT) | instid1(VALU_DEP_2)
	v_or_b32_e32 v17, v18, v19
	v_or_b32_e32 v18, v20, v21
	s_delay_alu instid0(VALU_DEP_2) | instskip(NEXT) | instid1(VALU_DEP_2)
	v_lshlrev_b32_e32 v16, 16, v17
	v_and_b32_e32 v17, 0xffff, v18
	s_delay_alu instid0(VALU_DEP_2) | instskip(NEXT) | instid1(VALU_DEP_2)
	v_or_b32_e32 v15, v15, v16
	v_or_b32_e32 v14, v17, v14
	buffer_store_b64 v[14:15], v10, s[16:19], 0 offen
	;;#ASMSTART
	s_nop 0
	;;#ASMEND
	s_branch .LBB185_2
.LBB185_11:
	s_nop 0
	s_sendmsg sendmsg(MSG_DEALLOC_VGPRS)
	s_endpgm
	.section	.rodata,"a",@progbits
	.p2align	6, 0x0
	.amdhsa_kernel _ZN5aiter43moe_smooth_per_token_scaled_quant_kernel_v1ItaLi128ELi8ELb0ELb0ELi1024EEEvPT0_PfPT_S3_PiS6_iiiii
		.amdhsa_group_segment_fixed_size 16
		.amdhsa_private_segment_fixed_size 0
		.amdhsa_kernarg_size 68
		.amdhsa_user_sgpr_count 15
		.amdhsa_user_sgpr_dispatch_ptr 0
		.amdhsa_user_sgpr_queue_ptr 0
		.amdhsa_user_sgpr_kernarg_segment_ptr 1
		.amdhsa_user_sgpr_dispatch_id 0
		.amdhsa_user_sgpr_private_segment_size 0
		.amdhsa_wavefront_size32 1
		.amdhsa_uses_dynamic_stack 0
		.amdhsa_enable_private_segment 0
		.amdhsa_system_sgpr_workgroup_id_x 1
		.amdhsa_system_sgpr_workgroup_id_y 0
		.amdhsa_system_sgpr_workgroup_id_z 0
		.amdhsa_system_sgpr_workgroup_info 0
		.amdhsa_system_vgpr_workitem_id 0
		.amdhsa_next_free_vgpr 26
		.amdhsa_next_free_sgpr 23
		.amdhsa_reserve_vcc 1
		.amdhsa_float_round_mode_32 0
		.amdhsa_float_round_mode_16_64 0
		.amdhsa_float_denorm_mode_32 3
		.amdhsa_float_denorm_mode_16_64 3
		.amdhsa_dx10_clamp 1
		.amdhsa_ieee_mode 1
		.amdhsa_fp16_overflow 0
		.amdhsa_workgroup_processor_mode 1
		.amdhsa_memory_ordered 1
		.amdhsa_forward_progress 0
		.amdhsa_shared_vgpr_count 0
		.amdhsa_exception_fp_ieee_invalid_op 0
		.amdhsa_exception_fp_denorm_src 0
		.amdhsa_exception_fp_ieee_div_zero 0
		.amdhsa_exception_fp_ieee_overflow 0
		.amdhsa_exception_fp_ieee_underflow 0
		.amdhsa_exception_fp_ieee_inexact 0
		.amdhsa_exception_int_div_zero 0
	.end_amdhsa_kernel
	.section	.text._ZN5aiter43moe_smooth_per_token_scaled_quant_kernel_v1ItaLi128ELi8ELb0ELb0ELi1024EEEvPT0_PfPT_S3_PiS6_iiiii,"axG",@progbits,_ZN5aiter43moe_smooth_per_token_scaled_quant_kernel_v1ItaLi128ELi8ELb0ELb0ELi1024EEEvPT0_PfPT_S3_PiS6_iiiii,comdat
.Lfunc_end185:
	.size	_ZN5aiter43moe_smooth_per_token_scaled_quant_kernel_v1ItaLi128ELi8ELb0ELb0ELi1024EEEvPT0_PfPT_S3_PiS6_iiiii, .Lfunc_end185-_ZN5aiter43moe_smooth_per_token_scaled_quant_kernel_v1ItaLi128ELi8ELb0ELb0ELi1024EEEvPT0_PfPT_S3_PiS6_iiiii
                                        ; -- End function
	.section	.AMDGPU.csdata,"",@progbits
; Kernel info:
; codeLenInByte = 1152
; NumSgprs: 25
; NumVgprs: 26
; ScratchSize: 0
; MemoryBound: 0
; FloatMode: 240
; IeeeMode: 1
; LDSByteSize: 16 bytes/workgroup (compile time only)
; SGPRBlocks: 3
; VGPRBlocks: 3
; NumSGPRsForWavesPerEU: 25
; NumVGPRsForWavesPerEU: 26
; Occupancy: 16
; WaveLimiterHint : 0
; COMPUTE_PGM_RSRC2:SCRATCH_EN: 0
; COMPUTE_PGM_RSRC2:USER_SGPR: 15
; COMPUTE_PGM_RSRC2:TRAP_HANDLER: 0
; COMPUTE_PGM_RSRC2:TGID_X_EN: 1
; COMPUTE_PGM_RSRC2:TGID_Y_EN: 0
; COMPUTE_PGM_RSRC2:TGID_Z_EN: 0
; COMPUTE_PGM_RSRC2:TIDIG_COMP_CNT: 0
	.section	.text._ZN5aiter43moe_smooth_per_token_scaled_quant_kernel_v1IDF16_aLi256ELi8ELb1ELb1ELi1024EEEvPT0_PfPT_S3_PiS6_iiiii,"axG",@progbits,_ZN5aiter43moe_smooth_per_token_scaled_quant_kernel_v1IDF16_aLi256ELi8ELb1ELb1ELi1024EEEvPT0_PfPT_S3_PiS6_iiiii,comdat
	.protected	_ZN5aiter43moe_smooth_per_token_scaled_quant_kernel_v1IDF16_aLi256ELi8ELb1ELb1ELi1024EEEvPT0_PfPT_S3_PiS6_iiiii ; -- Begin function _ZN5aiter43moe_smooth_per_token_scaled_quant_kernel_v1IDF16_aLi256ELi8ELb1ELb1ELi1024EEEvPT0_PfPT_S3_PiS6_iiiii
	.globl	_ZN5aiter43moe_smooth_per_token_scaled_quant_kernel_v1IDF16_aLi256ELi8ELb1ELb1ELi1024EEEvPT0_PfPT_S3_PiS6_iiiii
	.p2align	8
	.type	_ZN5aiter43moe_smooth_per_token_scaled_quant_kernel_v1IDF16_aLi256ELi8ELb1ELb1ELi1024EEEvPT0_PfPT_S3_PiS6_iiiii,@function
_ZN5aiter43moe_smooth_per_token_scaled_quant_kernel_v1IDF16_aLi256ELi8ELb1ELb1ELi1024EEEvPT0_PfPT_S3_PiS6_iiiii: ; @_ZN5aiter43moe_smooth_per_token_scaled_quant_kernel_v1IDF16_aLi256ELi8ELb1ELb1ELi1024EEEvPT0_PfPT_S3_PiS6_iiiii
; %bb.0:
	s_clause 0x2
	s_load_b32 s18, s[0:1], 0x40
	s_load_b256 s[4:11], s[0:1], 0x20
	s_load_b64 s[2:3], s[0:1], 0x10
	s_mov_b32 s20, s15
	v_and_b32_e32 v12, 31, v0
	v_lshlrev_b32_e32 v6, 2, v0
	s_mov_b32 s15, -1
	s_delay_alu instid0(VALU_DEP_2)
	v_lshlrev_b32_e32 v1, 2, v12
	s_waitcnt lgkmcnt(0)
	s_lshl_b32 s14, s18, 2
	s_mul_i32 s16, s20, s9
	s_and_b32 s13, s7, 0xffff
	s_ashr_i32 s17, s16, 31
	s_mov_b32 s12, s6
	s_lshl_b64 s[6:7], s[16:17], 2
	s_clause 0x3
	buffer_load_b32 v7, v6, s[12:15], 0 offen
	buffer_load_b32 v8, v6, s[12:15], 0 offen offset:1024
	buffer_load_b32 v9, v6, s[12:15], 0 offen offset:2048
	;; [unrolled: 1-line block ×3, first 2 shown]
	s_add_u32 s12, s4, s6
	s_addc_u32 s4, s5, s7
	s_lshl_b32 s14, s9, 2
	s_and_b32 s13, s4, 0xffff
	s_mul_hi_i32 s5, s11, s20
	s_mul_i32 s4, s11, s20
	buffer_load_b32 v5, v1, s[12:15], 0 offen
	s_lshl_b64 s[4:5], s[4:5], 1
	v_lshlrev_b32_e32 v1, 4, v0
	s_add_u32 s12, s2, s4
	s_addc_u32 s2, s3, s5
	s_lshl_b32 s14, s10, 1
	s_and_b32 s13, s2, 0xffff
	v_cmp_gt_i32_e32 vcc_lo, s9, v12
	buffer_load_b128 v[1:4], v1, s[12:15], 0 offen
	s_waitcnt vmcnt(4)
	ds_store_2addr_stride64_b32 v6, v7, v8 offset1:4
	s_waitcnt vmcnt(2)
	ds_store_2addr_stride64_b32 v6, v9, v10 offset0:8 offset1:12
	s_waitcnt vmcnt(0) expcnt(1) lgkmcnt(0)
	s_barrier
	buffer_gl0_inv
	v_cmp_gt_i32_e64 s2, s18, v5
	v_cmp_lt_i32_e64 s3, -1, v5
	s_delay_alu instid0(VALU_DEP_2)
	s_and_b32 s2, vcc_lo, s2
	s_delay_alu instid0(VALU_DEP_1) | instid1(SALU_CYCLE_1)
	s_and_b32 s3, s2, s3
	s_delay_alu instid0(SALU_CYCLE_1)
	s_and_saveexec_b32 s2, s3
	s_cbranch_execz .LBB186_2
; %bb.1:
	v_lshlrev_b32_e32 v5, 2, v5
	ds_load_b32 v5, v5
.LBB186_2:
	s_or_b32 exec_lo, exec_lo, s2
	s_cmp_lt_i32 s9, 1
	s_cbranch_scc1 .LBB186_13
; %bb.3:
	s_clause 0x1
	s_load_b128 s[4:7], s[0:1], 0x0
	s_load_b64 s[22:23], s[0:1], 0x18
	s_add_i32 s1, s10, 7
	v_lshrrev_b32_e32 v6, 16, v1
	s_ashr_i32 s2, s1, 31
	v_lshrrev_b32_e32 v7, 16, v2
	s_lshr_b32 s2, s2, 29
	v_lshrrev_b32_e32 v8, 16, v3
	v_lshrrev_b32_e32 v9, 16, v4
	;; [unrolled: 1-line block ×3, first 2 shown]
	v_and_b32_e32 v14, 7, v0
	s_add_i32 s11, s10, 3
	s_add_i32 s1, s1, s2
	s_ashr_i32 s2, s11, 31
	s_movk_i32 s0, 0x7c
	s_ashr_i32 s1, s1, 3
	s_lshr_b32 s2, s2, 30
	v_cvt_f32_f16_e32 v1, v1
	v_cvt_f32_f16_e32 v6, v6
	;; [unrolled: 1-line block ×8, first 2 shown]
	v_lshlrev_b32_e32 v10, 3, v0
	v_lshlrev_b32_e32 v11, 5, v0
	v_cmp_eq_u32_e32 vcc_lo, 31, v12
	v_and_or_b32 v12, v13, s0, 0x1000
	v_lshl_or_b32 v13, v14, 2, 0x1000
	v_cmp_eq_u32_e64 s0, 0, v0
	v_cmp_gt_u32_e64 s1, s1, v0
	v_mov_b32_e32 v0, 0
	s_add_i32 s11, s11, s2
	s_lshl_b32 s14, s10, 2
	s_mov_b32 s3, 0
	s_and_b32 s18, s11, -4
	s_mov_b32 s11, 0x76543210
	s_branch .LBB186_6
.LBB186_4:                              ;   in Loop: Header=BB186_6 Depth=1
	s_or_b32 exec_lo, exec_lo, s2
.LBB186_5:                              ;   in Loop: Header=BB186_6 Depth=1
	s_add_i32 s3, s3, 1
	s_add_i32 s20, s20, s8
	s_cmp_eq_u32 s9, s3
	s_cbranch_scc1 .LBB186_13
.LBB186_6:                              ; =>This Inner Loop Header: Depth=1
	s_waitcnt lgkmcnt(0)
	v_readlane_b32 s2, v5, s3
	s_delay_alu instid0(VALU_DEP_1)
	s_cmp_lt_i32 s2, 0
	s_cbranch_scc1 .LBB186_5
; %bb.7:                                ;   in Loop: Header=BB186_6 Depth=1
	s_mul_i32 s12, s2, s10
	s_delay_alu instid0(SALU_CYCLE_1) | instskip(NEXT) | instid1(SALU_CYCLE_1)
	s_ashr_i32 s13, s12, 31
	s_lshl_b64 s[12:13], s[12:13], 2
	s_delay_alu instid0(SALU_CYCLE_1) | instskip(SKIP_1) | instid1(SALU_CYCLE_1)
	s_add_u32 s12, s22, s12
	s_addc_u32 s2, s23, s13
	s_and_b32 s13, s2, 0xffff
	s_clause 0x1
	buffer_load_b128 v[14:17], v11, s[12:15], 0 offen
	buffer_load_b128 v[22:25], v11, s[12:15], 16 offen
	s_waitcnt vmcnt(1)
	v_dual_mul_f32 v20, v14, v1 :: v_dual_mul_f32 v21, v15, v6
	v_dual_mul_f32 v14, v16, v2 :: v_dual_mul_f32 v15, v17, v7
	s_waitcnt vmcnt(0)
	v_dual_mul_f32 v16, v22, v3 :: v_dual_mul_f32 v17, v23, v8
	s_delay_alu instid0(VALU_DEP_3) | instskip(SKIP_1) | instid1(VALU_DEP_2)
	v_max3_f32 v18, |v20|, 0x2edbe6ff, |v21|
	v_mul_f32_e32 v19, v25, v9
	v_max3_f32 v22, v18, |v14|, |v15|
	v_mul_f32_e32 v18, v24, v4
	s_delay_alu instid0(VALU_DEP_2) | instskip(NEXT) | instid1(VALU_DEP_1)
	v_max3_f32 v22, v22, |v16|, |v17|
	v_max3_f32 v22, v22, |v18|, |v19|
	s_delay_alu instid0(VALU_DEP_1) | instskip(NEXT) | instid1(VALU_DEP_1)
	v_mov_b32_dpp v23, v22 quad_perm:[1,0,3,2] row_mask:0xf bank_mask:0xf
	v_cmp_gt_f32_e64 s2, v22, v23
	s_delay_alu instid0(VALU_DEP_1) | instskip(NEXT) | instid1(VALU_DEP_1)
	v_cndmask_b32_e64 v22, v23, v22, s2
	v_mov_b32_dpp v23, v22 quad_perm:[2,3,0,1] row_mask:0xf bank_mask:0xf
	s_delay_alu instid0(VALU_DEP_1) | instskip(NEXT) | instid1(VALU_DEP_1)
	v_cmp_gt_f32_e64 s2, v22, v23
	v_cndmask_b32_e64 v22, v23, v22, s2
	s_delay_alu instid0(VALU_DEP_1) | instskip(NEXT) | instid1(VALU_DEP_1)
	v_mov_b32_dpp v23, v22 row_xmask:7 row_mask:0xf bank_mask:0xf
	v_cmp_gt_f32_e64 s2, v22, v23
	s_delay_alu instid0(VALU_DEP_1) | instskip(NEXT) | instid1(VALU_DEP_1)
	v_cndmask_b32_e64 v22, v23, v22, s2
	v_mov_b32_dpp v23, v22 row_xmask:15 row_mask:0xf bank_mask:0xf
	s_delay_alu instid0(VALU_DEP_1)
	v_cmp_gt_f32_e64 s2, v22, v23
	s_and_saveexec_b32 s12, vcc_lo
	s_cbranch_execz .LBB186_9
; %bb.8:                                ;   in Loop: Header=BB186_6 Depth=1
	s_delay_alu instid0(VALU_DEP_1) | instskip(NEXT) | instid1(VALU_DEP_1)
	v_cndmask_b32_e64 v22, v23, v22, s2
	v_permlanex16_b32 v23, v22, s11, 0xfedcba98 op_sel:[1,1]
	s_delay_alu instid0(VALU_DEP_1) | instskip(NEXT) | instid1(VALU_DEP_1)
	v_cmp_gt_f32_e64 s2, v22, v23
	v_cndmask_b32_e64 v22, v23, v22, s2
	ds_store_b32 v12, v22
.LBB186_9:                              ;   in Loop: Header=BB186_6 Depth=1
	s_or_b32 exec_lo, exec_lo, s12
	s_waitcnt lgkmcnt(0)
	s_waitcnt_vscnt null, 0x0
	s_barrier
	buffer_gl0_inv
	ds_load_b32 v22, v13
	s_waitcnt lgkmcnt(0)
	v_mov_b32_dpp v23, v22 quad_perm:[1,0,3,2] row_mask:0xf bank_mask:0xf
	s_delay_alu instid0(VALU_DEP_1) | instskip(NEXT) | instid1(VALU_DEP_1)
	v_cmp_gt_f32_e64 s2, v22, v23
	v_cndmask_b32_e64 v22, v23, v22, s2
	s_delay_alu instid0(VALU_DEP_1) | instskip(NEXT) | instid1(VALU_DEP_1)
	v_mov_b32_dpp v23, v22 quad_perm:[2,3,0,1] row_mask:0xf bank_mask:0xf
	v_cmp_gt_f32_e64 s2, v22, v23
	s_delay_alu instid0(VALU_DEP_1) | instskip(NEXT) | instid1(VALU_DEP_1)
	v_cndmask_b32_e64 v22, v23, v22, s2
	v_mov_b32_dpp v23, v22 row_xmask:7 row_mask:0xf bank_mask:0xf
	s_delay_alu instid0(VALU_DEP_1) | instskip(NEXT) | instid1(VALU_DEP_1)
	v_cmp_gt_f32_e64 s2, v22, v23
	v_cndmask_b32_e64 v22, v23, v22, s2
	s_delay_alu instid0(VALU_DEP_1)
	v_mul_f32_e32 v22, 0x3c010204, v22
	s_and_saveexec_b32 s2, s0
	s_cbranch_execz .LBB186_11
; %bb.10:                               ;   in Loop: Header=BB186_6 Depth=1
	s_ashr_i32 s21, s20, 31
	s_delay_alu instid0(SALU_CYCLE_1) | instskip(NEXT) | instid1(SALU_CYCLE_1)
	s_lshl_b64 s[12:13], s[20:21], 2
	s_add_u32 s12, s6, s12
	s_addc_u32 s13, s7, s13
	global_store_b32 v0, v22, s[12:13]
.LBB186_11:                             ;   in Loop: Header=BB186_6 Depth=1
	s_or_b32 exec_lo, exec_lo, s2
	s_and_saveexec_b32 s2, s1
	s_cbranch_execz .LBB186_4
; %bb.12:                               ;   in Loop: Header=BB186_6 Depth=1
	v_rcp_f32_e32 v22, v22
	s_mul_i32 s12, s20, s10
	s_mul_hi_i32 s13, s20, s10
	s_add_u32 s16, s4, s12
	s_addc_u32 s12, s5, s13
	s_mov_b32 s19, s15
	s_and_b32 s17, s12, 0xffff
	s_waitcnt_depctr 0xfff
	v_mul_f32_e32 v16, v16, v22
	v_mul_f32_e32 v17, v17, v22
	;; [unrolled: 1-line block ×5, first 2 shown]
	v_cvt_i32_f32_e32 v16, v16
	v_cvt_i32_f32_e32 v17, v17
	v_mul_f32_e32 v21, v21, v22
	v_cvt_i32_f32_e32 v14, v14
	v_cvt_i32_f32_e32 v15, v15
	v_and_b32_e32 v16, 0xff, v16
	v_lshlrev_b16 v17, 8, v17
	v_mul_f32_e32 v19, v19, v22
	v_and_b32_e32 v14, 0xff, v14
	v_lshlrev_b16 v15, 8, v15
	v_cvt_i32_f32_e32 v21, v21
	v_or_b32_e32 v16, v16, v17
	v_mul_f32_e32 v20, v20, v22
	v_cvt_i32_f32_e32 v19, v19
	v_cvt_i32_f32_e32 v18, v18
	v_or_b32_e32 v14, v14, v15
	v_and_b32_e32 v15, 0xffff, v16
	v_cvt_i32_f32_e32 v20, v20
	v_lshlrev_b16 v19, 8, v19
	v_and_b32_e32 v18, 0xff, v18
	v_lshlrev_b16 v21, 8, v21
	v_lshlrev_b32_e32 v14, 16, v14
	v_and_b32_e32 v20, 0xff, v20
	s_delay_alu instid0(VALU_DEP_4) | instskip(NEXT) | instid1(VALU_DEP_2)
	v_or_b32_e32 v17, v18, v19
	v_or_b32_e32 v18, v20, v21
	s_delay_alu instid0(VALU_DEP_2) | instskip(NEXT) | instid1(VALU_DEP_2)
	v_lshlrev_b32_e32 v16, 16, v17
	v_and_b32_e32 v17, 0xffff, v18
	s_delay_alu instid0(VALU_DEP_2) | instskip(NEXT) | instid1(VALU_DEP_2)
	v_or_b32_e32 v15, v15, v16
	v_or_b32_e32 v14, v17, v14
	buffer_store_b64 v[14:15], v10, s[16:19], 0 offen
	;;#ASMSTART
	s_nop 0
	;;#ASMEND
	s_branch .LBB186_4
.LBB186_13:
	s_nop 0
	s_sendmsg sendmsg(MSG_DEALLOC_VGPRS)
	s_endpgm
	.section	.rodata,"a",@progbits
	.p2align	6, 0x0
	.amdhsa_kernel _ZN5aiter43moe_smooth_per_token_scaled_quant_kernel_v1IDF16_aLi256ELi8ELb1ELb1ELi1024EEEvPT0_PfPT_S3_PiS6_iiiii
		.amdhsa_group_segment_fixed_size 4128
		.amdhsa_private_segment_fixed_size 0
		.amdhsa_kernarg_size 68
		.amdhsa_user_sgpr_count 15
		.amdhsa_user_sgpr_dispatch_ptr 0
		.amdhsa_user_sgpr_queue_ptr 0
		.amdhsa_user_sgpr_kernarg_segment_ptr 1
		.amdhsa_user_sgpr_dispatch_id 0
		.amdhsa_user_sgpr_private_segment_size 0
		.amdhsa_wavefront_size32 1
		.amdhsa_uses_dynamic_stack 0
		.amdhsa_enable_private_segment 0
		.amdhsa_system_sgpr_workgroup_id_x 1
		.amdhsa_system_sgpr_workgroup_id_y 0
		.amdhsa_system_sgpr_workgroup_id_z 0
		.amdhsa_system_sgpr_workgroup_info 0
		.amdhsa_system_vgpr_workitem_id 0
		.amdhsa_next_free_vgpr 26
		.amdhsa_next_free_sgpr 24
		.amdhsa_reserve_vcc 1
		.amdhsa_float_round_mode_32 0
		.amdhsa_float_round_mode_16_64 0
		.amdhsa_float_denorm_mode_32 3
		.amdhsa_float_denorm_mode_16_64 3
		.amdhsa_dx10_clamp 1
		.amdhsa_ieee_mode 1
		.amdhsa_fp16_overflow 0
		.amdhsa_workgroup_processor_mode 1
		.amdhsa_memory_ordered 1
		.amdhsa_forward_progress 0
		.amdhsa_shared_vgpr_count 0
		.amdhsa_exception_fp_ieee_invalid_op 0
		.amdhsa_exception_fp_denorm_src 0
		.amdhsa_exception_fp_ieee_div_zero 0
		.amdhsa_exception_fp_ieee_overflow 0
		.amdhsa_exception_fp_ieee_underflow 0
		.amdhsa_exception_fp_ieee_inexact 0
		.amdhsa_exception_int_div_zero 0
	.end_amdhsa_kernel
	.section	.text._ZN5aiter43moe_smooth_per_token_scaled_quant_kernel_v1IDF16_aLi256ELi8ELb1ELb1ELi1024EEEvPT0_PfPT_S3_PiS6_iiiii,"axG",@progbits,_ZN5aiter43moe_smooth_per_token_scaled_quant_kernel_v1IDF16_aLi256ELi8ELb1ELb1ELi1024EEEvPT0_PfPT_S3_PiS6_iiiii,comdat
.Lfunc_end186:
	.size	_ZN5aiter43moe_smooth_per_token_scaled_quant_kernel_v1IDF16_aLi256ELi8ELb1ELb1ELi1024EEEvPT0_PfPT_S3_PiS6_iiiii, .Lfunc_end186-_ZN5aiter43moe_smooth_per_token_scaled_quant_kernel_v1IDF16_aLi256ELi8ELb1ELb1ELi1024EEEvPT0_PfPT_S3_PiS6_iiiii
                                        ; -- End function
	.section	.AMDGPU.csdata,"",@progbits
; Kernel info:
; codeLenInByte = 1308
; NumSgprs: 26
; NumVgprs: 26
; ScratchSize: 0
; MemoryBound: 0
; FloatMode: 240
; IeeeMode: 1
; LDSByteSize: 4128 bytes/workgroup (compile time only)
; SGPRBlocks: 3
; VGPRBlocks: 3
; NumSGPRsForWavesPerEU: 26
; NumVGPRsForWavesPerEU: 26
; Occupancy: 16
; WaveLimiterHint : 0
; COMPUTE_PGM_RSRC2:SCRATCH_EN: 0
; COMPUTE_PGM_RSRC2:USER_SGPR: 15
; COMPUTE_PGM_RSRC2:TRAP_HANDLER: 0
; COMPUTE_PGM_RSRC2:TGID_X_EN: 1
; COMPUTE_PGM_RSRC2:TGID_Y_EN: 0
; COMPUTE_PGM_RSRC2:TGID_Z_EN: 0
; COMPUTE_PGM_RSRC2:TIDIG_COMP_CNT: 0
	.section	.text._ZN5aiter43moe_smooth_per_token_scaled_quant_kernel_v1ItaLi256ELi8ELb1ELb1ELi1024EEEvPT0_PfPT_S3_PiS6_iiiii,"axG",@progbits,_ZN5aiter43moe_smooth_per_token_scaled_quant_kernel_v1ItaLi256ELi8ELb1ELb1ELi1024EEEvPT0_PfPT_S3_PiS6_iiiii,comdat
	.protected	_ZN5aiter43moe_smooth_per_token_scaled_quant_kernel_v1ItaLi256ELi8ELb1ELb1ELi1024EEEvPT0_PfPT_S3_PiS6_iiiii ; -- Begin function _ZN5aiter43moe_smooth_per_token_scaled_quant_kernel_v1ItaLi256ELi8ELb1ELb1ELi1024EEEvPT0_PfPT_S3_PiS6_iiiii
	.globl	_ZN5aiter43moe_smooth_per_token_scaled_quant_kernel_v1ItaLi256ELi8ELb1ELb1ELi1024EEEvPT0_PfPT_S3_PiS6_iiiii
	.p2align	8
	.type	_ZN5aiter43moe_smooth_per_token_scaled_quant_kernel_v1ItaLi256ELi8ELb1ELb1ELi1024EEEvPT0_PfPT_S3_PiS6_iiiii,@function
_ZN5aiter43moe_smooth_per_token_scaled_quant_kernel_v1ItaLi256ELi8ELb1ELb1ELi1024EEEvPT0_PfPT_S3_PiS6_iiiii: ; @_ZN5aiter43moe_smooth_per_token_scaled_quant_kernel_v1ItaLi256ELi8ELb1ELb1ELi1024EEEvPT0_PfPT_S3_PiS6_iiiii
; %bb.0:
	s_clause 0x2
	s_load_b32 s18, s[0:1], 0x40
	s_load_b256 s[4:11], s[0:1], 0x20
	s_load_b64 s[2:3], s[0:1], 0x10
	s_mov_b32 s20, s15
	v_and_b32_e32 v12, 31, v0
	v_lshlrev_b32_e32 v6, 2, v0
	s_mov_b32 s15, -1
	s_delay_alu instid0(VALU_DEP_2)
	v_lshlrev_b32_e32 v1, 2, v12
	s_waitcnt lgkmcnt(0)
	s_lshl_b32 s14, s18, 2
	s_mul_i32 s16, s20, s9
	s_and_b32 s13, s7, 0xffff
	s_ashr_i32 s17, s16, 31
	s_mov_b32 s12, s6
	s_lshl_b64 s[6:7], s[16:17], 2
	s_clause 0x3
	buffer_load_b32 v7, v6, s[12:15], 0 offen
	buffer_load_b32 v8, v6, s[12:15], 0 offen offset:1024
	buffer_load_b32 v9, v6, s[12:15], 0 offen offset:2048
	;; [unrolled: 1-line block ×3, first 2 shown]
	s_add_u32 s12, s4, s6
	s_addc_u32 s4, s5, s7
	s_lshl_b32 s14, s9, 2
	s_and_b32 s13, s4, 0xffff
	s_mul_hi_i32 s5, s11, s20
	s_mul_i32 s4, s11, s20
	buffer_load_b32 v5, v1, s[12:15], 0 offen
	s_lshl_b64 s[4:5], s[4:5], 1
	v_lshlrev_b32_e32 v1, 4, v0
	s_add_u32 s12, s2, s4
	s_addc_u32 s2, s3, s5
	s_lshl_b32 s14, s10, 1
	s_and_b32 s13, s2, 0xffff
	v_cmp_gt_i32_e32 vcc_lo, s9, v12
	buffer_load_b128 v[1:4], v1, s[12:15], 0 offen
	s_waitcnt vmcnt(4)
	ds_store_2addr_stride64_b32 v6, v7, v8 offset1:4
	s_waitcnt vmcnt(2)
	ds_store_2addr_stride64_b32 v6, v9, v10 offset0:8 offset1:12
	s_waitcnt vmcnt(0) expcnt(1) lgkmcnt(0)
	s_barrier
	buffer_gl0_inv
	v_cmp_gt_i32_e64 s2, s18, v5
	v_cmp_lt_i32_e64 s3, -1, v5
	s_delay_alu instid0(VALU_DEP_2)
	s_and_b32 s2, vcc_lo, s2
	s_delay_alu instid0(VALU_DEP_1) | instid1(SALU_CYCLE_1)
	s_and_b32 s3, s2, s3
	s_delay_alu instid0(SALU_CYCLE_1)
	s_and_saveexec_b32 s2, s3
	s_cbranch_execz .LBB187_2
; %bb.1:
	v_lshlrev_b32_e32 v5, 2, v5
	ds_load_b32 v5, v5
.LBB187_2:
	s_or_b32 exec_lo, exec_lo, s2
	s_cmp_lt_i32 s9, 1
	s_cbranch_scc1 .LBB187_13
; %bb.3:
	s_clause 0x1
	s_load_b128 s[4:7], s[0:1], 0x0
	s_load_b64 s[22:23], s[0:1], 0x18
	v_and_b32_e32 v6, 0xffff, v1
	v_lshrrev_b32_e32 v7, 16, v1
	v_and_b32_e32 v8, 0xffff, v2
	s_add_i32 s1, s10, 7
	v_lshrrev_b32_e32 v2, 16, v2
	s_ashr_i32 s2, s1, 31
	v_cvt_f32_u32_e32 v1, v6
	s_lshr_b32 s2, s2, 29
	v_cvt_f32_u32_e32 v6, v7
	v_cvt_f32_u32_e32 v7, v8
	v_and_b32_e32 v8, 0xffff, v3
	v_lshrrev_b32_e32 v9, 16, v3
	v_and_b32_e32 v10, 0xffff, v4
	v_lshrrev_b32_e32 v11, 16, v4
	v_lshrrev_b32_e32 v13, 3, v0
	v_and_b32_e32 v14, 7, v0
	s_add_i32 s11, s10, 3
	s_add_i32 s1, s1, s2
	s_ashr_i32 s2, s11, 31
	s_movk_i32 s0, 0x7c
	s_ashr_i32 s1, s1, 3
	s_lshr_b32 s2, s2, 30
	v_cvt_f32_u32_e32 v2, v2
	v_cvt_f32_u32_e32 v3, v8
	;; [unrolled: 1-line block ×5, first 2 shown]
	v_lshlrev_b32_e32 v10, 3, v0
	v_lshlrev_b32_e32 v11, 5, v0
	v_cmp_eq_u32_e32 vcc_lo, 31, v12
	v_and_or_b32 v12, v13, s0, 0x1000
	v_lshl_or_b32 v13, v14, 2, 0x1000
	v_cmp_eq_u32_e64 s0, 0, v0
	v_cmp_gt_u32_e64 s1, s1, v0
	v_mov_b32_e32 v0, 0
	s_add_i32 s11, s11, s2
	s_lshl_b32 s14, s10, 2
	s_mov_b32 s3, 0
	s_and_b32 s18, s11, -4
	s_mov_b32 s11, 0x76543210
	s_branch .LBB187_6
.LBB187_4:                              ;   in Loop: Header=BB187_6 Depth=1
	s_or_b32 exec_lo, exec_lo, s2
.LBB187_5:                              ;   in Loop: Header=BB187_6 Depth=1
	s_add_i32 s3, s3, 1
	s_add_i32 s20, s20, s8
	s_cmp_eq_u32 s9, s3
	s_cbranch_scc1 .LBB187_13
.LBB187_6:                              ; =>This Inner Loop Header: Depth=1
	s_waitcnt lgkmcnt(0)
	v_readlane_b32 s2, v5, s3
	s_delay_alu instid0(VALU_DEP_1)
	s_cmp_lt_i32 s2, 0
	s_cbranch_scc1 .LBB187_5
; %bb.7:                                ;   in Loop: Header=BB187_6 Depth=1
	s_mul_i32 s12, s2, s10
	s_delay_alu instid0(SALU_CYCLE_1) | instskip(NEXT) | instid1(SALU_CYCLE_1)
	s_ashr_i32 s13, s12, 31
	s_lshl_b64 s[12:13], s[12:13], 2
	s_delay_alu instid0(SALU_CYCLE_1) | instskip(SKIP_1) | instid1(SALU_CYCLE_1)
	s_add_u32 s12, s22, s12
	s_addc_u32 s2, s23, s13
	s_and_b32 s13, s2, 0xffff
	s_clause 0x1
	buffer_load_b128 v[14:17], v11, s[12:15], 0 offen
	buffer_load_b128 v[22:25], v11, s[12:15], 16 offen
	s_waitcnt vmcnt(1)
	v_dual_mul_f32 v20, v14, v1 :: v_dual_mul_f32 v21, v15, v6
	v_dual_mul_f32 v14, v16, v7 :: v_dual_mul_f32 v15, v17, v2
	s_waitcnt vmcnt(0)
	v_dual_mul_f32 v16, v22, v3 :: v_dual_mul_f32 v17, v23, v4
	s_delay_alu instid0(VALU_DEP_3) | instskip(SKIP_1) | instid1(VALU_DEP_2)
	v_max3_f32 v18, |v20|, 0x2edbe6ff, |v21|
	v_mul_f32_e32 v19, v25, v9
	v_max3_f32 v22, v18, |v14|, |v15|
	v_mul_f32_e32 v18, v24, v8
	s_delay_alu instid0(VALU_DEP_2) | instskip(NEXT) | instid1(VALU_DEP_1)
	v_max3_f32 v22, v22, |v16|, |v17|
	v_max3_f32 v22, v22, |v18|, |v19|
	s_delay_alu instid0(VALU_DEP_1) | instskip(NEXT) | instid1(VALU_DEP_1)
	v_mov_b32_dpp v23, v22 quad_perm:[1,0,3,2] row_mask:0xf bank_mask:0xf
	v_cmp_gt_f32_e64 s2, v22, v23
	s_delay_alu instid0(VALU_DEP_1) | instskip(NEXT) | instid1(VALU_DEP_1)
	v_cndmask_b32_e64 v22, v23, v22, s2
	v_mov_b32_dpp v23, v22 quad_perm:[2,3,0,1] row_mask:0xf bank_mask:0xf
	s_delay_alu instid0(VALU_DEP_1) | instskip(NEXT) | instid1(VALU_DEP_1)
	v_cmp_gt_f32_e64 s2, v22, v23
	v_cndmask_b32_e64 v22, v23, v22, s2
	s_delay_alu instid0(VALU_DEP_1) | instskip(NEXT) | instid1(VALU_DEP_1)
	v_mov_b32_dpp v23, v22 row_xmask:7 row_mask:0xf bank_mask:0xf
	v_cmp_gt_f32_e64 s2, v22, v23
	s_delay_alu instid0(VALU_DEP_1) | instskip(NEXT) | instid1(VALU_DEP_1)
	v_cndmask_b32_e64 v22, v23, v22, s2
	v_mov_b32_dpp v23, v22 row_xmask:15 row_mask:0xf bank_mask:0xf
	s_delay_alu instid0(VALU_DEP_1)
	v_cmp_gt_f32_e64 s2, v22, v23
	s_and_saveexec_b32 s12, vcc_lo
	s_cbranch_execz .LBB187_9
; %bb.8:                                ;   in Loop: Header=BB187_6 Depth=1
	s_delay_alu instid0(VALU_DEP_1) | instskip(NEXT) | instid1(VALU_DEP_1)
	v_cndmask_b32_e64 v22, v23, v22, s2
	v_permlanex16_b32 v23, v22, s11, 0xfedcba98 op_sel:[1,1]
	s_delay_alu instid0(VALU_DEP_1) | instskip(NEXT) | instid1(VALU_DEP_1)
	v_cmp_gt_f32_e64 s2, v22, v23
	v_cndmask_b32_e64 v22, v23, v22, s2
	ds_store_b32 v12, v22
.LBB187_9:                              ;   in Loop: Header=BB187_6 Depth=1
	s_or_b32 exec_lo, exec_lo, s12
	s_waitcnt lgkmcnt(0)
	s_waitcnt_vscnt null, 0x0
	s_barrier
	buffer_gl0_inv
	ds_load_b32 v22, v13
	s_waitcnt lgkmcnt(0)
	v_mov_b32_dpp v23, v22 quad_perm:[1,0,3,2] row_mask:0xf bank_mask:0xf
	s_delay_alu instid0(VALU_DEP_1) | instskip(NEXT) | instid1(VALU_DEP_1)
	v_cmp_gt_f32_e64 s2, v22, v23
	v_cndmask_b32_e64 v22, v23, v22, s2
	s_delay_alu instid0(VALU_DEP_1) | instskip(NEXT) | instid1(VALU_DEP_1)
	v_mov_b32_dpp v23, v22 quad_perm:[2,3,0,1] row_mask:0xf bank_mask:0xf
	v_cmp_gt_f32_e64 s2, v22, v23
	s_delay_alu instid0(VALU_DEP_1) | instskip(NEXT) | instid1(VALU_DEP_1)
	v_cndmask_b32_e64 v22, v23, v22, s2
	v_mov_b32_dpp v23, v22 row_xmask:7 row_mask:0xf bank_mask:0xf
	s_delay_alu instid0(VALU_DEP_1) | instskip(NEXT) | instid1(VALU_DEP_1)
	v_cmp_gt_f32_e64 s2, v22, v23
	v_cndmask_b32_e64 v22, v23, v22, s2
	s_delay_alu instid0(VALU_DEP_1)
	v_mul_f32_e32 v22, 0x3c010204, v22
	s_and_saveexec_b32 s2, s0
	s_cbranch_execz .LBB187_11
; %bb.10:                               ;   in Loop: Header=BB187_6 Depth=1
	s_ashr_i32 s21, s20, 31
	s_delay_alu instid0(SALU_CYCLE_1) | instskip(NEXT) | instid1(SALU_CYCLE_1)
	s_lshl_b64 s[12:13], s[20:21], 2
	s_add_u32 s12, s6, s12
	s_addc_u32 s13, s7, s13
	global_store_b32 v0, v22, s[12:13]
.LBB187_11:                             ;   in Loop: Header=BB187_6 Depth=1
	s_or_b32 exec_lo, exec_lo, s2
	s_and_saveexec_b32 s2, s1
	s_cbranch_execz .LBB187_4
; %bb.12:                               ;   in Loop: Header=BB187_6 Depth=1
	v_rcp_f32_e32 v22, v22
	s_mul_i32 s12, s20, s10
	s_mul_hi_i32 s13, s20, s10
	s_add_u32 s16, s4, s12
	s_addc_u32 s12, s5, s13
	s_mov_b32 s19, s15
	s_and_b32 s17, s12, 0xffff
	s_waitcnt_depctr 0xfff
	v_mul_f32_e32 v16, v16, v22
	v_mul_f32_e32 v17, v17, v22
	;; [unrolled: 1-line block ×5, first 2 shown]
	v_cvt_i32_f32_e32 v16, v16
	v_cvt_i32_f32_e32 v17, v17
	v_mul_f32_e32 v21, v21, v22
	v_cvt_i32_f32_e32 v14, v14
	v_cvt_i32_f32_e32 v15, v15
	v_and_b32_e32 v16, 0xff, v16
	v_lshlrev_b16 v17, 8, v17
	v_mul_f32_e32 v19, v19, v22
	v_and_b32_e32 v14, 0xff, v14
	v_lshlrev_b16 v15, 8, v15
	v_cvt_i32_f32_e32 v21, v21
	v_or_b32_e32 v16, v16, v17
	v_mul_f32_e32 v20, v20, v22
	v_cvt_i32_f32_e32 v19, v19
	v_cvt_i32_f32_e32 v18, v18
	v_or_b32_e32 v14, v14, v15
	v_and_b32_e32 v15, 0xffff, v16
	v_cvt_i32_f32_e32 v20, v20
	v_lshlrev_b16 v19, 8, v19
	v_and_b32_e32 v18, 0xff, v18
	v_lshlrev_b16 v21, 8, v21
	v_lshlrev_b32_e32 v14, 16, v14
	v_and_b32_e32 v20, 0xff, v20
	s_delay_alu instid0(VALU_DEP_4) | instskip(NEXT) | instid1(VALU_DEP_2)
	v_or_b32_e32 v17, v18, v19
	v_or_b32_e32 v18, v20, v21
	s_delay_alu instid0(VALU_DEP_2) | instskip(NEXT) | instid1(VALU_DEP_2)
	v_lshlrev_b32_e32 v16, 16, v17
	v_and_b32_e32 v17, 0xffff, v18
	s_delay_alu instid0(VALU_DEP_2) | instskip(NEXT) | instid1(VALU_DEP_2)
	v_or_b32_e32 v15, v15, v16
	v_or_b32_e32 v14, v17, v14
	buffer_store_b64 v[14:15], v10, s[16:19], 0 offen
	;;#ASMSTART
	s_nop 0
	;;#ASMEND
	s_branch .LBB187_4
.LBB187_13:
	s_nop 0
	s_sendmsg sendmsg(MSG_DEALLOC_VGPRS)
	s_endpgm
	.section	.rodata,"a",@progbits
	.p2align	6, 0x0
	.amdhsa_kernel _ZN5aiter43moe_smooth_per_token_scaled_quant_kernel_v1ItaLi256ELi8ELb1ELb1ELi1024EEEvPT0_PfPT_S3_PiS6_iiiii
		.amdhsa_group_segment_fixed_size 4128
		.amdhsa_private_segment_fixed_size 0
		.amdhsa_kernarg_size 68
		.amdhsa_user_sgpr_count 15
		.amdhsa_user_sgpr_dispatch_ptr 0
		.amdhsa_user_sgpr_queue_ptr 0
		.amdhsa_user_sgpr_kernarg_segment_ptr 1
		.amdhsa_user_sgpr_dispatch_id 0
		.amdhsa_user_sgpr_private_segment_size 0
		.amdhsa_wavefront_size32 1
		.amdhsa_uses_dynamic_stack 0
		.amdhsa_enable_private_segment 0
		.amdhsa_system_sgpr_workgroup_id_x 1
		.amdhsa_system_sgpr_workgroup_id_y 0
		.amdhsa_system_sgpr_workgroup_id_z 0
		.amdhsa_system_sgpr_workgroup_info 0
		.amdhsa_system_vgpr_workitem_id 0
		.amdhsa_next_free_vgpr 26
		.amdhsa_next_free_sgpr 24
		.amdhsa_reserve_vcc 1
		.amdhsa_float_round_mode_32 0
		.amdhsa_float_round_mode_16_64 0
		.amdhsa_float_denorm_mode_32 3
		.amdhsa_float_denorm_mode_16_64 3
		.amdhsa_dx10_clamp 1
		.amdhsa_ieee_mode 1
		.amdhsa_fp16_overflow 0
		.amdhsa_workgroup_processor_mode 1
		.amdhsa_memory_ordered 1
		.amdhsa_forward_progress 0
		.amdhsa_shared_vgpr_count 0
		.amdhsa_exception_fp_ieee_invalid_op 0
		.amdhsa_exception_fp_denorm_src 0
		.amdhsa_exception_fp_ieee_div_zero 0
		.amdhsa_exception_fp_ieee_overflow 0
		.amdhsa_exception_fp_ieee_underflow 0
		.amdhsa_exception_fp_ieee_inexact 0
		.amdhsa_exception_int_div_zero 0
	.end_amdhsa_kernel
	.section	.text._ZN5aiter43moe_smooth_per_token_scaled_quant_kernel_v1ItaLi256ELi8ELb1ELb1ELi1024EEEvPT0_PfPT_S3_PiS6_iiiii,"axG",@progbits,_ZN5aiter43moe_smooth_per_token_scaled_quant_kernel_v1ItaLi256ELi8ELb1ELb1ELi1024EEEvPT0_PfPT_S3_PiS6_iiiii,comdat
.Lfunc_end187:
	.size	_ZN5aiter43moe_smooth_per_token_scaled_quant_kernel_v1ItaLi256ELi8ELb1ELb1ELi1024EEEvPT0_PfPT_S3_PiS6_iiiii, .Lfunc_end187-_ZN5aiter43moe_smooth_per_token_scaled_quant_kernel_v1ItaLi256ELi8ELb1ELb1ELi1024EEEvPT0_PfPT_S3_PiS6_iiiii
                                        ; -- End function
	.section	.AMDGPU.csdata,"",@progbits
; Kernel info:
; codeLenInByte = 1340
; NumSgprs: 26
; NumVgprs: 26
; ScratchSize: 0
; MemoryBound: 0
; FloatMode: 240
; IeeeMode: 1
; LDSByteSize: 4128 bytes/workgroup (compile time only)
; SGPRBlocks: 3
; VGPRBlocks: 3
; NumSGPRsForWavesPerEU: 26
; NumVGPRsForWavesPerEU: 26
; Occupancy: 16
; WaveLimiterHint : 0
; COMPUTE_PGM_RSRC2:SCRATCH_EN: 0
; COMPUTE_PGM_RSRC2:USER_SGPR: 15
; COMPUTE_PGM_RSRC2:TRAP_HANDLER: 0
; COMPUTE_PGM_RSRC2:TGID_X_EN: 1
; COMPUTE_PGM_RSRC2:TGID_Y_EN: 0
; COMPUTE_PGM_RSRC2:TGID_Z_EN: 0
; COMPUTE_PGM_RSRC2:TIDIG_COMP_CNT: 0
	.section	.text._ZN5aiter43moe_smooth_per_token_scaled_quant_kernel_v1IDF16_aLi256ELi8ELb1ELb0ELi1024EEEvPT0_PfPT_S3_PiS6_iiiii,"axG",@progbits,_ZN5aiter43moe_smooth_per_token_scaled_quant_kernel_v1IDF16_aLi256ELi8ELb1ELb0ELi1024EEEvPT0_PfPT_S3_PiS6_iiiii,comdat
	.protected	_ZN5aiter43moe_smooth_per_token_scaled_quant_kernel_v1IDF16_aLi256ELi8ELb1ELb0ELi1024EEEvPT0_PfPT_S3_PiS6_iiiii ; -- Begin function _ZN5aiter43moe_smooth_per_token_scaled_quant_kernel_v1IDF16_aLi256ELi8ELb1ELb0ELi1024EEEvPT0_PfPT_S3_PiS6_iiiii
	.globl	_ZN5aiter43moe_smooth_per_token_scaled_quant_kernel_v1IDF16_aLi256ELi8ELb1ELb0ELi1024EEEvPT0_PfPT_S3_PiS6_iiiii
	.p2align	8
	.type	_ZN5aiter43moe_smooth_per_token_scaled_quant_kernel_v1IDF16_aLi256ELi8ELb1ELb0ELi1024EEEvPT0_PfPT_S3_PiS6_iiiii,@function
_ZN5aiter43moe_smooth_per_token_scaled_quant_kernel_v1IDF16_aLi256ELi8ELb1ELb0ELi1024EEEvPT0_PfPT_S3_PiS6_iiiii: ; @_ZN5aiter43moe_smooth_per_token_scaled_quant_kernel_v1IDF16_aLi256ELi8ELb1ELb0ELi1024EEEvPT0_PfPT_S3_PiS6_iiiii
; %bb.0:
	s_clause 0x2
	s_load_b128 s[4:7], s[0:1], 0x30
	s_load_b64 s[2:3], s[0:1], 0x20
	s_load_b64 s[12:13], s[0:1], 0x10
	v_and_b32_e32 v12, 31, v0
	s_mov_b32 s20, s15
	s_mov_b32 s11, -1
	s_delay_alu instid0(VALU_DEP_1)
	v_lshlrev_b32_e32 v1, 2, v12
	s_waitcnt lgkmcnt(0)
	s_mul_i32 s8, s15, s5
	s_mul_hi_i32 s15, s7, s15
	s_ashr_i32 s9, s8, 31
	s_mul_i32 s14, s7, s20
	s_lshl_b64 s[8:9], s[8:9], 2
	s_delay_alu instid0(SALU_CYCLE_1)
	s_add_u32 s8, s2, s8
	s_addc_u32 s2, s3, s9
	s_lshl_b32 s10, s5, 2
	s_and_b32 s9, s2, 0xffff
	s_lshl_b64 s[2:3], s[14:15], 1
	buffer_load_b32 v5, v1, s[8:11], 0 offen
	s_add_u32 s8, s12, s2
	v_lshlrev_b32_e32 v1, 4, v0
	s_addc_u32 s2, s13, s3
	s_lshl_b32 s10, s6, 1
	s_and_b32 s9, s2, 0xffff
	s_mov_b32 s3, 0
	buffer_load_b128 v[1:4], v1, s[8:11], 0 offen
	s_cmp_lt_i32 s5, 1
	s_waitcnt vmcnt(0) expcnt(1) lgkmcnt(55)
	s_barrier
	buffer_gl0_inv
	s_cbranch_scc1 .LBB188_11
; %bb.1:
	s_clause 0x1
	s_load_b128 s[12:15], s[0:1], 0x0
	s_load_b64 s[22:23], s[0:1], 0x18
	s_add_i32 s1, s6, 7
	v_lshrrev_b32_e32 v6, 16, v1
	s_ashr_i32 s2, s1, 31
	v_lshrrev_b32_e32 v7, 16, v2
	s_lshr_b32 s2, s2, 29
	v_lshrrev_b32_e32 v8, 16, v3
	v_lshrrev_b32_e32 v9, 16, v4
	;; [unrolled: 1-line block ×3, first 2 shown]
	v_and_b32_e32 v14, 7, v0
	s_add_i32 s7, s6, 3
	s_add_i32 s1, s1, s2
	s_ashr_i32 s2, s7, 31
	s_ashr_i32 s1, s1, 3
	s_lshr_b32 s2, s2, 30
	v_cvt_f32_f16_e32 v1, v1
	v_cvt_f32_f16_e32 v6, v6
	;; [unrolled: 1-line block ×8, first 2 shown]
	v_lshlrev_b32_e32 v10, 3, v0
	v_lshlrev_b32_e32 v11, 5, v0
	v_cmp_eq_u32_e32 vcc_lo, 31, v12
	v_and_b32_e32 v12, 0x7c, v13
	v_lshlrev_b32_e32 v13, 2, v14
	v_cmp_eq_u32_e64 s0, 0, v0
	v_cmp_gt_u32_e64 s1, s1, v0
	v_mov_b32_e32 v0, 0
	s_add_i32 s7, s7, s2
	s_lshl_b32 s10, s6, 2
	s_and_b32 s18, s7, -4
	s_mov_b32 s7, 0x76543210
	s_branch .LBB188_4
.LBB188_2:                              ;   in Loop: Header=BB188_4 Depth=1
	s_or_b32 exec_lo, exec_lo, s2
.LBB188_3:                              ;   in Loop: Header=BB188_4 Depth=1
	s_add_i32 s3, s3, 1
	s_add_i32 s20, s20, s4
	s_cmp_eq_u32 s5, s3
	s_cbranch_scc1 .LBB188_11
.LBB188_4:                              ; =>This Inner Loop Header: Depth=1
	v_readlane_b32 s2, v5, s3
	s_delay_alu instid0(VALU_DEP_1)
	s_cmp_lt_i32 s2, 0
	s_cbranch_scc1 .LBB188_3
; %bb.5:                                ;   in Loop: Header=BB188_4 Depth=1
	s_mul_i32 s8, s2, s6
	s_delay_alu instid0(SALU_CYCLE_1) | instskip(NEXT) | instid1(SALU_CYCLE_1)
	s_ashr_i32 s9, s8, 31
	s_lshl_b64 s[8:9], s[8:9], 2
	s_waitcnt lgkmcnt(0)
	s_add_u32 s8, s22, s8
	s_addc_u32 s2, s23, s9
	s_delay_alu instid0(SALU_CYCLE_1)
	s_and_b32 s9, s2, 0xffff
	s_clause 0x1
	buffer_load_b128 v[14:17], v11, s[8:11], 0 offen
	buffer_load_b128 v[22:25], v11, s[8:11], 16 offen
	s_waitcnt vmcnt(1)
	v_dual_mul_f32 v20, v14, v1 :: v_dual_mul_f32 v21, v15, v6
	v_dual_mul_f32 v14, v16, v2 :: v_dual_mul_f32 v15, v17, v7
	s_waitcnt vmcnt(0)
	v_dual_mul_f32 v16, v22, v3 :: v_dual_mul_f32 v17, v23, v8
	s_delay_alu instid0(VALU_DEP_3) | instskip(SKIP_1) | instid1(VALU_DEP_2)
	v_max3_f32 v18, |v20|, 0x2edbe6ff, |v21|
	v_mul_f32_e32 v19, v25, v9
	v_max3_f32 v22, v18, |v14|, |v15|
	v_mul_f32_e32 v18, v24, v4
	s_delay_alu instid0(VALU_DEP_2) | instskip(NEXT) | instid1(VALU_DEP_1)
	v_max3_f32 v22, v22, |v16|, |v17|
	v_max3_f32 v22, v22, |v18|, |v19|
	s_delay_alu instid0(VALU_DEP_1) | instskip(NEXT) | instid1(VALU_DEP_1)
	v_mov_b32_dpp v23, v22 quad_perm:[1,0,3,2] row_mask:0xf bank_mask:0xf
	v_cmp_gt_f32_e64 s2, v22, v23
	s_delay_alu instid0(VALU_DEP_1) | instskip(NEXT) | instid1(VALU_DEP_1)
	v_cndmask_b32_e64 v22, v23, v22, s2
	v_mov_b32_dpp v23, v22 quad_perm:[2,3,0,1] row_mask:0xf bank_mask:0xf
	s_delay_alu instid0(VALU_DEP_1) | instskip(NEXT) | instid1(VALU_DEP_1)
	v_cmp_gt_f32_e64 s2, v22, v23
	v_cndmask_b32_e64 v22, v23, v22, s2
	s_delay_alu instid0(VALU_DEP_1) | instskip(NEXT) | instid1(VALU_DEP_1)
	v_mov_b32_dpp v23, v22 row_xmask:7 row_mask:0xf bank_mask:0xf
	v_cmp_gt_f32_e64 s2, v22, v23
	s_delay_alu instid0(VALU_DEP_1) | instskip(NEXT) | instid1(VALU_DEP_1)
	v_cndmask_b32_e64 v22, v23, v22, s2
	v_mov_b32_dpp v23, v22 row_xmask:15 row_mask:0xf bank_mask:0xf
	s_delay_alu instid0(VALU_DEP_1)
	v_cmp_gt_f32_e64 s2, v22, v23
	s_and_saveexec_b32 s8, vcc_lo
	s_cbranch_execz .LBB188_7
; %bb.6:                                ;   in Loop: Header=BB188_4 Depth=1
	s_delay_alu instid0(VALU_DEP_1) | instskip(NEXT) | instid1(VALU_DEP_1)
	v_cndmask_b32_e64 v22, v23, v22, s2
	v_permlanex16_b32 v23, v22, s7, 0xfedcba98 op_sel:[1,1]
	s_delay_alu instid0(VALU_DEP_1) | instskip(NEXT) | instid1(VALU_DEP_1)
	v_cmp_gt_f32_e64 s2, v22, v23
	v_cndmask_b32_e64 v22, v23, v22, s2
	ds_store_b32 v12, v22
.LBB188_7:                              ;   in Loop: Header=BB188_4 Depth=1
	s_or_b32 exec_lo, exec_lo, s8
	s_waitcnt lgkmcnt(0)
	s_waitcnt_vscnt null, 0x0
	s_barrier
	buffer_gl0_inv
	ds_load_b32 v22, v13
	s_waitcnt lgkmcnt(0)
	v_mov_b32_dpp v23, v22 quad_perm:[1,0,3,2] row_mask:0xf bank_mask:0xf
	s_delay_alu instid0(VALU_DEP_1) | instskip(NEXT) | instid1(VALU_DEP_1)
	v_cmp_gt_f32_e64 s2, v22, v23
	v_cndmask_b32_e64 v22, v23, v22, s2
	s_delay_alu instid0(VALU_DEP_1) | instskip(NEXT) | instid1(VALU_DEP_1)
	v_mov_b32_dpp v23, v22 quad_perm:[2,3,0,1] row_mask:0xf bank_mask:0xf
	v_cmp_gt_f32_e64 s2, v22, v23
	s_delay_alu instid0(VALU_DEP_1) | instskip(NEXT) | instid1(VALU_DEP_1)
	v_cndmask_b32_e64 v22, v23, v22, s2
	v_mov_b32_dpp v23, v22 row_xmask:7 row_mask:0xf bank_mask:0xf
	s_delay_alu instid0(VALU_DEP_1) | instskip(NEXT) | instid1(VALU_DEP_1)
	v_cmp_gt_f32_e64 s2, v22, v23
	v_cndmask_b32_e64 v22, v23, v22, s2
	s_delay_alu instid0(VALU_DEP_1)
	v_mul_f32_e32 v22, 0x3c010204, v22
	s_and_saveexec_b32 s2, s0
	s_cbranch_execz .LBB188_9
; %bb.8:                                ;   in Loop: Header=BB188_4 Depth=1
	s_ashr_i32 s21, s20, 31
	s_delay_alu instid0(SALU_CYCLE_1) | instskip(NEXT) | instid1(SALU_CYCLE_1)
	s_lshl_b64 s[8:9], s[20:21], 2
	s_add_u32 s8, s14, s8
	s_addc_u32 s9, s15, s9
	global_store_b32 v0, v22, s[8:9]
.LBB188_9:                              ;   in Loop: Header=BB188_4 Depth=1
	s_or_b32 exec_lo, exec_lo, s2
	s_and_saveexec_b32 s2, s1
	s_cbranch_execz .LBB188_2
; %bb.10:                               ;   in Loop: Header=BB188_4 Depth=1
	v_rcp_f32_e32 v22, v22
	s_mul_i32 s8, s20, s6
	s_mul_hi_i32 s9, s20, s6
	s_add_u32 s16, s12, s8
	s_addc_u32 s8, s13, s9
	s_mov_b32 s19, s11
	s_and_b32 s17, s8, 0xffff
	s_waitcnt_depctr 0xfff
	v_mul_f32_e32 v16, v16, v22
	v_mul_f32_e32 v17, v17, v22
	;; [unrolled: 1-line block ×5, first 2 shown]
	v_cvt_i32_f32_e32 v16, v16
	v_cvt_i32_f32_e32 v17, v17
	v_mul_f32_e32 v21, v21, v22
	v_cvt_i32_f32_e32 v14, v14
	v_cvt_i32_f32_e32 v15, v15
	v_and_b32_e32 v16, 0xff, v16
	v_lshlrev_b16 v17, 8, v17
	v_mul_f32_e32 v19, v19, v22
	v_and_b32_e32 v14, 0xff, v14
	v_lshlrev_b16 v15, 8, v15
	v_cvt_i32_f32_e32 v21, v21
	v_or_b32_e32 v16, v16, v17
	v_mul_f32_e32 v20, v20, v22
	v_cvt_i32_f32_e32 v19, v19
	v_cvt_i32_f32_e32 v18, v18
	v_or_b32_e32 v14, v14, v15
	v_and_b32_e32 v15, 0xffff, v16
	v_cvt_i32_f32_e32 v20, v20
	v_lshlrev_b16 v19, 8, v19
	v_and_b32_e32 v18, 0xff, v18
	v_lshlrev_b16 v21, 8, v21
	v_lshlrev_b32_e32 v14, 16, v14
	v_and_b32_e32 v20, 0xff, v20
	s_delay_alu instid0(VALU_DEP_4) | instskip(NEXT) | instid1(VALU_DEP_2)
	v_or_b32_e32 v17, v18, v19
	v_or_b32_e32 v18, v20, v21
	s_delay_alu instid0(VALU_DEP_2) | instskip(NEXT) | instid1(VALU_DEP_2)
	v_lshlrev_b32_e32 v16, 16, v17
	v_and_b32_e32 v17, 0xffff, v18
	s_delay_alu instid0(VALU_DEP_2) | instskip(NEXT) | instid1(VALU_DEP_2)
	v_or_b32_e32 v15, v15, v16
	v_or_b32_e32 v14, v17, v14
	buffer_store_b64 v[14:15], v10, s[16:19], 0 offen
	;;#ASMSTART
	s_nop 0
	;;#ASMEND
	s_branch .LBB188_2
.LBB188_11:
	s_nop 0
	s_sendmsg sendmsg(MSG_DEALLOC_VGPRS)
	s_endpgm
	.section	.rodata,"a",@progbits
	.p2align	6, 0x0
	.amdhsa_kernel _ZN5aiter43moe_smooth_per_token_scaled_quant_kernel_v1IDF16_aLi256ELi8ELb1ELb0ELi1024EEEvPT0_PfPT_S3_PiS6_iiiii
		.amdhsa_group_segment_fixed_size 32
		.amdhsa_private_segment_fixed_size 0
		.amdhsa_kernarg_size 68
		.amdhsa_user_sgpr_count 15
		.amdhsa_user_sgpr_dispatch_ptr 0
		.amdhsa_user_sgpr_queue_ptr 0
		.amdhsa_user_sgpr_kernarg_segment_ptr 1
		.amdhsa_user_sgpr_dispatch_id 0
		.amdhsa_user_sgpr_private_segment_size 0
		.amdhsa_wavefront_size32 1
		.amdhsa_uses_dynamic_stack 0
		.amdhsa_enable_private_segment 0
		.amdhsa_system_sgpr_workgroup_id_x 1
		.amdhsa_system_sgpr_workgroup_id_y 0
		.amdhsa_system_sgpr_workgroup_id_z 0
		.amdhsa_system_sgpr_workgroup_info 0
		.amdhsa_system_vgpr_workitem_id 0
		.amdhsa_next_free_vgpr 26
		.amdhsa_next_free_sgpr 24
		.amdhsa_reserve_vcc 1
		.amdhsa_float_round_mode_32 0
		.amdhsa_float_round_mode_16_64 0
		.amdhsa_float_denorm_mode_32 3
		.amdhsa_float_denorm_mode_16_64 3
		.amdhsa_dx10_clamp 1
		.amdhsa_ieee_mode 1
		.amdhsa_fp16_overflow 0
		.amdhsa_workgroup_processor_mode 1
		.amdhsa_memory_ordered 1
		.amdhsa_forward_progress 0
		.amdhsa_shared_vgpr_count 0
		.amdhsa_exception_fp_ieee_invalid_op 0
		.amdhsa_exception_fp_denorm_src 0
		.amdhsa_exception_fp_ieee_div_zero 0
		.amdhsa_exception_fp_ieee_overflow 0
		.amdhsa_exception_fp_ieee_underflow 0
		.amdhsa_exception_fp_ieee_inexact 0
		.amdhsa_exception_int_div_zero 0
	.end_amdhsa_kernel
	.section	.text._ZN5aiter43moe_smooth_per_token_scaled_quant_kernel_v1IDF16_aLi256ELi8ELb1ELb0ELi1024EEEvPT0_PfPT_S3_PiS6_iiiii,"axG",@progbits,_ZN5aiter43moe_smooth_per_token_scaled_quant_kernel_v1IDF16_aLi256ELi8ELb1ELb0ELi1024EEEvPT0_PfPT_S3_PiS6_iiiii,comdat
.Lfunc_end188:
	.size	_ZN5aiter43moe_smooth_per_token_scaled_quant_kernel_v1IDF16_aLi256ELi8ELb1ELb0ELi1024EEEvPT0_PfPT_S3_PiS6_iiiii, .Lfunc_end188-_ZN5aiter43moe_smooth_per_token_scaled_quant_kernel_v1IDF16_aLi256ELi8ELb1ELb0ELi1024EEEvPT0_PfPT_S3_PiS6_iiiii
                                        ; -- End function
	.section	.AMDGPU.csdata,"",@progbits
; Kernel info:
; codeLenInByte = 1152
; NumSgprs: 26
; NumVgprs: 26
; ScratchSize: 0
; MemoryBound: 0
; FloatMode: 240
; IeeeMode: 1
; LDSByteSize: 32 bytes/workgroup (compile time only)
; SGPRBlocks: 3
; VGPRBlocks: 3
; NumSGPRsForWavesPerEU: 26
; NumVGPRsForWavesPerEU: 26
; Occupancy: 16
; WaveLimiterHint : 0
; COMPUTE_PGM_RSRC2:SCRATCH_EN: 0
; COMPUTE_PGM_RSRC2:USER_SGPR: 15
; COMPUTE_PGM_RSRC2:TRAP_HANDLER: 0
; COMPUTE_PGM_RSRC2:TGID_X_EN: 1
; COMPUTE_PGM_RSRC2:TGID_Y_EN: 0
; COMPUTE_PGM_RSRC2:TGID_Z_EN: 0
; COMPUTE_PGM_RSRC2:TIDIG_COMP_CNT: 0
	.section	.text._ZN5aiter43moe_smooth_per_token_scaled_quant_kernel_v1ItaLi256ELi8ELb1ELb0ELi1024EEEvPT0_PfPT_S3_PiS6_iiiii,"axG",@progbits,_ZN5aiter43moe_smooth_per_token_scaled_quant_kernel_v1ItaLi256ELi8ELb1ELb0ELi1024EEEvPT0_PfPT_S3_PiS6_iiiii,comdat
	.protected	_ZN5aiter43moe_smooth_per_token_scaled_quant_kernel_v1ItaLi256ELi8ELb1ELb0ELi1024EEEvPT0_PfPT_S3_PiS6_iiiii ; -- Begin function _ZN5aiter43moe_smooth_per_token_scaled_quant_kernel_v1ItaLi256ELi8ELb1ELb0ELi1024EEEvPT0_PfPT_S3_PiS6_iiiii
	.globl	_ZN5aiter43moe_smooth_per_token_scaled_quant_kernel_v1ItaLi256ELi8ELb1ELb0ELi1024EEEvPT0_PfPT_S3_PiS6_iiiii
	.p2align	8
	.type	_ZN5aiter43moe_smooth_per_token_scaled_quant_kernel_v1ItaLi256ELi8ELb1ELb0ELi1024EEEvPT0_PfPT_S3_PiS6_iiiii,@function
_ZN5aiter43moe_smooth_per_token_scaled_quant_kernel_v1ItaLi256ELi8ELb1ELb0ELi1024EEEvPT0_PfPT_S3_PiS6_iiiii: ; @_ZN5aiter43moe_smooth_per_token_scaled_quant_kernel_v1ItaLi256ELi8ELb1ELb0ELi1024EEEvPT0_PfPT_S3_PiS6_iiiii
; %bb.0:
	s_clause 0x2
	s_load_b128 s[4:7], s[0:1], 0x30
	s_load_b64 s[2:3], s[0:1], 0x20
	s_load_b64 s[12:13], s[0:1], 0x10
	v_and_b32_e32 v12, 31, v0
	s_mov_b32 s20, s15
	s_mov_b32 s11, -1
	s_delay_alu instid0(VALU_DEP_1)
	v_lshlrev_b32_e32 v1, 2, v12
	s_waitcnt lgkmcnt(0)
	s_mul_i32 s8, s15, s5
	s_mul_hi_i32 s15, s7, s15
	s_ashr_i32 s9, s8, 31
	s_mul_i32 s14, s7, s20
	s_lshl_b64 s[8:9], s[8:9], 2
	s_delay_alu instid0(SALU_CYCLE_1)
	s_add_u32 s8, s2, s8
	s_addc_u32 s2, s3, s9
	s_lshl_b32 s10, s5, 2
	s_and_b32 s9, s2, 0xffff
	s_lshl_b64 s[2:3], s[14:15], 1
	buffer_load_b32 v5, v1, s[8:11], 0 offen
	s_add_u32 s8, s12, s2
	v_lshlrev_b32_e32 v1, 4, v0
	s_addc_u32 s2, s13, s3
	s_lshl_b32 s10, s6, 1
	s_and_b32 s9, s2, 0xffff
	s_mov_b32 s3, 0
	buffer_load_b128 v[1:4], v1, s[8:11], 0 offen
	s_cmp_lt_i32 s5, 1
	s_waitcnt vmcnt(0) expcnt(1) lgkmcnt(55)
	s_barrier
	buffer_gl0_inv
	s_cbranch_scc1 .LBB189_11
; %bb.1:
	s_clause 0x1
	s_load_b128 s[12:15], s[0:1], 0x0
	s_load_b64 s[22:23], s[0:1], 0x18
	v_and_b32_e32 v6, 0xffff, v1
	v_lshrrev_b32_e32 v7, 16, v1
	v_and_b32_e32 v8, 0xffff, v2
	s_add_i32 s1, s6, 7
	v_lshrrev_b32_e32 v2, 16, v2
	s_ashr_i32 s2, s1, 31
	v_cvt_f32_u32_e32 v1, v6
	s_lshr_b32 s2, s2, 29
	v_cvt_f32_u32_e32 v6, v7
	v_cvt_f32_u32_e32 v7, v8
	v_and_b32_e32 v8, 0xffff, v3
	v_lshrrev_b32_e32 v9, 16, v3
	v_and_b32_e32 v10, 0xffff, v4
	v_lshrrev_b32_e32 v11, 16, v4
	v_lshrrev_b32_e32 v13, 3, v0
	v_and_b32_e32 v14, 7, v0
	s_add_i32 s7, s6, 3
	s_add_i32 s1, s1, s2
	s_ashr_i32 s2, s7, 31
	s_ashr_i32 s1, s1, 3
	s_lshr_b32 s2, s2, 30
	v_cvt_f32_u32_e32 v2, v2
	v_cvt_f32_u32_e32 v3, v8
	;; [unrolled: 1-line block ×5, first 2 shown]
	v_lshlrev_b32_e32 v10, 3, v0
	v_lshlrev_b32_e32 v11, 5, v0
	v_cmp_eq_u32_e32 vcc_lo, 31, v12
	v_and_b32_e32 v12, 0x7c, v13
	v_lshlrev_b32_e32 v13, 2, v14
	v_cmp_eq_u32_e64 s0, 0, v0
	v_cmp_gt_u32_e64 s1, s1, v0
	v_mov_b32_e32 v0, 0
	s_add_i32 s7, s7, s2
	s_lshl_b32 s10, s6, 2
	s_and_b32 s18, s7, -4
	s_mov_b32 s7, 0x76543210
	s_branch .LBB189_4
.LBB189_2:                              ;   in Loop: Header=BB189_4 Depth=1
	s_or_b32 exec_lo, exec_lo, s2
.LBB189_3:                              ;   in Loop: Header=BB189_4 Depth=1
	s_add_i32 s3, s3, 1
	s_add_i32 s20, s20, s4
	s_cmp_eq_u32 s5, s3
	s_cbranch_scc1 .LBB189_11
.LBB189_4:                              ; =>This Inner Loop Header: Depth=1
	v_readlane_b32 s2, v5, s3
	s_delay_alu instid0(VALU_DEP_1)
	s_cmp_lt_i32 s2, 0
	s_cbranch_scc1 .LBB189_3
; %bb.5:                                ;   in Loop: Header=BB189_4 Depth=1
	s_mul_i32 s8, s2, s6
	s_delay_alu instid0(SALU_CYCLE_1) | instskip(NEXT) | instid1(SALU_CYCLE_1)
	s_ashr_i32 s9, s8, 31
	s_lshl_b64 s[8:9], s[8:9], 2
	s_waitcnt lgkmcnt(0)
	s_add_u32 s8, s22, s8
	s_addc_u32 s2, s23, s9
	s_delay_alu instid0(SALU_CYCLE_1)
	s_and_b32 s9, s2, 0xffff
	s_clause 0x1
	buffer_load_b128 v[14:17], v11, s[8:11], 0 offen
	buffer_load_b128 v[22:25], v11, s[8:11], 16 offen
	s_waitcnt vmcnt(1)
	v_dual_mul_f32 v20, v14, v1 :: v_dual_mul_f32 v21, v15, v6
	v_dual_mul_f32 v14, v16, v7 :: v_dual_mul_f32 v15, v17, v2
	s_waitcnt vmcnt(0)
	v_dual_mul_f32 v16, v22, v3 :: v_dual_mul_f32 v17, v23, v4
	s_delay_alu instid0(VALU_DEP_3) | instskip(SKIP_1) | instid1(VALU_DEP_2)
	v_max3_f32 v18, |v20|, 0x2edbe6ff, |v21|
	v_mul_f32_e32 v19, v25, v9
	v_max3_f32 v22, v18, |v14|, |v15|
	v_mul_f32_e32 v18, v24, v8
	s_delay_alu instid0(VALU_DEP_2) | instskip(NEXT) | instid1(VALU_DEP_1)
	v_max3_f32 v22, v22, |v16|, |v17|
	v_max3_f32 v22, v22, |v18|, |v19|
	s_delay_alu instid0(VALU_DEP_1) | instskip(NEXT) | instid1(VALU_DEP_1)
	v_mov_b32_dpp v23, v22 quad_perm:[1,0,3,2] row_mask:0xf bank_mask:0xf
	v_cmp_gt_f32_e64 s2, v22, v23
	s_delay_alu instid0(VALU_DEP_1) | instskip(NEXT) | instid1(VALU_DEP_1)
	v_cndmask_b32_e64 v22, v23, v22, s2
	v_mov_b32_dpp v23, v22 quad_perm:[2,3,0,1] row_mask:0xf bank_mask:0xf
	s_delay_alu instid0(VALU_DEP_1) | instskip(NEXT) | instid1(VALU_DEP_1)
	v_cmp_gt_f32_e64 s2, v22, v23
	v_cndmask_b32_e64 v22, v23, v22, s2
	s_delay_alu instid0(VALU_DEP_1) | instskip(NEXT) | instid1(VALU_DEP_1)
	v_mov_b32_dpp v23, v22 row_xmask:7 row_mask:0xf bank_mask:0xf
	v_cmp_gt_f32_e64 s2, v22, v23
	s_delay_alu instid0(VALU_DEP_1) | instskip(NEXT) | instid1(VALU_DEP_1)
	v_cndmask_b32_e64 v22, v23, v22, s2
	v_mov_b32_dpp v23, v22 row_xmask:15 row_mask:0xf bank_mask:0xf
	s_delay_alu instid0(VALU_DEP_1)
	v_cmp_gt_f32_e64 s2, v22, v23
	s_and_saveexec_b32 s8, vcc_lo
	s_cbranch_execz .LBB189_7
; %bb.6:                                ;   in Loop: Header=BB189_4 Depth=1
	s_delay_alu instid0(VALU_DEP_1) | instskip(NEXT) | instid1(VALU_DEP_1)
	v_cndmask_b32_e64 v22, v23, v22, s2
	v_permlanex16_b32 v23, v22, s7, 0xfedcba98 op_sel:[1,1]
	s_delay_alu instid0(VALU_DEP_1) | instskip(NEXT) | instid1(VALU_DEP_1)
	v_cmp_gt_f32_e64 s2, v22, v23
	v_cndmask_b32_e64 v22, v23, v22, s2
	ds_store_b32 v12, v22
.LBB189_7:                              ;   in Loop: Header=BB189_4 Depth=1
	s_or_b32 exec_lo, exec_lo, s8
	s_waitcnt lgkmcnt(0)
	s_waitcnt_vscnt null, 0x0
	s_barrier
	buffer_gl0_inv
	ds_load_b32 v22, v13
	s_waitcnt lgkmcnt(0)
	v_mov_b32_dpp v23, v22 quad_perm:[1,0,3,2] row_mask:0xf bank_mask:0xf
	s_delay_alu instid0(VALU_DEP_1) | instskip(NEXT) | instid1(VALU_DEP_1)
	v_cmp_gt_f32_e64 s2, v22, v23
	v_cndmask_b32_e64 v22, v23, v22, s2
	s_delay_alu instid0(VALU_DEP_1) | instskip(NEXT) | instid1(VALU_DEP_1)
	v_mov_b32_dpp v23, v22 quad_perm:[2,3,0,1] row_mask:0xf bank_mask:0xf
	v_cmp_gt_f32_e64 s2, v22, v23
	s_delay_alu instid0(VALU_DEP_1) | instskip(NEXT) | instid1(VALU_DEP_1)
	v_cndmask_b32_e64 v22, v23, v22, s2
	v_mov_b32_dpp v23, v22 row_xmask:7 row_mask:0xf bank_mask:0xf
	s_delay_alu instid0(VALU_DEP_1) | instskip(NEXT) | instid1(VALU_DEP_1)
	v_cmp_gt_f32_e64 s2, v22, v23
	v_cndmask_b32_e64 v22, v23, v22, s2
	s_delay_alu instid0(VALU_DEP_1)
	v_mul_f32_e32 v22, 0x3c010204, v22
	s_and_saveexec_b32 s2, s0
	s_cbranch_execz .LBB189_9
; %bb.8:                                ;   in Loop: Header=BB189_4 Depth=1
	s_ashr_i32 s21, s20, 31
	s_delay_alu instid0(SALU_CYCLE_1) | instskip(NEXT) | instid1(SALU_CYCLE_1)
	s_lshl_b64 s[8:9], s[20:21], 2
	s_add_u32 s8, s14, s8
	s_addc_u32 s9, s15, s9
	global_store_b32 v0, v22, s[8:9]
.LBB189_9:                              ;   in Loop: Header=BB189_4 Depth=1
	s_or_b32 exec_lo, exec_lo, s2
	s_and_saveexec_b32 s2, s1
	s_cbranch_execz .LBB189_2
; %bb.10:                               ;   in Loop: Header=BB189_4 Depth=1
	v_rcp_f32_e32 v22, v22
	s_mul_i32 s8, s20, s6
	s_mul_hi_i32 s9, s20, s6
	s_add_u32 s16, s12, s8
	s_addc_u32 s8, s13, s9
	s_mov_b32 s19, s11
	s_and_b32 s17, s8, 0xffff
	s_waitcnt_depctr 0xfff
	v_mul_f32_e32 v16, v16, v22
	v_mul_f32_e32 v17, v17, v22
	;; [unrolled: 1-line block ×5, first 2 shown]
	v_cvt_i32_f32_e32 v16, v16
	v_cvt_i32_f32_e32 v17, v17
	v_mul_f32_e32 v21, v21, v22
	v_cvt_i32_f32_e32 v14, v14
	v_cvt_i32_f32_e32 v15, v15
	v_and_b32_e32 v16, 0xff, v16
	v_lshlrev_b16 v17, 8, v17
	v_mul_f32_e32 v19, v19, v22
	v_and_b32_e32 v14, 0xff, v14
	v_lshlrev_b16 v15, 8, v15
	v_cvt_i32_f32_e32 v21, v21
	v_or_b32_e32 v16, v16, v17
	v_mul_f32_e32 v20, v20, v22
	v_cvt_i32_f32_e32 v19, v19
	v_cvt_i32_f32_e32 v18, v18
	v_or_b32_e32 v14, v14, v15
	v_and_b32_e32 v15, 0xffff, v16
	v_cvt_i32_f32_e32 v20, v20
	v_lshlrev_b16 v19, 8, v19
	v_and_b32_e32 v18, 0xff, v18
	v_lshlrev_b16 v21, 8, v21
	v_lshlrev_b32_e32 v14, 16, v14
	v_and_b32_e32 v20, 0xff, v20
	s_delay_alu instid0(VALU_DEP_4) | instskip(NEXT) | instid1(VALU_DEP_2)
	v_or_b32_e32 v17, v18, v19
	v_or_b32_e32 v18, v20, v21
	s_delay_alu instid0(VALU_DEP_2) | instskip(NEXT) | instid1(VALU_DEP_2)
	v_lshlrev_b32_e32 v16, 16, v17
	v_and_b32_e32 v17, 0xffff, v18
	s_delay_alu instid0(VALU_DEP_2) | instskip(NEXT) | instid1(VALU_DEP_2)
	v_or_b32_e32 v15, v15, v16
	v_or_b32_e32 v14, v17, v14
	buffer_store_b64 v[14:15], v10, s[16:19], 0 offen
	;;#ASMSTART
	s_nop 0
	;;#ASMEND
	s_branch .LBB189_2
.LBB189_11:
	s_nop 0
	s_sendmsg sendmsg(MSG_DEALLOC_VGPRS)
	s_endpgm
	.section	.rodata,"a",@progbits
	.p2align	6, 0x0
	.amdhsa_kernel _ZN5aiter43moe_smooth_per_token_scaled_quant_kernel_v1ItaLi256ELi8ELb1ELb0ELi1024EEEvPT0_PfPT_S3_PiS6_iiiii
		.amdhsa_group_segment_fixed_size 32
		.amdhsa_private_segment_fixed_size 0
		.amdhsa_kernarg_size 68
		.amdhsa_user_sgpr_count 15
		.amdhsa_user_sgpr_dispatch_ptr 0
		.amdhsa_user_sgpr_queue_ptr 0
		.amdhsa_user_sgpr_kernarg_segment_ptr 1
		.amdhsa_user_sgpr_dispatch_id 0
		.amdhsa_user_sgpr_private_segment_size 0
		.amdhsa_wavefront_size32 1
		.amdhsa_uses_dynamic_stack 0
		.amdhsa_enable_private_segment 0
		.amdhsa_system_sgpr_workgroup_id_x 1
		.amdhsa_system_sgpr_workgroup_id_y 0
		.amdhsa_system_sgpr_workgroup_id_z 0
		.amdhsa_system_sgpr_workgroup_info 0
		.amdhsa_system_vgpr_workitem_id 0
		.amdhsa_next_free_vgpr 26
		.amdhsa_next_free_sgpr 24
		.amdhsa_reserve_vcc 1
		.amdhsa_float_round_mode_32 0
		.amdhsa_float_round_mode_16_64 0
		.amdhsa_float_denorm_mode_32 3
		.amdhsa_float_denorm_mode_16_64 3
		.amdhsa_dx10_clamp 1
		.amdhsa_ieee_mode 1
		.amdhsa_fp16_overflow 0
		.amdhsa_workgroup_processor_mode 1
		.amdhsa_memory_ordered 1
		.amdhsa_forward_progress 0
		.amdhsa_shared_vgpr_count 0
		.amdhsa_exception_fp_ieee_invalid_op 0
		.amdhsa_exception_fp_denorm_src 0
		.amdhsa_exception_fp_ieee_div_zero 0
		.amdhsa_exception_fp_ieee_overflow 0
		.amdhsa_exception_fp_ieee_underflow 0
		.amdhsa_exception_fp_ieee_inexact 0
		.amdhsa_exception_int_div_zero 0
	.end_amdhsa_kernel
	.section	.text._ZN5aiter43moe_smooth_per_token_scaled_quant_kernel_v1ItaLi256ELi8ELb1ELb0ELi1024EEEvPT0_PfPT_S3_PiS6_iiiii,"axG",@progbits,_ZN5aiter43moe_smooth_per_token_scaled_quant_kernel_v1ItaLi256ELi8ELb1ELb0ELi1024EEEvPT0_PfPT_S3_PiS6_iiiii,comdat
.Lfunc_end189:
	.size	_ZN5aiter43moe_smooth_per_token_scaled_quant_kernel_v1ItaLi256ELi8ELb1ELb0ELi1024EEEvPT0_PfPT_S3_PiS6_iiiii, .Lfunc_end189-_ZN5aiter43moe_smooth_per_token_scaled_quant_kernel_v1ItaLi256ELi8ELb1ELb0ELi1024EEEvPT0_PfPT_S3_PiS6_iiiii
                                        ; -- End function
	.section	.AMDGPU.csdata,"",@progbits
; Kernel info:
; codeLenInByte = 1184
; NumSgprs: 26
; NumVgprs: 26
; ScratchSize: 0
; MemoryBound: 0
; FloatMode: 240
; IeeeMode: 1
; LDSByteSize: 32 bytes/workgroup (compile time only)
; SGPRBlocks: 3
; VGPRBlocks: 3
; NumSGPRsForWavesPerEU: 26
; NumVGPRsForWavesPerEU: 26
; Occupancy: 16
; WaveLimiterHint : 0
; COMPUTE_PGM_RSRC2:SCRATCH_EN: 0
; COMPUTE_PGM_RSRC2:USER_SGPR: 15
; COMPUTE_PGM_RSRC2:TRAP_HANDLER: 0
; COMPUTE_PGM_RSRC2:TGID_X_EN: 1
; COMPUTE_PGM_RSRC2:TGID_Y_EN: 0
; COMPUTE_PGM_RSRC2:TGID_Z_EN: 0
; COMPUTE_PGM_RSRC2:TIDIG_COMP_CNT: 0
	.section	.text._ZN5aiter43moe_smooth_per_token_scaled_quant_kernel_v1IDF16_aLi256ELi8ELb0ELb1ELi1024EEEvPT0_PfPT_S3_PiS6_iiiii,"axG",@progbits,_ZN5aiter43moe_smooth_per_token_scaled_quant_kernel_v1IDF16_aLi256ELi8ELb0ELb1ELi1024EEEvPT0_PfPT_S3_PiS6_iiiii,comdat
	.protected	_ZN5aiter43moe_smooth_per_token_scaled_quant_kernel_v1IDF16_aLi256ELi8ELb0ELb1ELi1024EEEvPT0_PfPT_S3_PiS6_iiiii ; -- Begin function _ZN5aiter43moe_smooth_per_token_scaled_quant_kernel_v1IDF16_aLi256ELi8ELb0ELb1ELi1024EEEvPT0_PfPT_S3_PiS6_iiiii
	.globl	_ZN5aiter43moe_smooth_per_token_scaled_quant_kernel_v1IDF16_aLi256ELi8ELb0ELb1ELi1024EEEvPT0_PfPT_S3_PiS6_iiiii
	.p2align	8
	.type	_ZN5aiter43moe_smooth_per_token_scaled_quant_kernel_v1IDF16_aLi256ELi8ELb0ELb1ELi1024EEEvPT0_PfPT_S3_PiS6_iiiii,@function
_ZN5aiter43moe_smooth_per_token_scaled_quant_kernel_v1IDF16_aLi256ELi8ELb0ELb1ELi1024EEEvPT0_PfPT_S3_PiS6_iiiii: ; @_ZN5aiter43moe_smooth_per_token_scaled_quant_kernel_v1IDF16_aLi256ELi8ELb0ELb1ELi1024EEEvPT0_PfPT_S3_PiS6_iiiii
; %bb.0:
	s_clause 0x2
	s_load_b128 s[4:7], s[0:1], 0x34
	s_load_b128 s[8:11], s[0:1], 0x20
	s_load_b64 s[2:3], s[0:1], 0x10
	v_and_b32_e32 v12, 31, v0
	v_lshlrev_b32_e32 v6, 2, v0
	s_mov_b32 s19, -1
	s_delay_alu instid0(VALU_DEP_2)
	v_lshlrev_b32_e32 v1, 2, v12
	s_waitcnt lgkmcnt(0)
	s_mul_i32 s20, s15, s4
	s_lshl_b32 s18, s7, 2
	s_ashr_i32 s21, s20, 31
	s_and_b32 s17, s11, 0xffff
	s_mov_b32 s16, s10
	s_lshl_b64 s[10:11], s[20:21], 2
	s_clause 0x3
	buffer_load_b32 v7, v6, s[16:19], 0 offen
	buffer_load_b32 v8, v6, s[16:19], 0 offen offset:1024
	buffer_load_b32 v9, v6, s[16:19], 0 offen offset:2048
	;; [unrolled: 1-line block ×3, first 2 shown]
	s_add_u32 s16, s8, s10
	s_addc_u32 s8, s9, s11
	s_lshl_b32 s18, s4, 2
	s_and_b32 s17, s8, 0xffff
	s_mul_hi_i32 s9, s6, s15
	s_mul_i32 s8, s6, s15
	buffer_load_b32 v5, v1, s[16:19], 0 offen
	s_lshl_b64 s[8:9], s[8:9], 1
	v_lshlrev_b32_e32 v1, 4, v0
	s_add_u32 s16, s2, s8
	s_addc_u32 s2, s3, s9
	s_lshl_b32 s18, s5, 1
	s_and_b32 s17, s2, 0xffff
	v_cmp_gt_i32_e32 vcc_lo, s4, v12
	buffer_load_b128 v[1:4], v1, s[16:19], 0 offen
	s_waitcnt vmcnt(4)
	ds_store_2addr_stride64_b32 v6, v7, v8 offset1:4
	s_waitcnt vmcnt(2)
	ds_store_2addr_stride64_b32 v6, v9, v10 offset0:8 offset1:12
	s_waitcnt vmcnt(0) expcnt(1) lgkmcnt(0)
	s_barrier
	buffer_gl0_inv
	v_cmp_gt_i32_e64 s2, s7, v5
	v_cmp_lt_i32_e64 s3, -1, v5
	s_delay_alu instid0(VALU_DEP_2)
	s_and_b32 s2, vcc_lo, s2
	s_delay_alu instid0(VALU_DEP_1) | instid1(SALU_CYCLE_1)
	s_and_b32 s3, s2, s3
	s_delay_alu instid0(SALU_CYCLE_1)
	s_and_saveexec_b32 s2, s3
	s_cbranch_execz .LBB190_2
; %bb.1:
	v_lshlrev_b32_e32 v5, 2, v5
	ds_load_b32 v5, v5
.LBB190_2:
	s_or_b32 exec_lo, exec_lo, s2
	s_cmp_lt_i32 s4, 1
	s_cbranch_scc1 .LBB190_13
; %bb.3:
	s_clause 0x1
	s_load_b128 s[8:11], s[0:1], 0x0
	s_load_b64 s[6:7], s[0:1], 0x18
	s_add_i32 s1, s5, 7
	v_lshrrev_b32_e32 v6, 16, v1
	s_ashr_i32 s2, s1, 31
	v_lshrrev_b32_e32 v7, 16, v2
	s_lshr_b32 s2, s2, 29
	v_lshrrev_b32_e32 v8, 16, v3
	v_lshrrev_b32_e32 v9, 16, v4
	;; [unrolled: 1-line block ×3, first 2 shown]
	v_and_b32_e32 v14, 7, v0
	s_add_i32 s3, s5, 3
	s_add_i32 s1, s1, s2
	s_ashr_i32 s2, s3, 31
	s_movk_i32 s0, 0x7c
	s_ashr_i32 s1, s1, 3
	s_lshr_b32 s2, s2, 30
	v_cvt_f32_f16_e32 v1, v1
	v_cvt_f32_f16_e32 v6, v6
	;; [unrolled: 1-line block ×8, first 2 shown]
	v_lshlrev_b32_e32 v10, 3, v0
	v_lshlrev_b32_e32 v11, 5, v0
	v_cmp_eq_u32_e32 vcc_lo, 31, v12
	v_and_or_b32 v12, v13, s0, 0x1000
	v_lshl_or_b32 v13, v14, 2, 0x1000
	v_cmp_eq_u32_e64 s0, 0, v0
	v_cmp_gt_u32_e64 s1, s1, v0
	v_mov_b32_e32 v0, 0
	s_add_i32 s3, s3, s2
	s_mov_b32 s21, s5
	s_lshl_b32 s14, s5, 2
	s_mov_b32 s22, 0
	s_and_b32 s18, s3, -4
	s_mov_b32 s15, -1
	s_mov_b32 s5, 0x76543210
	s_branch .LBB190_6
.LBB190_4:                              ;   in Loop: Header=BB190_6 Depth=1
	s_or_b32 exec_lo, exec_lo, s3
.LBB190_5:                              ;   in Loop: Header=BB190_6 Depth=1
	s_add_i32 s22, s22, 1
	s_delay_alu instid0(SALU_CYCLE_1)
	s_cmp_eq_u32 s4, s22
	s_cbranch_scc1 .LBB190_13
.LBB190_6:                              ; =>This Inner Loop Header: Depth=1
	s_waitcnt lgkmcnt(0)
	v_readlane_b32 s2, v5, s22
	s_delay_alu instid0(VALU_DEP_1)
	s_cmp_lt_i32 s2, 0
	s_cbranch_scc1 .LBB190_5
; %bb.7:                                ;   in Loop: Header=BB190_6 Depth=1
	s_mul_i32 s2, s2, s21
	s_delay_alu instid0(SALU_CYCLE_1) | instskip(NEXT) | instid1(SALU_CYCLE_1)
	s_ashr_i32 s3, s2, 31
	s_lshl_b64 s[2:3], s[2:3], 2
	s_delay_alu instid0(SALU_CYCLE_1) | instskip(SKIP_1) | instid1(SALU_CYCLE_1)
	s_add_u32 s12, s6, s2
	s_addc_u32 s2, s7, s3
	s_and_b32 s13, s2, 0xffff
	s_clause 0x1
	buffer_load_b128 v[14:17], v11, s[12:15], 0 offen
	buffer_load_b128 v[22:25], v11, s[12:15], 16 offen
	s_waitcnt vmcnt(1)
	v_dual_mul_f32 v20, v14, v1 :: v_dual_mul_f32 v21, v15, v6
	v_dual_mul_f32 v14, v16, v2 :: v_dual_mul_f32 v15, v17, v7
	s_waitcnt vmcnt(0)
	v_dual_mul_f32 v16, v22, v3 :: v_dual_mul_f32 v17, v23, v8
	s_delay_alu instid0(VALU_DEP_3) | instskip(SKIP_1) | instid1(VALU_DEP_2)
	v_max3_f32 v18, |v20|, 0x2edbe6ff, |v21|
	v_mul_f32_e32 v19, v25, v9
	v_max3_f32 v22, v18, |v14|, |v15|
	v_mul_f32_e32 v18, v24, v4
	s_delay_alu instid0(VALU_DEP_2) | instskip(NEXT) | instid1(VALU_DEP_1)
	v_max3_f32 v22, v22, |v16|, |v17|
	v_max3_f32 v22, v22, |v18|, |v19|
	s_delay_alu instid0(VALU_DEP_1) | instskip(NEXT) | instid1(VALU_DEP_1)
	v_mov_b32_dpp v23, v22 quad_perm:[1,0,3,2] row_mask:0xf bank_mask:0xf
	v_cmp_gt_f32_e64 s2, v22, v23
	s_delay_alu instid0(VALU_DEP_1) | instskip(NEXT) | instid1(VALU_DEP_1)
	v_cndmask_b32_e64 v22, v23, v22, s2
	v_mov_b32_dpp v23, v22 quad_perm:[2,3,0,1] row_mask:0xf bank_mask:0xf
	s_delay_alu instid0(VALU_DEP_1) | instskip(NEXT) | instid1(VALU_DEP_1)
	v_cmp_gt_f32_e64 s2, v22, v23
	v_cndmask_b32_e64 v22, v23, v22, s2
	s_delay_alu instid0(VALU_DEP_1) | instskip(NEXT) | instid1(VALU_DEP_1)
	v_mov_b32_dpp v23, v22 row_xmask:7 row_mask:0xf bank_mask:0xf
	v_cmp_gt_f32_e64 s2, v22, v23
	s_delay_alu instid0(VALU_DEP_1) | instskip(NEXT) | instid1(VALU_DEP_1)
	v_cndmask_b32_e64 v22, v23, v22, s2
	v_mov_b32_dpp v23, v22 row_xmask:15 row_mask:0xf bank_mask:0xf
	s_delay_alu instid0(VALU_DEP_1)
	v_cmp_gt_f32_e64 s2, v22, v23
	s_and_saveexec_b32 s3, vcc_lo
	s_cbranch_execz .LBB190_9
; %bb.8:                                ;   in Loop: Header=BB190_6 Depth=1
	s_delay_alu instid0(VALU_DEP_1) | instskip(NEXT) | instid1(VALU_DEP_1)
	v_cndmask_b32_e64 v22, v23, v22, s2
	v_permlanex16_b32 v23, v22, s5, 0xfedcba98 op_sel:[1,1]
	s_delay_alu instid0(VALU_DEP_1) | instskip(NEXT) | instid1(VALU_DEP_1)
	v_cmp_gt_f32_e64 s2, v22, v23
	v_cndmask_b32_e64 v22, v23, v22, s2
	ds_store_b32 v12, v22
.LBB190_9:                              ;   in Loop: Header=BB190_6 Depth=1
	s_or_b32 exec_lo, exec_lo, s3
	s_waitcnt lgkmcnt(0)
	s_waitcnt_vscnt null, 0x0
	s_barrier
	buffer_gl0_inv
	ds_load_b32 v22, v13
	s_waitcnt lgkmcnt(0)
	v_mov_b32_dpp v23, v22 quad_perm:[1,0,3,2] row_mask:0xf bank_mask:0xf
	s_delay_alu instid0(VALU_DEP_1) | instskip(NEXT) | instid1(VALU_DEP_1)
	v_cmp_gt_f32_e64 s2, v22, v23
	v_cndmask_b32_e64 v22, v23, v22, s2
	s_delay_alu instid0(VALU_DEP_1) | instskip(NEXT) | instid1(VALU_DEP_1)
	v_mov_b32_dpp v23, v22 quad_perm:[2,3,0,1] row_mask:0xf bank_mask:0xf
	v_cmp_gt_f32_e64 s2, v22, v23
	s_delay_alu instid0(VALU_DEP_1) | instskip(NEXT) | instid1(VALU_DEP_1)
	v_cndmask_b32_e64 v22, v23, v22, s2
	v_mov_b32_dpp v23, v22 row_xmask:7 row_mask:0xf bank_mask:0xf
	s_delay_alu instid0(VALU_DEP_1) | instskip(NEXT) | instid1(VALU_DEP_1)
	v_cmp_gt_f32_e64 s2, v22, v23
	v_cndmask_b32_e64 v22, v23, v22, s2
	s_add_i32 s2, s20, s22
	s_delay_alu instid0(VALU_DEP_1)
	v_mul_f32_e32 v22, 0x3c010204, v22
	s_and_saveexec_b32 s12, s0
	s_cbranch_execz .LBB190_11
; %bb.10:                               ;   in Loop: Header=BB190_6 Depth=1
	s_ashr_i32 s3, s2, 31
	s_delay_alu instid0(SALU_CYCLE_1) | instskip(NEXT) | instid1(SALU_CYCLE_1)
	s_lshl_b64 s[16:17], s[2:3], 2
	s_add_u32 s16, s10, s16
	s_addc_u32 s17, s11, s17
	global_store_b32 v0, v22, s[16:17]
.LBB190_11:                             ;   in Loop: Header=BB190_6 Depth=1
	s_or_b32 exec_lo, exec_lo, s12
	s_and_saveexec_b32 s3, s1
	s_cbranch_execz .LBB190_4
; %bb.12:                               ;   in Loop: Header=BB190_6 Depth=1
	v_rcp_f32_e32 v22, v22
	s_mul_i32 s12, s2, s21
	s_mul_hi_i32 s2, s2, s21
	s_add_u32 s16, s8, s12
	s_addc_u32 s2, s9, s2
	s_mov_b32 s19, s15
	s_and_b32 s17, s2, 0xffff
	s_waitcnt_depctr 0xfff
	v_mul_f32_e32 v16, v16, v22
	v_mul_f32_e32 v17, v17, v22
	;; [unrolled: 1-line block ×5, first 2 shown]
	v_cvt_i32_f32_e32 v16, v16
	v_cvt_i32_f32_e32 v17, v17
	v_mul_f32_e32 v21, v21, v22
	v_cvt_i32_f32_e32 v14, v14
	v_cvt_i32_f32_e32 v15, v15
	v_and_b32_e32 v16, 0xff, v16
	v_lshlrev_b16 v17, 8, v17
	v_mul_f32_e32 v19, v19, v22
	v_and_b32_e32 v14, 0xff, v14
	v_lshlrev_b16 v15, 8, v15
	v_cvt_i32_f32_e32 v21, v21
	v_or_b32_e32 v16, v16, v17
	v_mul_f32_e32 v20, v20, v22
	v_cvt_i32_f32_e32 v19, v19
	v_cvt_i32_f32_e32 v18, v18
	v_or_b32_e32 v14, v14, v15
	v_and_b32_e32 v15, 0xffff, v16
	v_cvt_i32_f32_e32 v20, v20
	v_lshlrev_b16 v19, 8, v19
	v_and_b32_e32 v18, 0xff, v18
	v_lshlrev_b16 v21, 8, v21
	v_lshlrev_b32_e32 v14, 16, v14
	v_and_b32_e32 v20, 0xff, v20
	s_delay_alu instid0(VALU_DEP_4) | instskip(NEXT) | instid1(VALU_DEP_2)
	v_or_b32_e32 v17, v18, v19
	v_or_b32_e32 v18, v20, v21
	s_delay_alu instid0(VALU_DEP_2) | instskip(NEXT) | instid1(VALU_DEP_2)
	v_lshlrev_b32_e32 v16, 16, v17
	v_and_b32_e32 v17, 0xffff, v18
	s_delay_alu instid0(VALU_DEP_2) | instskip(NEXT) | instid1(VALU_DEP_2)
	v_or_b32_e32 v15, v15, v16
	v_or_b32_e32 v14, v17, v14
	buffer_store_b64 v[14:15], v10, s[16:19], 0 offen
	;;#ASMSTART
	s_nop 0
	;;#ASMEND
	s_branch .LBB190_4
.LBB190_13:
	s_nop 0
	s_sendmsg sendmsg(MSG_DEALLOC_VGPRS)
	s_endpgm
	.section	.rodata,"a",@progbits
	.p2align	6, 0x0
	.amdhsa_kernel _ZN5aiter43moe_smooth_per_token_scaled_quant_kernel_v1IDF16_aLi256ELi8ELb0ELb1ELi1024EEEvPT0_PfPT_S3_PiS6_iiiii
		.amdhsa_group_segment_fixed_size 4128
		.amdhsa_private_segment_fixed_size 0
		.amdhsa_kernarg_size 68
		.amdhsa_user_sgpr_count 15
		.amdhsa_user_sgpr_dispatch_ptr 0
		.amdhsa_user_sgpr_queue_ptr 0
		.amdhsa_user_sgpr_kernarg_segment_ptr 1
		.amdhsa_user_sgpr_dispatch_id 0
		.amdhsa_user_sgpr_private_segment_size 0
		.amdhsa_wavefront_size32 1
		.amdhsa_uses_dynamic_stack 0
		.amdhsa_enable_private_segment 0
		.amdhsa_system_sgpr_workgroup_id_x 1
		.amdhsa_system_sgpr_workgroup_id_y 0
		.amdhsa_system_sgpr_workgroup_id_z 0
		.amdhsa_system_sgpr_workgroup_info 0
		.amdhsa_system_vgpr_workitem_id 0
		.amdhsa_next_free_vgpr 26
		.amdhsa_next_free_sgpr 23
		.amdhsa_reserve_vcc 1
		.amdhsa_float_round_mode_32 0
		.amdhsa_float_round_mode_16_64 0
		.amdhsa_float_denorm_mode_32 3
		.amdhsa_float_denorm_mode_16_64 3
		.amdhsa_dx10_clamp 1
		.amdhsa_ieee_mode 1
		.amdhsa_fp16_overflow 0
		.amdhsa_workgroup_processor_mode 1
		.amdhsa_memory_ordered 1
		.amdhsa_forward_progress 0
		.amdhsa_shared_vgpr_count 0
		.amdhsa_exception_fp_ieee_invalid_op 0
		.amdhsa_exception_fp_denorm_src 0
		.amdhsa_exception_fp_ieee_div_zero 0
		.amdhsa_exception_fp_ieee_overflow 0
		.amdhsa_exception_fp_ieee_underflow 0
		.amdhsa_exception_fp_ieee_inexact 0
		.amdhsa_exception_int_div_zero 0
	.end_amdhsa_kernel
	.section	.text._ZN5aiter43moe_smooth_per_token_scaled_quant_kernel_v1IDF16_aLi256ELi8ELb0ELb1ELi1024EEEvPT0_PfPT_S3_PiS6_iiiii,"axG",@progbits,_ZN5aiter43moe_smooth_per_token_scaled_quant_kernel_v1IDF16_aLi256ELi8ELb0ELb1ELi1024EEEvPT0_PfPT_S3_PiS6_iiiii,comdat
.Lfunc_end190:
	.size	_ZN5aiter43moe_smooth_per_token_scaled_quant_kernel_v1IDF16_aLi256ELi8ELb0ELb1ELi1024EEEvPT0_PfPT_S3_PiS6_iiiii, .Lfunc_end190-_ZN5aiter43moe_smooth_per_token_scaled_quant_kernel_v1IDF16_aLi256ELi8ELb0ELb1ELi1024EEEvPT0_PfPT_S3_PiS6_iiiii
                                        ; -- End function
	.section	.AMDGPU.csdata,"",@progbits
; Kernel info:
; codeLenInByte = 1316
; NumSgprs: 25
; NumVgprs: 26
; ScratchSize: 0
; MemoryBound: 0
; FloatMode: 240
; IeeeMode: 1
; LDSByteSize: 4128 bytes/workgroup (compile time only)
; SGPRBlocks: 3
; VGPRBlocks: 3
; NumSGPRsForWavesPerEU: 25
; NumVGPRsForWavesPerEU: 26
; Occupancy: 16
; WaveLimiterHint : 0
; COMPUTE_PGM_RSRC2:SCRATCH_EN: 0
; COMPUTE_PGM_RSRC2:USER_SGPR: 15
; COMPUTE_PGM_RSRC2:TRAP_HANDLER: 0
; COMPUTE_PGM_RSRC2:TGID_X_EN: 1
; COMPUTE_PGM_RSRC2:TGID_Y_EN: 0
; COMPUTE_PGM_RSRC2:TGID_Z_EN: 0
; COMPUTE_PGM_RSRC2:TIDIG_COMP_CNT: 0
	.section	.text._ZN5aiter43moe_smooth_per_token_scaled_quant_kernel_v1ItaLi256ELi8ELb0ELb1ELi1024EEEvPT0_PfPT_S3_PiS6_iiiii,"axG",@progbits,_ZN5aiter43moe_smooth_per_token_scaled_quant_kernel_v1ItaLi256ELi8ELb0ELb1ELi1024EEEvPT0_PfPT_S3_PiS6_iiiii,comdat
	.protected	_ZN5aiter43moe_smooth_per_token_scaled_quant_kernel_v1ItaLi256ELi8ELb0ELb1ELi1024EEEvPT0_PfPT_S3_PiS6_iiiii ; -- Begin function _ZN5aiter43moe_smooth_per_token_scaled_quant_kernel_v1ItaLi256ELi8ELb0ELb1ELi1024EEEvPT0_PfPT_S3_PiS6_iiiii
	.globl	_ZN5aiter43moe_smooth_per_token_scaled_quant_kernel_v1ItaLi256ELi8ELb0ELb1ELi1024EEEvPT0_PfPT_S3_PiS6_iiiii
	.p2align	8
	.type	_ZN5aiter43moe_smooth_per_token_scaled_quant_kernel_v1ItaLi256ELi8ELb0ELb1ELi1024EEEvPT0_PfPT_S3_PiS6_iiiii,@function
_ZN5aiter43moe_smooth_per_token_scaled_quant_kernel_v1ItaLi256ELi8ELb0ELb1ELi1024EEEvPT0_PfPT_S3_PiS6_iiiii: ; @_ZN5aiter43moe_smooth_per_token_scaled_quant_kernel_v1ItaLi256ELi8ELb0ELb1ELi1024EEEvPT0_PfPT_S3_PiS6_iiiii
; %bb.0:
	s_clause 0x2
	s_load_b128 s[4:7], s[0:1], 0x34
	s_load_b128 s[8:11], s[0:1], 0x20
	s_load_b64 s[2:3], s[0:1], 0x10
	v_and_b32_e32 v12, 31, v0
	v_lshlrev_b32_e32 v6, 2, v0
	s_mov_b32 s19, -1
	s_delay_alu instid0(VALU_DEP_2)
	v_lshlrev_b32_e32 v1, 2, v12
	s_waitcnt lgkmcnt(0)
	s_mul_i32 s20, s15, s4
	s_lshl_b32 s18, s7, 2
	s_ashr_i32 s21, s20, 31
	s_and_b32 s17, s11, 0xffff
	s_mov_b32 s16, s10
	s_lshl_b64 s[10:11], s[20:21], 2
	s_clause 0x3
	buffer_load_b32 v7, v6, s[16:19], 0 offen
	buffer_load_b32 v8, v6, s[16:19], 0 offen offset:1024
	buffer_load_b32 v9, v6, s[16:19], 0 offen offset:2048
	;; [unrolled: 1-line block ×3, first 2 shown]
	s_add_u32 s16, s8, s10
	s_addc_u32 s8, s9, s11
	s_lshl_b32 s18, s4, 2
	s_and_b32 s17, s8, 0xffff
	s_mul_hi_i32 s9, s6, s15
	s_mul_i32 s8, s6, s15
	buffer_load_b32 v5, v1, s[16:19], 0 offen
	s_lshl_b64 s[8:9], s[8:9], 1
	v_lshlrev_b32_e32 v1, 4, v0
	s_add_u32 s16, s2, s8
	s_addc_u32 s2, s3, s9
	s_lshl_b32 s18, s5, 1
	s_and_b32 s17, s2, 0xffff
	v_cmp_gt_i32_e32 vcc_lo, s4, v12
	buffer_load_b128 v[1:4], v1, s[16:19], 0 offen
	s_waitcnt vmcnt(4)
	ds_store_2addr_stride64_b32 v6, v7, v8 offset1:4
	s_waitcnt vmcnt(2)
	ds_store_2addr_stride64_b32 v6, v9, v10 offset0:8 offset1:12
	s_waitcnt vmcnt(0) expcnt(1) lgkmcnt(0)
	s_barrier
	buffer_gl0_inv
	v_cmp_gt_i32_e64 s2, s7, v5
	v_cmp_lt_i32_e64 s3, -1, v5
	s_delay_alu instid0(VALU_DEP_2)
	s_and_b32 s2, vcc_lo, s2
	s_delay_alu instid0(VALU_DEP_1) | instid1(SALU_CYCLE_1)
	s_and_b32 s3, s2, s3
	s_delay_alu instid0(SALU_CYCLE_1)
	s_and_saveexec_b32 s2, s3
	s_cbranch_execz .LBB191_2
; %bb.1:
	v_lshlrev_b32_e32 v5, 2, v5
	ds_load_b32 v5, v5
.LBB191_2:
	s_or_b32 exec_lo, exec_lo, s2
	s_cmp_lt_i32 s4, 1
	s_cbranch_scc1 .LBB191_13
; %bb.3:
	s_clause 0x1
	s_load_b128 s[8:11], s[0:1], 0x0
	s_load_b64 s[6:7], s[0:1], 0x18
	v_and_b32_e32 v6, 0xffff, v1
	v_lshrrev_b32_e32 v7, 16, v1
	v_and_b32_e32 v8, 0xffff, v2
	s_add_i32 s1, s5, 7
	v_lshrrev_b32_e32 v2, 16, v2
	s_ashr_i32 s2, s1, 31
	v_cvt_f32_u32_e32 v1, v6
	s_lshr_b32 s2, s2, 29
	v_cvt_f32_u32_e32 v6, v7
	v_cvt_f32_u32_e32 v7, v8
	v_and_b32_e32 v8, 0xffff, v3
	v_lshrrev_b32_e32 v9, 16, v3
	v_and_b32_e32 v10, 0xffff, v4
	v_lshrrev_b32_e32 v11, 16, v4
	v_lshrrev_b32_e32 v13, 3, v0
	v_and_b32_e32 v14, 7, v0
	s_add_i32 s3, s5, 3
	s_add_i32 s1, s1, s2
	s_ashr_i32 s2, s3, 31
	s_movk_i32 s0, 0x7c
	s_ashr_i32 s1, s1, 3
	s_lshr_b32 s2, s2, 30
	v_cvt_f32_u32_e32 v2, v2
	v_cvt_f32_u32_e32 v3, v8
	;; [unrolled: 1-line block ×5, first 2 shown]
	v_lshlrev_b32_e32 v10, 3, v0
	v_lshlrev_b32_e32 v11, 5, v0
	v_cmp_eq_u32_e32 vcc_lo, 31, v12
	v_and_or_b32 v12, v13, s0, 0x1000
	v_lshl_or_b32 v13, v14, 2, 0x1000
	v_cmp_eq_u32_e64 s0, 0, v0
	v_cmp_gt_u32_e64 s1, s1, v0
	v_mov_b32_e32 v0, 0
	s_add_i32 s3, s3, s2
	s_mov_b32 s21, s5
	s_lshl_b32 s14, s5, 2
	s_mov_b32 s22, 0
	s_and_b32 s18, s3, -4
	s_mov_b32 s15, -1
	s_mov_b32 s5, 0x76543210
	s_branch .LBB191_6
.LBB191_4:                              ;   in Loop: Header=BB191_6 Depth=1
	s_or_b32 exec_lo, exec_lo, s3
.LBB191_5:                              ;   in Loop: Header=BB191_6 Depth=1
	s_add_i32 s22, s22, 1
	s_delay_alu instid0(SALU_CYCLE_1)
	s_cmp_eq_u32 s4, s22
	s_cbranch_scc1 .LBB191_13
.LBB191_6:                              ; =>This Inner Loop Header: Depth=1
	s_waitcnt lgkmcnt(0)
	v_readlane_b32 s2, v5, s22
	s_delay_alu instid0(VALU_DEP_1)
	s_cmp_lt_i32 s2, 0
	s_cbranch_scc1 .LBB191_5
; %bb.7:                                ;   in Loop: Header=BB191_6 Depth=1
	s_mul_i32 s2, s2, s21
	s_delay_alu instid0(SALU_CYCLE_1) | instskip(NEXT) | instid1(SALU_CYCLE_1)
	s_ashr_i32 s3, s2, 31
	s_lshl_b64 s[2:3], s[2:3], 2
	s_delay_alu instid0(SALU_CYCLE_1) | instskip(SKIP_1) | instid1(SALU_CYCLE_1)
	s_add_u32 s12, s6, s2
	s_addc_u32 s2, s7, s3
	s_and_b32 s13, s2, 0xffff
	s_clause 0x1
	buffer_load_b128 v[14:17], v11, s[12:15], 0 offen
	buffer_load_b128 v[22:25], v11, s[12:15], 16 offen
	s_waitcnt vmcnt(1)
	v_dual_mul_f32 v20, v14, v1 :: v_dual_mul_f32 v21, v15, v6
	v_dual_mul_f32 v14, v16, v7 :: v_dual_mul_f32 v15, v17, v2
	s_waitcnt vmcnt(0)
	v_dual_mul_f32 v16, v22, v3 :: v_dual_mul_f32 v17, v23, v4
	s_delay_alu instid0(VALU_DEP_3) | instskip(SKIP_1) | instid1(VALU_DEP_2)
	v_max3_f32 v18, |v20|, 0x2edbe6ff, |v21|
	v_mul_f32_e32 v19, v25, v9
	v_max3_f32 v22, v18, |v14|, |v15|
	v_mul_f32_e32 v18, v24, v8
	s_delay_alu instid0(VALU_DEP_2) | instskip(NEXT) | instid1(VALU_DEP_1)
	v_max3_f32 v22, v22, |v16|, |v17|
	v_max3_f32 v22, v22, |v18|, |v19|
	s_delay_alu instid0(VALU_DEP_1) | instskip(NEXT) | instid1(VALU_DEP_1)
	v_mov_b32_dpp v23, v22 quad_perm:[1,0,3,2] row_mask:0xf bank_mask:0xf
	v_cmp_gt_f32_e64 s2, v22, v23
	s_delay_alu instid0(VALU_DEP_1) | instskip(NEXT) | instid1(VALU_DEP_1)
	v_cndmask_b32_e64 v22, v23, v22, s2
	v_mov_b32_dpp v23, v22 quad_perm:[2,3,0,1] row_mask:0xf bank_mask:0xf
	s_delay_alu instid0(VALU_DEP_1) | instskip(NEXT) | instid1(VALU_DEP_1)
	v_cmp_gt_f32_e64 s2, v22, v23
	v_cndmask_b32_e64 v22, v23, v22, s2
	s_delay_alu instid0(VALU_DEP_1) | instskip(NEXT) | instid1(VALU_DEP_1)
	v_mov_b32_dpp v23, v22 row_xmask:7 row_mask:0xf bank_mask:0xf
	v_cmp_gt_f32_e64 s2, v22, v23
	s_delay_alu instid0(VALU_DEP_1) | instskip(NEXT) | instid1(VALU_DEP_1)
	v_cndmask_b32_e64 v22, v23, v22, s2
	v_mov_b32_dpp v23, v22 row_xmask:15 row_mask:0xf bank_mask:0xf
	s_delay_alu instid0(VALU_DEP_1)
	v_cmp_gt_f32_e64 s2, v22, v23
	s_and_saveexec_b32 s3, vcc_lo
	s_cbranch_execz .LBB191_9
; %bb.8:                                ;   in Loop: Header=BB191_6 Depth=1
	s_delay_alu instid0(VALU_DEP_1) | instskip(NEXT) | instid1(VALU_DEP_1)
	v_cndmask_b32_e64 v22, v23, v22, s2
	v_permlanex16_b32 v23, v22, s5, 0xfedcba98 op_sel:[1,1]
	s_delay_alu instid0(VALU_DEP_1) | instskip(NEXT) | instid1(VALU_DEP_1)
	v_cmp_gt_f32_e64 s2, v22, v23
	v_cndmask_b32_e64 v22, v23, v22, s2
	ds_store_b32 v12, v22
.LBB191_9:                              ;   in Loop: Header=BB191_6 Depth=1
	s_or_b32 exec_lo, exec_lo, s3
	s_waitcnt lgkmcnt(0)
	s_waitcnt_vscnt null, 0x0
	s_barrier
	buffer_gl0_inv
	ds_load_b32 v22, v13
	s_waitcnt lgkmcnt(0)
	v_mov_b32_dpp v23, v22 quad_perm:[1,0,3,2] row_mask:0xf bank_mask:0xf
	s_delay_alu instid0(VALU_DEP_1) | instskip(NEXT) | instid1(VALU_DEP_1)
	v_cmp_gt_f32_e64 s2, v22, v23
	v_cndmask_b32_e64 v22, v23, v22, s2
	s_delay_alu instid0(VALU_DEP_1) | instskip(NEXT) | instid1(VALU_DEP_1)
	v_mov_b32_dpp v23, v22 quad_perm:[2,3,0,1] row_mask:0xf bank_mask:0xf
	v_cmp_gt_f32_e64 s2, v22, v23
	s_delay_alu instid0(VALU_DEP_1) | instskip(NEXT) | instid1(VALU_DEP_1)
	v_cndmask_b32_e64 v22, v23, v22, s2
	v_mov_b32_dpp v23, v22 row_xmask:7 row_mask:0xf bank_mask:0xf
	s_delay_alu instid0(VALU_DEP_1) | instskip(NEXT) | instid1(VALU_DEP_1)
	v_cmp_gt_f32_e64 s2, v22, v23
	v_cndmask_b32_e64 v22, v23, v22, s2
	s_add_i32 s2, s20, s22
	s_delay_alu instid0(VALU_DEP_1)
	v_mul_f32_e32 v22, 0x3c010204, v22
	s_and_saveexec_b32 s12, s0
	s_cbranch_execz .LBB191_11
; %bb.10:                               ;   in Loop: Header=BB191_6 Depth=1
	s_ashr_i32 s3, s2, 31
	s_delay_alu instid0(SALU_CYCLE_1) | instskip(NEXT) | instid1(SALU_CYCLE_1)
	s_lshl_b64 s[16:17], s[2:3], 2
	s_add_u32 s16, s10, s16
	s_addc_u32 s17, s11, s17
	global_store_b32 v0, v22, s[16:17]
.LBB191_11:                             ;   in Loop: Header=BB191_6 Depth=1
	s_or_b32 exec_lo, exec_lo, s12
	s_and_saveexec_b32 s3, s1
	s_cbranch_execz .LBB191_4
; %bb.12:                               ;   in Loop: Header=BB191_6 Depth=1
	v_rcp_f32_e32 v22, v22
	s_mul_i32 s12, s2, s21
	s_mul_hi_i32 s2, s2, s21
	s_add_u32 s16, s8, s12
	s_addc_u32 s2, s9, s2
	s_mov_b32 s19, s15
	s_and_b32 s17, s2, 0xffff
	s_waitcnt_depctr 0xfff
	v_mul_f32_e32 v16, v16, v22
	v_mul_f32_e32 v17, v17, v22
	;; [unrolled: 1-line block ×5, first 2 shown]
	v_cvt_i32_f32_e32 v16, v16
	v_cvt_i32_f32_e32 v17, v17
	v_mul_f32_e32 v21, v21, v22
	v_cvt_i32_f32_e32 v14, v14
	v_cvt_i32_f32_e32 v15, v15
	v_and_b32_e32 v16, 0xff, v16
	v_lshlrev_b16 v17, 8, v17
	v_mul_f32_e32 v19, v19, v22
	v_and_b32_e32 v14, 0xff, v14
	v_lshlrev_b16 v15, 8, v15
	v_cvt_i32_f32_e32 v21, v21
	v_or_b32_e32 v16, v16, v17
	v_mul_f32_e32 v20, v20, v22
	v_cvt_i32_f32_e32 v19, v19
	v_cvt_i32_f32_e32 v18, v18
	v_or_b32_e32 v14, v14, v15
	v_and_b32_e32 v15, 0xffff, v16
	v_cvt_i32_f32_e32 v20, v20
	v_lshlrev_b16 v19, 8, v19
	v_and_b32_e32 v18, 0xff, v18
	v_lshlrev_b16 v21, 8, v21
	v_lshlrev_b32_e32 v14, 16, v14
	v_and_b32_e32 v20, 0xff, v20
	s_delay_alu instid0(VALU_DEP_4) | instskip(NEXT) | instid1(VALU_DEP_2)
	v_or_b32_e32 v17, v18, v19
	v_or_b32_e32 v18, v20, v21
	s_delay_alu instid0(VALU_DEP_2) | instskip(NEXT) | instid1(VALU_DEP_2)
	v_lshlrev_b32_e32 v16, 16, v17
	v_and_b32_e32 v17, 0xffff, v18
	s_delay_alu instid0(VALU_DEP_2) | instskip(NEXT) | instid1(VALU_DEP_2)
	v_or_b32_e32 v15, v15, v16
	v_or_b32_e32 v14, v17, v14
	buffer_store_b64 v[14:15], v10, s[16:19], 0 offen
	;;#ASMSTART
	s_nop 0
	;;#ASMEND
	s_branch .LBB191_4
.LBB191_13:
	s_nop 0
	s_sendmsg sendmsg(MSG_DEALLOC_VGPRS)
	s_endpgm
	.section	.rodata,"a",@progbits
	.p2align	6, 0x0
	.amdhsa_kernel _ZN5aiter43moe_smooth_per_token_scaled_quant_kernel_v1ItaLi256ELi8ELb0ELb1ELi1024EEEvPT0_PfPT_S3_PiS6_iiiii
		.amdhsa_group_segment_fixed_size 4128
		.amdhsa_private_segment_fixed_size 0
		.amdhsa_kernarg_size 68
		.amdhsa_user_sgpr_count 15
		.amdhsa_user_sgpr_dispatch_ptr 0
		.amdhsa_user_sgpr_queue_ptr 0
		.amdhsa_user_sgpr_kernarg_segment_ptr 1
		.amdhsa_user_sgpr_dispatch_id 0
		.amdhsa_user_sgpr_private_segment_size 0
		.amdhsa_wavefront_size32 1
		.amdhsa_uses_dynamic_stack 0
		.amdhsa_enable_private_segment 0
		.amdhsa_system_sgpr_workgroup_id_x 1
		.amdhsa_system_sgpr_workgroup_id_y 0
		.amdhsa_system_sgpr_workgroup_id_z 0
		.amdhsa_system_sgpr_workgroup_info 0
		.amdhsa_system_vgpr_workitem_id 0
		.amdhsa_next_free_vgpr 26
		.amdhsa_next_free_sgpr 23
		.amdhsa_reserve_vcc 1
		.amdhsa_float_round_mode_32 0
		.amdhsa_float_round_mode_16_64 0
		.amdhsa_float_denorm_mode_32 3
		.amdhsa_float_denorm_mode_16_64 3
		.amdhsa_dx10_clamp 1
		.amdhsa_ieee_mode 1
		.amdhsa_fp16_overflow 0
		.amdhsa_workgroup_processor_mode 1
		.amdhsa_memory_ordered 1
		.amdhsa_forward_progress 0
		.amdhsa_shared_vgpr_count 0
		.amdhsa_exception_fp_ieee_invalid_op 0
		.amdhsa_exception_fp_denorm_src 0
		.amdhsa_exception_fp_ieee_div_zero 0
		.amdhsa_exception_fp_ieee_overflow 0
		.amdhsa_exception_fp_ieee_underflow 0
		.amdhsa_exception_fp_ieee_inexact 0
		.amdhsa_exception_int_div_zero 0
	.end_amdhsa_kernel
	.section	.text._ZN5aiter43moe_smooth_per_token_scaled_quant_kernel_v1ItaLi256ELi8ELb0ELb1ELi1024EEEvPT0_PfPT_S3_PiS6_iiiii,"axG",@progbits,_ZN5aiter43moe_smooth_per_token_scaled_quant_kernel_v1ItaLi256ELi8ELb0ELb1ELi1024EEEvPT0_PfPT_S3_PiS6_iiiii,comdat
.Lfunc_end191:
	.size	_ZN5aiter43moe_smooth_per_token_scaled_quant_kernel_v1ItaLi256ELi8ELb0ELb1ELi1024EEEvPT0_PfPT_S3_PiS6_iiiii, .Lfunc_end191-_ZN5aiter43moe_smooth_per_token_scaled_quant_kernel_v1ItaLi256ELi8ELb0ELb1ELi1024EEEvPT0_PfPT_S3_PiS6_iiiii
                                        ; -- End function
	.section	.AMDGPU.csdata,"",@progbits
; Kernel info:
; codeLenInByte = 1348
; NumSgprs: 25
; NumVgprs: 26
; ScratchSize: 0
; MemoryBound: 0
; FloatMode: 240
; IeeeMode: 1
; LDSByteSize: 4128 bytes/workgroup (compile time only)
; SGPRBlocks: 3
; VGPRBlocks: 3
; NumSGPRsForWavesPerEU: 25
; NumVGPRsForWavesPerEU: 26
; Occupancy: 16
; WaveLimiterHint : 0
; COMPUTE_PGM_RSRC2:SCRATCH_EN: 0
; COMPUTE_PGM_RSRC2:USER_SGPR: 15
; COMPUTE_PGM_RSRC2:TRAP_HANDLER: 0
; COMPUTE_PGM_RSRC2:TGID_X_EN: 1
; COMPUTE_PGM_RSRC2:TGID_Y_EN: 0
; COMPUTE_PGM_RSRC2:TGID_Z_EN: 0
; COMPUTE_PGM_RSRC2:TIDIG_COMP_CNT: 0
	.section	.text._ZN5aiter43moe_smooth_per_token_scaled_quant_kernel_v1IDF16_aLi256ELi8ELb0ELb0ELi1024EEEvPT0_PfPT_S3_PiS6_iiiii,"axG",@progbits,_ZN5aiter43moe_smooth_per_token_scaled_quant_kernel_v1IDF16_aLi256ELi8ELb0ELb0ELi1024EEEvPT0_PfPT_S3_PiS6_iiiii,comdat
	.protected	_ZN5aiter43moe_smooth_per_token_scaled_quant_kernel_v1IDF16_aLi256ELi8ELb0ELb0ELi1024EEEvPT0_PfPT_S3_PiS6_iiiii ; -- Begin function _ZN5aiter43moe_smooth_per_token_scaled_quant_kernel_v1IDF16_aLi256ELi8ELb0ELb0ELi1024EEEvPT0_PfPT_S3_PiS6_iiiii
	.globl	_ZN5aiter43moe_smooth_per_token_scaled_quant_kernel_v1IDF16_aLi256ELi8ELb0ELb0ELi1024EEEvPT0_PfPT_S3_PiS6_iiiii
	.p2align	8
	.type	_ZN5aiter43moe_smooth_per_token_scaled_quant_kernel_v1IDF16_aLi256ELi8ELb0ELb0ELi1024EEEvPT0_PfPT_S3_PiS6_iiiii,@function
_ZN5aiter43moe_smooth_per_token_scaled_quant_kernel_v1IDF16_aLi256ELi8ELb0ELb0ELi1024EEEvPT0_PfPT_S3_PiS6_iiiii: ; @_ZN5aiter43moe_smooth_per_token_scaled_quant_kernel_v1IDF16_aLi256ELi8ELb0ELb0ELi1024EEEvPT0_PfPT_S3_PiS6_iiiii
; %bb.0:
	s_clause 0x2
	s_load_b128 s[4:7], s[0:1], 0x34
	s_load_b64 s[2:3], s[0:1], 0x20
	s_load_b64 s[12:13], s[0:1], 0x10
	v_and_b32_e32 v12, 31, v0
	s_mov_b32 s11, -1
	s_delay_alu instid0(VALU_DEP_1)
	v_lshlrev_b32_e32 v1, 2, v12
	s_waitcnt lgkmcnt(0)
	s_mul_i32 s20, s15, s4
	s_mul_hi_i32 s7, s6, s15
	s_ashr_i32 s21, s20, 31
	s_mul_i32 s6, s6, s15
	s_lshl_b64 s[8:9], s[20:21], 2
	s_mov_b32 s21, 0
	s_add_u32 s8, s2, s8
	s_addc_u32 s2, s3, s9
	s_lshl_b32 s10, s4, 2
	s_and_b32 s9, s2, 0xffff
	s_lshl_b64 s[2:3], s[6:7], 1
	buffer_load_b32 v5, v1, s[8:11], 0 offen
	s_add_u32 s8, s12, s2
	v_lshlrev_b32_e32 v1, 4, v0
	s_addc_u32 s2, s13, s3
	s_lshl_b32 s10, s5, 1
	s_and_b32 s9, s2, 0xffff
	s_cmp_lt_i32 s4, 1
	buffer_load_b128 v[1:4], v1, s[8:11], 0 offen
	s_waitcnt vmcnt(0) expcnt(1) lgkmcnt(55)
	s_barrier
	buffer_gl0_inv
	s_cbranch_scc1 .LBB192_11
; %bb.1:
	s_clause 0x1
	s_load_b128 s[12:15], s[0:1], 0x0
	s_load_b64 s[6:7], s[0:1], 0x18
	s_add_i32 s1, s5, 7
	v_lshrrev_b32_e32 v6, 16, v1
	s_ashr_i32 s2, s1, 31
	v_lshrrev_b32_e32 v7, 16, v2
	s_lshr_b32 s2, s2, 29
	v_lshrrev_b32_e32 v8, 16, v3
	v_lshrrev_b32_e32 v9, 16, v4
	;; [unrolled: 1-line block ×3, first 2 shown]
	v_and_b32_e32 v14, 7, v0
	s_add_i32 s3, s5, 3
	s_add_i32 s1, s1, s2
	s_ashr_i32 s2, s3, 31
	s_ashr_i32 s1, s1, 3
	s_lshr_b32 s2, s2, 30
	v_cvt_f32_f16_e32 v1, v1
	v_cvt_f32_f16_e32 v6, v6
	;; [unrolled: 1-line block ×8, first 2 shown]
	v_lshlrev_b32_e32 v10, 3, v0
	v_lshlrev_b32_e32 v11, 5, v0
	v_cmp_eq_u32_e32 vcc_lo, 31, v12
	v_and_b32_e32 v12, 0x7c, v13
	v_lshlrev_b32_e32 v13, 2, v14
	v_cmp_eq_u32_e64 s0, 0, v0
	v_cmp_gt_u32_e64 s1, s1, v0
	v_mov_b32_e32 v0, 0
	s_add_i32 s3, s3, s2
	s_mov_b32 s22, s5
	s_lshl_b32 s10, s5, 2
	s_and_b32 s18, s3, -4
	s_mov_b32 s5, 0x76543210
	s_branch .LBB192_4
.LBB192_2:                              ;   in Loop: Header=BB192_4 Depth=1
	s_or_b32 exec_lo, exec_lo, s3
.LBB192_3:                              ;   in Loop: Header=BB192_4 Depth=1
	s_add_i32 s21, s21, 1
	s_delay_alu instid0(SALU_CYCLE_1)
	s_cmp_eq_u32 s4, s21
	s_cbranch_scc1 .LBB192_11
.LBB192_4:                              ; =>This Inner Loop Header: Depth=1
	v_readlane_b32 s2, v5, s21
	s_delay_alu instid0(VALU_DEP_1)
	s_cmp_lt_i32 s2, 0
	s_cbranch_scc1 .LBB192_3
; %bb.5:                                ;   in Loop: Header=BB192_4 Depth=1
	s_mul_i32 s2, s2, s22
	s_delay_alu instid0(SALU_CYCLE_1) | instskip(NEXT) | instid1(SALU_CYCLE_1)
	s_ashr_i32 s3, s2, 31
	s_lshl_b64 s[2:3], s[2:3], 2
	s_waitcnt lgkmcnt(0)
	s_add_u32 s8, s6, s2
	s_addc_u32 s2, s7, s3
	s_delay_alu instid0(SALU_CYCLE_1)
	s_and_b32 s9, s2, 0xffff
	s_clause 0x1
	buffer_load_b128 v[14:17], v11, s[8:11], 0 offen
	buffer_load_b128 v[22:25], v11, s[8:11], 16 offen
	s_waitcnt vmcnt(1)
	v_dual_mul_f32 v20, v14, v1 :: v_dual_mul_f32 v21, v15, v6
	v_dual_mul_f32 v14, v16, v2 :: v_dual_mul_f32 v15, v17, v7
	s_waitcnt vmcnt(0)
	v_dual_mul_f32 v16, v22, v3 :: v_dual_mul_f32 v17, v23, v8
	s_delay_alu instid0(VALU_DEP_3) | instskip(SKIP_1) | instid1(VALU_DEP_2)
	v_max3_f32 v18, |v20|, 0x2edbe6ff, |v21|
	v_mul_f32_e32 v19, v25, v9
	v_max3_f32 v22, v18, |v14|, |v15|
	v_mul_f32_e32 v18, v24, v4
	s_delay_alu instid0(VALU_DEP_2) | instskip(NEXT) | instid1(VALU_DEP_1)
	v_max3_f32 v22, v22, |v16|, |v17|
	v_max3_f32 v22, v22, |v18|, |v19|
	s_delay_alu instid0(VALU_DEP_1) | instskip(NEXT) | instid1(VALU_DEP_1)
	v_mov_b32_dpp v23, v22 quad_perm:[1,0,3,2] row_mask:0xf bank_mask:0xf
	v_cmp_gt_f32_e64 s2, v22, v23
	s_delay_alu instid0(VALU_DEP_1) | instskip(NEXT) | instid1(VALU_DEP_1)
	v_cndmask_b32_e64 v22, v23, v22, s2
	v_mov_b32_dpp v23, v22 quad_perm:[2,3,0,1] row_mask:0xf bank_mask:0xf
	s_delay_alu instid0(VALU_DEP_1) | instskip(NEXT) | instid1(VALU_DEP_1)
	v_cmp_gt_f32_e64 s2, v22, v23
	v_cndmask_b32_e64 v22, v23, v22, s2
	s_delay_alu instid0(VALU_DEP_1) | instskip(NEXT) | instid1(VALU_DEP_1)
	v_mov_b32_dpp v23, v22 row_xmask:7 row_mask:0xf bank_mask:0xf
	v_cmp_gt_f32_e64 s2, v22, v23
	s_delay_alu instid0(VALU_DEP_1) | instskip(NEXT) | instid1(VALU_DEP_1)
	v_cndmask_b32_e64 v22, v23, v22, s2
	v_mov_b32_dpp v23, v22 row_xmask:15 row_mask:0xf bank_mask:0xf
	s_delay_alu instid0(VALU_DEP_1)
	v_cmp_gt_f32_e64 s2, v22, v23
	s_and_saveexec_b32 s3, vcc_lo
	s_cbranch_execz .LBB192_7
; %bb.6:                                ;   in Loop: Header=BB192_4 Depth=1
	s_delay_alu instid0(VALU_DEP_1) | instskip(NEXT) | instid1(VALU_DEP_1)
	v_cndmask_b32_e64 v22, v23, v22, s2
	v_permlanex16_b32 v23, v22, s5, 0xfedcba98 op_sel:[1,1]
	s_delay_alu instid0(VALU_DEP_1) | instskip(NEXT) | instid1(VALU_DEP_1)
	v_cmp_gt_f32_e64 s2, v22, v23
	v_cndmask_b32_e64 v22, v23, v22, s2
	ds_store_b32 v12, v22
.LBB192_7:                              ;   in Loop: Header=BB192_4 Depth=1
	s_or_b32 exec_lo, exec_lo, s3
	s_waitcnt lgkmcnt(0)
	s_waitcnt_vscnt null, 0x0
	s_barrier
	buffer_gl0_inv
	ds_load_b32 v22, v13
	s_waitcnt lgkmcnt(0)
	v_mov_b32_dpp v23, v22 quad_perm:[1,0,3,2] row_mask:0xf bank_mask:0xf
	s_delay_alu instid0(VALU_DEP_1) | instskip(NEXT) | instid1(VALU_DEP_1)
	v_cmp_gt_f32_e64 s2, v22, v23
	v_cndmask_b32_e64 v22, v23, v22, s2
	s_delay_alu instid0(VALU_DEP_1) | instskip(NEXT) | instid1(VALU_DEP_1)
	v_mov_b32_dpp v23, v22 quad_perm:[2,3,0,1] row_mask:0xf bank_mask:0xf
	v_cmp_gt_f32_e64 s2, v22, v23
	s_delay_alu instid0(VALU_DEP_1) | instskip(NEXT) | instid1(VALU_DEP_1)
	v_cndmask_b32_e64 v22, v23, v22, s2
	v_mov_b32_dpp v23, v22 row_xmask:7 row_mask:0xf bank_mask:0xf
	s_delay_alu instid0(VALU_DEP_1) | instskip(NEXT) | instid1(VALU_DEP_1)
	v_cmp_gt_f32_e64 s2, v22, v23
	v_cndmask_b32_e64 v22, v23, v22, s2
	s_add_i32 s2, s20, s21
	s_delay_alu instid0(VALU_DEP_1)
	v_mul_f32_e32 v22, 0x3c010204, v22
	s_and_saveexec_b32 s8, s0
	s_cbranch_execz .LBB192_9
; %bb.8:                                ;   in Loop: Header=BB192_4 Depth=1
	s_ashr_i32 s3, s2, 31
	s_delay_alu instid0(SALU_CYCLE_1) | instskip(NEXT) | instid1(SALU_CYCLE_1)
	s_lshl_b64 s[16:17], s[2:3], 2
	s_add_u32 s16, s14, s16
	s_addc_u32 s17, s15, s17
	global_store_b32 v0, v22, s[16:17]
.LBB192_9:                              ;   in Loop: Header=BB192_4 Depth=1
	s_or_b32 exec_lo, exec_lo, s8
	s_and_saveexec_b32 s3, s1
	s_cbranch_execz .LBB192_2
; %bb.10:                               ;   in Loop: Header=BB192_4 Depth=1
	v_rcp_f32_e32 v22, v22
	s_mul_i32 s8, s2, s22
	s_mul_hi_i32 s2, s2, s22
	s_add_u32 s16, s12, s8
	s_addc_u32 s2, s13, s2
	s_mov_b32 s19, s11
	s_and_b32 s17, s2, 0xffff
	s_waitcnt_depctr 0xfff
	v_mul_f32_e32 v16, v16, v22
	v_mul_f32_e32 v17, v17, v22
	;; [unrolled: 1-line block ×5, first 2 shown]
	v_cvt_i32_f32_e32 v16, v16
	v_cvt_i32_f32_e32 v17, v17
	v_mul_f32_e32 v21, v21, v22
	v_cvt_i32_f32_e32 v14, v14
	v_cvt_i32_f32_e32 v15, v15
	v_and_b32_e32 v16, 0xff, v16
	v_lshlrev_b16 v17, 8, v17
	v_mul_f32_e32 v19, v19, v22
	v_and_b32_e32 v14, 0xff, v14
	v_lshlrev_b16 v15, 8, v15
	v_cvt_i32_f32_e32 v21, v21
	v_or_b32_e32 v16, v16, v17
	v_mul_f32_e32 v20, v20, v22
	v_cvt_i32_f32_e32 v19, v19
	v_cvt_i32_f32_e32 v18, v18
	v_or_b32_e32 v14, v14, v15
	v_and_b32_e32 v15, 0xffff, v16
	v_cvt_i32_f32_e32 v20, v20
	v_lshlrev_b16 v19, 8, v19
	v_and_b32_e32 v18, 0xff, v18
	v_lshlrev_b16 v21, 8, v21
	v_lshlrev_b32_e32 v14, 16, v14
	v_and_b32_e32 v20, 0xff, v20
	s_delay_alu instid0(VALU_DEP_4) | instskip(NEXT) | instid1(VALU_DEP_2)
	v_or_b32_e32 v17, v18, v19
	v_or_b32_e32 v18, v20, v21
	s_delay_alu instid0(VALU_DEP_2) | instskip(NEXT) | instid1(VALU_DEP_2)
	v_lshlrev_b32_e32 v16, 16, v17
	v_and_b32_e32 v17, 0xffff, v18
	s_delay_alu instid0(VALU_DEP_2) | instskip(NEXT) | instid1(VALU_DEP_2)
	v_or_b32_e32 v15, v15, v16
	v_or_b32_e32 v14, v17, v14
	buffer_store_b64 v[14:15], v10, s[16:19], 0 offen
	;;#ASMSTART
	s_nop 0
	;;#ASMEND
	s_branch .LBB192_2
.LBB192_11:
	s_nop 0
	s_sendmsg sendmsg(MSG_DEALLOC_VGPRS)
	s_endpgm
	.section	.rodata,"a",@progbits
	.p2align	6, 0x0
	.amdhsa_kernel _ZN5aiter43moe_smooth_per_token_scaled_quant_kernel_v1IDF16_aLi256ELi8ELb0ELb0ELi1024EEEvPT0_PfPT_S3_PiS6_iiiii
		.amdhsa_group_segment_fixed_size 32
		.amdhsa_private_segment_fixed_size 0
		.amdhsa_kernarg_size 68
		.amdhsa_user_sgpr_count 15
		.amdhsa_user_sgpr_dispatch_ptr 0
		.amdhsa_user_sgpr_queue_ptr 0
		.amdhsa_user_sgpr_kernarg_segment_ptr 1
		.amdhsa_user_sgpr_dispatch_id 0
		.amdhsa_user_sgpr_private_segment_size 0
		.amdhsa_wavefront_size32 1
		.amdhsa_uses_dynamic_stack 0
		.amdhsa_enable_private_segment 0
		.amdhsa_system_sgpr_workgroup_id_x 1
		.amdhsa_system_sgpr_workgroup_id_y 0
		.amdhsa_system_sgpr_workgroup_id_z 0
		.amdhsa_system_sgpr_workgroup_info 0
		.amdhsa_system_vgpr_workitem_id 0
		.amdhsa_next_free_vgpr 26
		.amdhsa_next_free_sgpr 23
		.amdhsa_reserve_vcc 1
		.amdhsa_float_round_mode_32 0
		.amdhsa_float_round_mode_16_64 0
		.amdhsa_float_denorm_mode_32 3
		.amdhsa_float_denorm_mode_16_64 3
		.amdhsa_dx10_clamp 1
		.amdhsa_ieee_mode 1
		.amdhsa_fp16_overflow 0
		.amdhsa_workgroup_processor_mode 1
		.amdhsa_memory_ordered 1
		.amdhsa_forward_progress 0
		.amdhsa_shared_vgpr_count 0
		.amdhsa_exception_fp_ieee_invalid_op 0
		.amdhsa_exception_fp_denorm_src 0
		.amdhsa_exception_fp_ieee_div_zero 0
		.amdhsa_exception_fp_ieee_overflow 0
		.amdhsa_exception_fp_ieee_underflow 0
		.amdhsa_exception_fp_ieee_inexact 0
		.amdhsa_exception_int_div_zero 0
	.end_amdhsa_kernel
	.section	.text._ZN5aiter43moe_smooth_per_token_scaled_quant_kernel_v1IDF16_aLi256ELi8ELb0ELb0ELi1024EEEvPT0_PfPT_S3_PiS6_iiiii,"axG",@progbits,_ZN5aiter43moe_smooth_per_token_scaled_quant_kernel_v1IDF16_aLi256ELi8ELb0ELb0ELi1024EEEvPT0_PfPT_S3_PiS6_iiiii,comdat
.Lfunc_end192:
	.size	_ZN5aiter43moe_smooth_per_token_scaled_quant_kernel_v1IDF16_aLi256ELi8ELb0ELb0ELi1024EEEvPT0_PfPT_S3_PiS6_iiiii, .Lfunc_end192-_ZN5aiter43moe_smooth_per_token_scaled_quant_kernel_v1IDF16_aLi256ELi8ELb0ELb0ELi1024EEEvPT0_PfPT_S3_PiS6_iiiii
                                        ; -- End function
	.section	.AMDGPU.csdata,"",@progbits
; Kernel info:
; codeLenInByte = 1152
; NumSgprs: 25
; NumVgprs: 26
; ScratchSize: 0
; MemoryBound: 0
; FloatMode: 240
; IeeeMode: 1
; LDSByteSize: 32 bytes/workgroup (compile time only)
; SGPRBlocks: 3
; VGPRBlocks: 3
; NumSGPRsForWavesPerEU: 25
; NumVGPRsForWavesPerEU: 26
; Occupancy: 16
; WaveLimiterHint : 0
; COMPUTE_PGM_RSRC2:SCRATCH_EN: 0
; COMPUTE_PGM_RSRC2:USER_SGPR: 15
; COMPUTE_PGM_RSRC2:TRAP_HANDLER: 0
; COMPUTE_PGM_RSRC2:TGID_X_EN: 1
; COMPUTE_PGM_RSRC2:TGID_Y_EN: 0
; COMPUTE_PGM_RSRC2:TGID_Z_EN: 0
; COMPUTE_PGM_RSRC2:TIDIG_COMP_CNT: 0
	.section	.text._ZN5aiter43moe_smooth_per_token_scaled_quant_kernel_v1ItaLi256ELi8ELb0ELb0ELi1024EEEvPT0_PfPT_S3_PiS6_iiiii,"axG",@progbits,_ZN5aiter43moe_smooth_per_token_scaled_quant_kernel_v1ItaLi256ELi8ELb0ELb0ELi1024EEEvPT0_PfPT_S3_PiS6_iiiii,comdat
	.protected	_ZN5aiter43moe_smooth_per_token_scaled_quant_kernel_v1ItaLi256ELi8ELb0ELb0ELi1024EEEvPT0_PfPT_S3_PiS6_iiiii ; -- Begin function _ZN5aiter43moe_smooth_per_token_scaled_quant_kernel_v1ItaLi256ELi8ELb0ELb0ELi1024EEEvPT0_PfPT_S3_PiS6_iiiii
	.globl	_ZN5aiter43moe_smooth_per_token_scaled_quant_kernel_v1ItaLi256ELi8ELb0ELb0ELi1024EEEvPT0_PfPT_S3_PiS6_iiiii
	.p2align	8
	.type	_ZN5aiter43moe_smooth_per_token_scaled_quant_kernel_v1ItaLi256ELi8ELb0ELb0ELi1024EEEvPT0_PfPT_S3_PiS6_iiiii,@function
_ZN5aiter43moe_smooth_per_token_scaled_quant_kernel_v1ItaLi256ELi8ELb0ELb0ELi1024EEEvPT0_PfPT_S3_PiS6_iiiii: ; @_ZN5aiter43moe_smooth_per_token_scaled_quant_kernel_v1ItaLi256ELi8ELb0ELb0ELi1024EEEvPT0_PfPT_S3_PiS6_iiiii
; %bb.0:
	s_clause 0x2
	s_load_b128 s[4:7], s[0:1], 0x34
	s_load_b64 s[2:3], s[0:1], 0x20
	s_load_b64 s[12:13], s[0:1], 0x10
	v_and_b32_e32 v12, 31, v0
	s_mov_b32 s11, -1
	s_delay_alu instid0(VALU_DEP_1)
	v_lshlrev_b32_e32 v1, 2, v12
	s_waitcnt lgkmcnt(0)
	s_mul_i32 s20, s15, s4
	s_mul_hi_i32 s7, s6, s15
	s_ashr_i32 s21, s20, 31
	s_mul_i32 s6, s6, s15
	s_lshl_b64 s[8:9], s[20:21], 2
	s_mov_b32 s21, 0
	s_add_u32 s8, s2, s8
	s_addc_u32 s2, s3, s9
	s_lshl_b32 s10, s4, 2
	s_and_b32 s9, s2, 0xffff
	s_lshl_b64 s[2:3], s[6:7], 1
	buffer_load_b32 v5, v1, s[8:11], 0 offen
	s_add_u32 s8, s12, s2
	v_lshlrev_b32_e32 v1, 4, v0
	s_addc_u32 s2, s13, s3
	s_lshl_b32 s10, s5, 1
	s_and_b32 s9, s2, 0xffff
	s_cmp_lt_i32 s4, 1
	buffer_load_b128 v[1:4], v1, s[8:11], 0 offen
	s_waitcnt vmcnt(0) expcnt(1) lgkmcnt(55)
	s_barrier
	buffer_gl0_inv
	s_cbranch_scc1 .LBB193_11
; %bb.1:
	s_clause 0x1
	s_load_b128 s[12:15], s[0:1], 0x0
	s_load_b64 s[6:7], s[0:1], 0x18
	v_and_b32_e32 v6, 0xffff, v1
	v_lshrrev_b32_e32 v7, 16, v1
	v_and_b32_e32 v8, 0xffff, v2
	s_add_i32 s1, s5, 7
	v_lshrrev_b32_e32 v2, 16, v2
	s_ashr_i32 s2, s1, 31
	v_cvt_f32_u32_e32 v1, v6
	s_lshr_b32 s2, s2, 29
	v_cvt_f32_u32_e32 v6, v7
	v_cvt_f32_u32_e32 v7, v8
	v_and_b32_e32 v8, 0xffff, v3
	v_lshrrev_b32_e32 v9, 16, v3
	v_and_b32_e32 v10, 0xffff, v4
	v_lshrrev_b32_e32 v11, 16, v4
	v_lshrrev_b32_e32 v13, 3, v0
	v_and_b32_e32 v14, 7, v0
	s_add_i32 s3, s5, 3
	s_add_i32 s1, s1, s2
	s_ashr_i32 s2, s3, 31
	s_ashr_i32 s1, s1, 3
	s_lshr_b32 s2, s2, 30
	v_cvt_f32_u32_e32 v2, v2
	v_cvt_f32_u32_e32 v3, v8
	;; [unrolled: 1-line block ×5, first 2 shown]
	v_lshlrev_b32_e32 v10, 3, v0
	v_lshlrev_b32_e32 v11, 5, v0
	v_cmp_eq_u32_e32 vcc_lo, 31, v12
	v_and_b32_e32 v12, 0x7c, v13
	v_lshlrev_b32_e32 v13, 2, v14
	v_cmp_eq_u32_e64 s0, 0, v0
	v_cmp_gt_u32_e64 s1, s1, v0
	v_mov_b32_e32 v0, 0
	s_add_i32 s3, s3, s2
	s_mov_b32 s22, s5
	s_lshl_b32 s10, s5, 2
	s_and_b32 s18, s3, -4
	s_mov_b32 s5, 0x76543210
	s_branch .LBB193_4
.LBB193_2:                              ;   in Loop: Header=BB193_4 Depth=1
	s_or_b32 exec_lo, exec_lo, s3
.LBB193_3:                              ;   in Loop: Header=BB193_4 Depth=1
	s_add_i32 s21, s21, 1
	s_delay_alu instid0(SALU_CYCLE_1)
	s_cmp_eq_u32 s4, s21
	s_cbranch_scc1 .LBB193_11
.LBB193_4:                              ; =>This Inner Loop Header: Depth=1
	v_readlane_b32 s2, v5, s21
	s_delay_alu instid0(VALU_DEP_1)
	s_cmp_lt_i32 s2, 0
	s_cbranch_scc1 .LBB193_3
; %bb.5:                                ;   in Loop: Header=BB193_4 Depth=1
	s_mul_i32 s2, s2, s22
	s_delay_alu instid0(SALU_CYCLE_1) | instskip(NEXT) | instid1(SALU_CYCLE_1)
	s_ashr_i32 s3, s2, 31
	s_lshl_b64 s[2:3], s[2:3], 2
	s_waitcnt lgkmcnt(0)
	s_add_u32 s8, s6, s2
	s_addc_u32 s2, s7, s3
	s_delay_alu instid0(SALU_CYCLE_1)
	s_and_b32 s9, s2, 0xffff
	s_clause 0x1
	buffer_load_b128 v[14:17], v11, s[8:11], 0 offen
	buffer_load_b128 v[22:25], v11, s[8:11], 16 offen
	s_waitcnt vmcnt(1)
	v_dual_mul_f32 v20, v14, v1 :: v_dual_mul_f32 v21, v15, v6
	v_dual_mul_f32 v14, v16, v7 :: v_dual_mul_f32 v15, v17, v2
	s_waitcnt vmcnt(0)
	v_dual_mul_f32 v16, v22, v3 :: v_dual_mul_f32 v17, v23, v4
	s_delay_alu instid0(VALU_DEP_3) | instskip(SKIP_1) | instid1(VALU_DEP_2)
	v_max3_f32 v18, |v20|, 0x2edbe6ff, |v21|
	v_mul_f32_e32 v19, v25, v9
	v_max3_f32 v22, v18, |v14|, |v15|
	v_mul_f32_e32 v18, v24, v8
	s_delay_alu instid0(VALU_DEP_2) | instskip(NEXT) | instid1(VALU_DEP_1)
	v_max3_f32 v22, v22, |v16|, |v17|
	v_max3_f32 v22, v22, |v18|, |v19|
	s_delay_alu instid0(VALU_DEP_1) | instskip(NEXT) | instid1(VALU_DEP_1)
	v_mov_b32_dpp v23, v22 quad_perm:[1,0,3,2] row_mask:0xf bank_mask:0xf
	v_cmp_gt_f32_e64 s2, v22, v23
	s_delay_alu instid0(VALU_DEP_1) | instskip(NEXT) | instid1(VALU_DEP_1)
	v_cndmask_b32_e64 v22, v23, v22, s2
	v_mov_b32_dpp v23, v22 quad_perm:[2,3,0,1] row_mask:0xf bank_mask:0xf
	s_delay_alu instid0(VALU_DEP_1) | instskip(NEXT) | instid1(VALU_DEP_1)
	v_cmp_gt_f32_e64 s2, v22, v23
	v_cndmask_b32_e64 v22, v23, v22, s2
	s_delay_alu instid0(VALU_DEP_1) | instskip(NEXT) | instid1(VALU_DEP_1)
	v_mov_b32_dpp v23, v22 row_xmask:7 row_mask:0xf bank_mask:0xf
	v_cmp_gt_f32_e64 s2, v22, v23
	s_delay_alu instid0(VALU_DEP_1) | instskip(NEXT) | instid1(VALU_DEP_1)
	v_cndmask_b32_e64 v22, v23, v22, s2
	v_mov_b32_dpp v23, v22 row_xmask:15 row_mask:0xf bank_mask:0xf
	s_delay_alu instid0(VALU_DEP_1)
	v_cmp_gt_f32_e64 s2, v22, v23
	s_and_saveexec_b32 s3, vcc_lo
	s_cbranch_execz .LBB193_7
; %bb.6:                                ;   in Loop: Header=BB193_4 Depth=1
	s_delay_alu instid0(VALU_DEP_1) | instskip(NEXT) | instid1(VALU_DEP_1)
	v_cndmask_b32_e64 v22, v23, v22, s2
	v_permlanex16_b32 v23, v22, s5, 0xfedcba98 op_sel:[1,1]
	s_delay_alu instid0(VALU_DEP_1) | instskip(NEXT) | instid1(VALU_DEP_1)
	v_cmp_gt_f32_e64 s2, v22, v23
	v_cndmask_b32_e64 v22, v23, v22, s2
	ds_store_b32 v12, v22
.LBB193_7:                              ;   in Loop: Header=BB193_4 Depth=1
	s_or_b32 exec_lo, exec_lo, s3
	s_waitcnt lgkmcnt(0)
	s_waitcnt_vscnt null, 0x0
	s_barrier
	buffer_gl0_inv
	ds_load_b32 v22, v13
	s_waitcnt lgkmcnt(0)
	v_mov_b32_dpp v23, v22 quad_perm:[1,0,3,2] row_mask:0xf bank_mask:0xf
	s_delay_alu instid0(VALU_DEP_1) | instskip(NEXT) | instid1(VALU_DEP_1)
	v_cmp_gt_f32_e64 s2, v22, v23
	v_cndmask_b32_e64 v22, v23, v22, s2
	s_delay_alu instid0(VALU_DEP_1) | instskip(NEXT) | instid1(VALU_DEP_1)
	v_mov_b32_dpp v23, v22 quad_perm:[2,3,0,1] row_mask:0xf bank_mask:0xf
	v_cmp_gt_f32_e64 s2, v22, v23
	s_delay_alu instid0(VALU_DEP_1) | instskip(NEXT) | instid1(VALU_DEP_1)
	v_cndmask_b32_e64 v22, v23, v22, s2
	v_mov_b32_dpp v23, v22 row_xmask:7 row_mask:0xf bank_mask:0xf
	s_delay_alu instid0(VALU_DEP_1) | instskip(NEXT) | instid1(VALU_DEP_1)
	v_cmp_gt_f32_e64 s2, v22, v23
	v_cndmask_b32_e64 v22, v23, v22, s2
	s_add_i32 s2, s20, s21
	s_delay_alu instid0(VALU_DEP_1)
	v_mul_f32_e32 v22, 0x3c010204, v22
	s_and_saveexec_b32 s8, s0
	s_cbranch_execz .LBB193_9
; %bb.8:                                ;   in Loop: Header=BB193_4 Depth=1
	s_ashr_i32 s3, s2, 31
	s_delay_alu instid0(SALU_CYCLE_1) | instskip(NEXT) | instid1(SALU_CYCLE_1)
	s_lshl_b64 s[16:17], s[2:3], 2
	s_add_u32 s16, s14, s16
	s_addc_u32 s17, s15, s17
	global_store_b32 v0, v22, s[16:17]
.LBB193_9:                              ;   in Loop: Header=BB193_4 Depth=1
	s_or_b32 exec_lo, exec_lo, s8
	s_and_saveexec_b32 s3, s1
	s_cbranch_execz .LBB193_2
; %bb.10:                               ;   in Loop: Header=BB193_4 Depth=1
	v_rcp_f32_e32 v22, v22
	s_mul_i32 s8, s2, s22
	s_mul_hi_i32 s2, s2, s22
	s_add_u32 s16, s12, s8
	s_addc_u32 s2, s13, s2
	s_mov_b32 s19, s11
	s_and_b32 s17, s2, 0xffff
	s_waitcnt_depctr 0xfff
	v_mul_f32_e32 v16, v16, v22
	v_mul_f32_e32 v17, v17, v22
	;; [unrolled: 1-line block ×5, first 2 shown]
	v_cvt_i32_f32_e32 v16, v16
	v_cvt_i32_f32_e32 v17, v17
	v_mul_f32_e32 v21, v21, v22
	v_cvt_i32_f32_e32 v14, v14
	v_cvt_i32_f32_e32 v15, v15
	v_and_b32_e32 v16, 0xff, v16
	v_lshlrev_b16 v17, 8, v17
	v_mul_f32_e32 v19, v19, v22
	v_and_b32_e32 v14, 0xff, v14
	v_lshlrev_b16 v15, 8, v15
	v_cvt_i32_f32_e32 v21, v21
	v_or_b32_e32 v16, v16, v17
	v_mul_f32_e32 v20, v20, v22
	v_cvt_i32_f32_e32 v19, v19
	v_cvt_i32_f32_e32 v18, v18
	v_or_b32_e32 v14, v14, v15
	v_and_b32_e32 v15, 0xffff, v16
	v_cvt_i32_f32_e32 v20, v20
	v_lshlrev_b16 v19, 8, v19
	v_and_b32_e32 v18, 0xff, v18
	v_lshlrev_b16 v21, 8, v21
	v_lshlrev_b32_e32 v14, 16, v14
	v_and_b32_e32 v20, 0xff, v20
	s_delay_alu instid0(VALU_DEP_4) | instskip(NEXT) | instid1(VALU_DEP_2)
	v_or_b32_e32 v17, v18, v19
	v_or_b32_e32 v18, v20, v21
	s_delay_alu instid0(VALU_DEP_2) | instskip(NEXT) | instid1(VALU_DEP_2)
	v_lshlrev_b32_e32 v16, 16, v17
	v_and_b32_e32 v17, 0xffff, v18
	s_delay_alu instid0(VALU_DEP_2) | instskip(NEXT) | instid1(VALU_DEP_2)
	v_or_b32_e32 v15, v15, v16
	v_or_b32_e32 v14, v17, v14
	buffer_store_b64 v[14:15], v10, s[16:19], 0 offen
	;;#ASMSTART
	s_nop 0
	;;#ASMEND
	s_branch .LBB193_2
.LBB193_11:
	s_nop 0
	s_sendmsg sendmsg(MSG_DEALLOC_VGPRS)
	s_endpgm
	.section	.rodata,"a",@progbits
	.p2align	6, 0x0
	.amdhsa_kernel _ZN5aiter43moe_smooth_per_token_scaled_quant_kernel_v1ItaLi256ELi8ELb0ELb0ELi1024EEEvPT0_PfPT_S3_PiS6_iiiii
		.amdhsa_group_segment_fixed_size 32
		.amdhsa_private_segment_fixed_size 0
		.amdhsa_kernarg_size 68
		.amdhsa_user_sgpr_count 15
		.amdhsa_user_sgpr_dispatch_ptr 0
		.amdhsa_user_sgpr_queue_ptr 0
		.amdhsa_user_sgpr_kernarg_segment_ptr 1
		.amdhsa_user_sgpr_dispatch_id 0
		.amdhsa_user_sgpr_private_segment_size 0
		.amdhsa_wavefront_size32 1
		.amdhsa_uses_dynamic_stack 0
		.amdhsa_enable_private_segment 0
		.amdhsa_system_sgpr_workgroup_id_x 1
		.amdhsa_system_sgpr_workgroup_id_y 0
		.amdhsa_system_sgpr_workgroup_id_z 0
		.amdhsa_system_sgpr_workgroup_info 0
		.amdhsa_system_vgpr_workitem_id 0
		.amdhsa_next_free_vgpr 26
		.amdhsa_next_free_sgpr 23
		.amdhsa_reserve_vcc 1
		.amdhsa_float_round_mode_32 0
		.amdhsa_float_round_mode_16_64 0
		.amdhsa_float_denorm_mode_32 3
		.amdhsa_float_denorm_mode_16_64 3
		.amdhsa_dx10_clamp 1
		.amdhsa_ieee_mode 1
		.amdhsa_fp16_overflow 0
		.amdhsa_workgroup_processor_mode 1
		.amdhsa_memory_ordered 1
		.amdhsa_forward_progress 0
		.amdhsa_shared_vgpr_count 0
		.amdhsa_exception_fp_ieee_invalid_op 0
		.amdhsa_exception_fp_denorm_src 0
		.amdhsa_exception_fp_ieee_div_zero 0
		.amdhsa_exception_fp_ieee_overflow 0
		.amdhsa_exception_fp_ieee_underflow 0
		.amdhsa_exception_fp_ieee_inexact 0
		.amdhsa_exception_int_div_zero 0
	.end_amdhsa_kernel
	.section	.text._ZN5aiter43moe_smooth_per_token_scaled_quant_kernel_v1ItaLi256ELi8ELb0ELb0ELi1024EEEvPT0_PfPT_S3_PiS6_iiiii,"axG",@progbits,_ZN5aiter43moe_smooth_per_token_scaled_quant_kernel_v1ItaLi256ELi8ELb0ELb0ELi1024EEEvPT0_PfPT_S3_PiS6_iiiii,comdat
.Lfunc_end193:
	.size	_ZN5aiter43moe_smooth_per_token_scaled_quant_kernel_v1ItaLi256ELi8ELb0ELb0ELi1024EEEvPT0_PfPT_S3_PiS6_iiiii, .Lfunc_end193-_ZN5aiter43moe_smooth_per_token_scaled_quant_kernel_v1ItaLi256ELi8ELb0ELb0ELi1024EEEvPT0_PfPT_S3_PiS6_iiiii
                                        ; -- End function
	.section	.AMDGPU.csdata,"",@progbits
; Kernel info:
; codeLenInByte = 1184
; NumSgprs: 25
; NumVgprs: 26
; ScratchSize: 0
; MemoryBound: 0
; FloatMode: 240
; IeeeMode: 1
; LDSByteSize: 32 bytes/workgroup (compile time only)
; SGPRBlocks: 3
; VGPRBlocks: 3
; NumSGPRsForWavesPerEU: 25
; NumVGPRsForWavesPerEU: 26
; Occupancy: 16
; WaveLimiterHint : 0
; COMPUTE_PGM_RSRC2:SCRATCH_EN: 0
; COMPUTE_PGM_RSRC2:USER_SGPR: 15
; COMPUTE_PGM_RSRC2:TRAP_HANDLER: 0
; COMPUTE_PGM_RSRC2:TGID_X_EN: 1
; COMPUTE_PGM_RSRC2:TGID_Y_EN: 0
; COMPUTE_PGM_RSRC2:TGID_Z_EN: 0
; COMPUTE_PGM_RSRC2:TIDIG_COMP_CNT: 0
	.section	.text._ZN5aiter43moe_smooth_per_token_scaled_quant_kernel_v1IDF16_aLi256ELi16ELb1ELb1ELi1024EEEvPT0_PfPT_S3_PiS6_iiiii,"axG",@progbits,_ZN5aiter43moe_smooth_per_token_scaled_quant_kernel_v1IDF16_aLi256ELi16ELb1ELb1ELi1024EEEvPT0_PfPT_S3_PiS6_iiiii,comdat
	.protected	_ZN5aiter43moe_smooth_per_token_scaled_quant_kernel_v1IDF16_aLi256ELi16ELb1ELb1ELi1024EEEvPT0_PfPT_S3_PiS6_iiiii ; -- Begin function _ZN5aiter43moe_smooth_per_token_scaled_quant_kernel_v1IDF16_aLi256ELi16ELb1ELb1ELi1024EEEvPT0_PfPT_S3_PiS6_iiiii
	.globl	_ZN5aiter43moe_smooth_per_token_scaled_quant_kernel_v1IDF16_aLi256ELi16ELb1ELb1ELi1024EEEvPT0_PfPT_S3_PiS6_iiiii
	.p2align	8
	.type	_ZN5aiter43moe_smooth_per_token_scaled_quant_kernel_v1IDF16_aLi256ELi16ELb1ELb1ELi1024EEEvPT0_PfPT_S3_PiS6_iiiii,@function
_ZN5aiter43moe_smooth_per_token_scaled_quant_kernel_v1IDF16_aLi256ELi16ELb1ELb1ELi1024EEEvPT0_PfPT_S3_PiS6_iiiii: ; @_ZN5aiter43moe_smooth_per_token_scaled_quant_kernel_v1IDF16_aLi256ELi16ELb1ELb1ELi1024EEEvPT0_PfPT_S3_PiS6_iiiii
; %bb.0:
	s_clause 0x2
	s_load_b32 s18, s[0:1], 0x40
	s_load_b256 s[4:11], s[0:1], 0x20
	s_load_b64 s[2:3], s[0:1], 0x10
	s_mov_b32 s20, s15
	v_and_b32_e32 v20, 31, v0
	v_lshlrev_b32_e32 v10, 2, v0
	s_mov_b32 s15, -1
	s_delay_alu instid0(VALU_DEP_2)
	v_lshlrev_b32_e32 v1, 2, v20
	s_waitcnt lgkmcnt(0)
	s_lshl_b32 s14, s18, 2
	s_mul_i32 s16, s20, s9
	s_and_b32 s13, s7, 0xffff
	s_ashr_i32 s17, s16, 31
	s_mov_b32 s12, s6
	s_lshl_b64 s[16:17], s[16:17], 2
	s_clause 0x3
	buffer_load_b32 v11, v10, s[12:15], 0 offen
	buffer_load_b32 v12, v10, s[12:15], 0 offen offset:1024
	buffer_load_b32 v13, v10, s[12:15], 0 offen offset:2048
	;; [unrolled: 1-line block ×3, first 2 shown]
	s_add_u32 s12, s4, s16
	s_addc_u32 s4, s5, s17
	s_lshl_b32 s14, s9, 2
	s_and_b32 s13, s4, 0xffff
	s_mul_hi_i32 s7, s11, s20
	s_mul_i32 s6, s11, s20
	buffer_load_b32 v9, v1, s[12:15], 0 offen
	s_lshl_b64 s[4:5], s[6:7], 1
	v_lshlrev_b32_e32 v1, 5, v0
	s_add_u32 s12, s2, s4
	s_addc_u32 s2, s3, s5
	s_lshl_b32 s14, s10, 1
	s_and_b32 s13, s2, 0xffff
	s_clause 0x1
	buffer_load_b128 v[5:8], v1, s[12:15], 0 offen
	buffer_load_b128 v[1:4], v1, s[12:15], 16 offen
	v_cmp_gt_i32_e32 vcc_lo, s9, v20
	s_waitcnt vmcnt(5)
	ds_store_2addr_stride64_b32 v10, v11, v12 offset1:4
	s_waitcnt vmcnt(3)
	ds_store_2addr_stride64_b32 v10, v13, v14 offset0:8 offset1:12
	s_waitcnt vmcnt(0) expcnt(2) lgkmcnt(0)
	s_barrier
	buffer_gl0_inv
	v_cmp_gt_i32_e64 s2, s18, v9
	v_cmp_lt_i32_e64 s3, -1, v9
	s_delay_alu instid0(VALU_DEP_2)
	s_and_b32 s2, vcc_lo, s2
	s_delay_alu instid0(VALU_DEP_1) | instid1(SALU_CYCLE_1)
	s_and_b32 s3, s2, s3
	s_delay_alu instid0(SALU_CYCLE_1)
	s_and_saveexec_b32 s2, s3
	s_cbranch_execz .LBB194_2
; %bb.1:
	v_lshlrev_b32_e32 v9, 2, v9
	ds_load_b32 v9, v9
.LBB194_2:
	s_or_b32 exec_lo, exec_lo, s2
	s_cmp_lt_i32 s9, 1
	s_cbranch_scc1 .LBB194_13
; %bb.3:
	s_clause 0x1
	s_load_b128 s[4:7], s[0:1], 0x0
	s_load_b64 s[22:23], s[0:1], 0x18
	s_add_i32 s1, s10, 15
	v_lshrrev_b32_e32 v10, 16, v5
	s_ashr_i32 s2, s1, 31
	v_lshrrev_b32_e32 v11, 16, v6
	s_lshr_b32 s2, s2, 28
	v_lshrrev_b32_e32 v12, 16, v7
	v_lshrrev_b32_e32 v13, 16, v8
	;; [unrolled: 1-line block ×7, first 2 shown]
	v_and_b32_e32 v22, 7, v0
	s_add_i32 s11, s10, 3
	s_add_i32 s1, s1, s2
	s_ashr_i32 s2, s11, 31
	s_movk_i32 s0, 0x7c
	s_ashr_i32 s1, s1, 4
	s_lshr_b32 s2, s2, 30
	v_cvt_f32_f16_e32 v5, v5
	v_cvt_f32_f16_e32 v10, v10
	;; [unrolled: 1-line block ×16, first 2 shown]
	v_lshlrev_b32_e32 v18, 4, v0
	v_lshlrev_b32_e32 v19, 6, v0
	v_cmp_eq_u32_e32 vcc_lo, 31, v20
	v_and_or_b32 v20, v21, s0, 0x1000
	v_lshl_or_b32 v21, v22, 2, 0x1000
	v_cmp_eq_u32_e64 s0, 0, v0
	v_cmp_gt_u32_e64 s1, s1, v0
	v_mov_b32_e32 v0, 0
	s_add_i32 s11, s11, s2
	s_lshl_b32 s14, s10, 2
	s_mov_b32 s3, 0
	s_and_b32 s18, s11, -4
	s_mov_b32 s11, 0x76543210
	s_branch .LBB194_6
.LBB194_4:                              ;   in Loop: Header=BB194_6 Depth=1
	s_or_b32 exec_lo, exec_lo, s2
.LBB194_5:                              ;   in Loop: Header=BB194_6 Depth=1
	s_add_i32 s3, s3, 1
	s_add_i32 s20, s20, s8
	s_cmp_eq_u32 s9, s3
	s_cbranch_scc1 .LBB194_13
.LBB194_6:                              ; =>This Inner Loop Header: Depth=1
	s_waitcnt lgkmcnt(0)
	v_readlane_b32 s2, v9, s3
	s_delay_alu instid0(VALU_DEP_1)
	s_cmp_lt_i32 s2, 0
	s_cbranch_scc1 .LBB194_5
; %bb.7:                                ;   in Loop: Header=BB194_6 Depth=1
	s_mul_i32 s12, s2, s10
	s_delay_alu instid0(SALU_CYCLE_1) | instskip(NEXT) | instid1(SALU_CYCLE_1)
	s_ashr_i32 s13, s12, 31
	s_lshl_b64 s[12:13], s[12:13], 2
	s_delay_alu instid0(SALU_CYCLE_1) | instskip(SKIP_1) | instid1(SALU_CYCLE_1)
	s_add_u32 s12, s22, s12
	s_addc_u32 s2, s23, s13
	s_and_b32 s13, s2, 0xffff
	s_clause 0x3
	buffer_load_b128 v[22:25], v19, s[12:15], 0 offen
	buffer_load_b128 v[26:29], v19, s[12:15], 16 offen
	;; [unrolled: 1-line block ×4, first 2 shown]
	s_waitcnt vmcnt(3)
	v_dual_mul_f32 v36, v22, v5 :: v_dual_mul_f32 v37, v23, v10
	v_dual_mul_f32 v30, v24, v6 :: v_dual_mul_f32 v31, v25, v11
	s_waitcnt vmcnt(2)
	v_dual_mul_f32 v32, v26, v7 :: v_dual_mul_f32 v33, v27, v12
	s_delay_alu instid0(VALU_DEP_3) | instskip(SKIP_3) | instid1(VALU_DEP_3)
	v_max3_f32 v22, |v36|, 0x2edbe6ff, |v37|
	v_dual_mul_f32 v34, v28, v8 :: v_dual_mul_f32 v35, v29, v13
	s_waitcnt vmcnt(1)
	v_dual_mul_f32 v27, v38, v1 :: v_dual_mul_f32 v28, v39, v14
	v_max3_f32 v22, v22, |v30|, |v31|
	s_waitcnt vmcnt(0)
	v_mul_f32_e32 v25, v42, v3
	v_dual_mul_f32 v29, v43, v16 :: v_dual_mul_f32 v26, v45, v17
	v_mul_f32_e32 v23, v41, v15
	v_max3_f32 v22, v22, |v32|, |v33|
	s_delay_alu instid0(VALU_DEP_1) | instskip(SKIP_1) | instid1(VALU_DEP_2)
	v_max3_f32 v24, v22, |v34|, |v35|
	v_mul_f32_e32 v22, v40, v2
	v_max3_f32 v24, v24, |v27|, |v28|
	s_delay_alu instid0(VALU_DEP_1) | instskip(SKIP_1) | instid1(VALU_DEP_2)
	v_max3_f32 v38, v24, |v22|, |v23|
	v_mul_f32_e32 v24, v44, v4
	v_max3_f32 v38, v38, |v25|, |v29|
	s_delay_alu instid0(VALU_DEP_1) | instskip(NEXT) | instid1(VALU_DEP_1)
	v_max3_f32 v38, v38, |v24|, |v26|
	v_mov_b32_dpp v39, v38 quad_perm:[1,0,3,2] row_mask:0xf bank_mask:0xf
	s_delay_alu instid0(VALU_DEP_1) | instskip(NEXT) | instid1(VALU_DEP_1)
	v_cmp_gt_f32_e64 s2, v38, v39
	v_cndmask_b32_e64 v38, v39, v38, s2
	s_delay_alu instid0(VALU_DEP_1) | instskip(NEXT) | instid1(VALU_DEP_1)
	v_mov_b32_dpp v39, v38 quad_perm:[2,3,0,1] row_mask:0xf bank_mask:0xf
	v_cmp_gt_f32_e64 s2, v38, v39
	s_delay_alu instid0(VALU_DEP_1) | instskip(NEXT) | instid1(VALU_DEP_1)
	v_cndmask_b32_e64 v38, v39, v38, s2
	v_mov_b32_dpp v39, v38 row_xmask:7 row_mask:0xf bank_mask:0xf
	s_delay_alu instid0(VALU_DEP_1) | instskip(NEXT) | instid1(VALU_DEP_1)
	v_cmp_gt_f32_e64 s2, v38, v39
	v_cndmask_b32_e64 v38, v39, v38, s2
	s_delay_alu instid0(VALU_DEP_1) | instskip(NEXT) | instid1(VALU_DEP_1)
	v_mov_b32_dpp v39, v38 row_xmask:15 row_mask:0xf bank_mask:0xf
	v_cmp_gt_f32_e64 s2, v38, v39
	s_and_saveexec_b32 s12, vcc_lo
	s_cbranch_execz .LBB194_9
; %bb.8:                                ;   in Loop: Header=BB194_6 Depth=1
	s_delay_alu instid0(VALU_DEP_1) | instskip(NEXT) | instid1(VALU_DEP_1)
	v_cndmask_b32_e64 v38, v39, v38, s2
	v_permlanex16_b32 v39, v38, s11, 0xfedcba98 op_sel:[1,1]
	s_delay_alu instid0(VALU_DEP_1) | instskip(NEXT) | instid1(VALU_DEP_1)
	v_cmp_gt_f32_e64 s2, v38, v39
	v_cndmask_b32_e64 v38, v39, v38, s2
	ds_store_b32 v20, v38
.LBB194_9:                              ;   in Loop: Header=BB194_6 Depth=1
	s_or_b32 exec_lo, exec_lo, s12
	s_waitcnt lgkmcnt(0)
	s_waitcnt_vscnt null, 0x0
	s_barrier
	buffer_gl0_inv
	ds_load_b32 v38, v21
	s_waitcnt lgkmcnt(0)
	v_mov_b32_dpp v39, v38 quad_perm:[1,0,3,2] row_mask:0xf bank_mask:0xf
	s_delay_alu instid0(VALU_DEP_1) | instskip(NEXT) | instid1(VALU_DEP_1)
	v_cmp_gt_f32_e64 s2, v38, v39
	v_cndmask_b32_e64 v38, v39, v38, s2
	s_delay_alu instid0(VALU_DEP_1) | instskip(NEXT) | instid1(VALU_DEP_1)
	v_mov_b32_dpp v39, v38 quad_perm:[2,3,0,1] row_mask:0xf bank_mask:0xf
	v_cmp_gt_f32_e64 s2, v38, v39
	s_delay_alu instid0(VALU_DEP_1) | instskip(NEXT) | instid1(VALU_DEP_1)
	v_cndmask_b32_e64 v38, v39, v38, s2
	v_mov_b32_dpp v39, v38 row_xmask:7 row_mask:0xf bank_mask:0xf
	s_delay_alu instid0(VALU_DEP_1) | instskip(NEXT) | instid1(VALU_DEP_1)
	v_cmp_gt_f32_e64 s2, v38, v39
	v_cndmask_b32_e64 v38, v39, v38, s2
	s_delay_alu instid0(VALU_DEP_1)
	v_mul_f32_e32 v38, 0x3c010204, v38
	s_and_saveexec_b32 s2, s0
	s_cbranch_execz .LBB194_11
; %bb.10:                               ;   in Loop: Header=BB194_6 Depth=1
	s_ashr_i32 s21, s20, 31
	s_delay_alu instid0(SALU_CYCLE_1) | instskip(NEXT) | instid1(SALU_CYCLE_1)
	s_lshl_b64 s[12:13], s[20:21], 2
	s_add_u32 s12, s6, s12
	s_addc_u32 s13, s7, s13
	global_store_b32 v0, v38, s[12:13]
.LBB194_11:                             ;   in Loop: Header=BB194_6 Depth=1
	s_or_b32 exec_lo, exec_lo, s2
	s_and_saveexec_b32 s2, s1
	s_cbranch_execz .LBB194_4
; %bb.12:                               ;   in Loop: Header=BB194_6 Depth=1
	v_rcp_f32_e32 v38, v38
	s_mul_i32 s12, s20, s10
	s_mul_hi_i32 s13, s20, s10
	s_add_u32 s16, s4, s12
	s_addc_u32 s12, s5, s13
	s_mov_b32 s19, s15
	s_and_b32 s17, s12, 0xffff
	s_waitcnt_depctr 0xfff
	v_mul_f32_e32 v29, v29, v38
	v_mul_f32_e32 v25, v25, v38
	;; [unrolled: 1-line block ×5, first 2 shown]
	v_cvt_i32_f32_e32 v29, v29
	v_cvt_i32_f32_e32 v25, v25
	v_mul_f32_e32 v36, v36, v38
	v_mul_f32_e32 v24, v24, v38
	v_cvt_i32_f32_e32 v27, v27
	v_lshlrev_b16 v29, 8, v29
	v_and_b32_e32 v25, 0xff, v25
	v_cvt_i32_f32_e32 v26, v26
	v_cvt_i32_f32_e32 v24, v24
	;; [unrolled: 1-line block ×3, first 2 shown]
	v_mul_f32_e32 v37, v37, v38
	v_or_b32_e32 v25, v25, v29
	v_mul_f32_e32 v32, v32, v38
	v_dual_mul_f32 v30, v30, v38 :: v_dual_and_b32 v27, 0xff, v27
	v_lshlrev_b16 v26, 8, v26
	v_and_b32_e32 v24, 0xff, v24
	v_lshlrev_b16 v28, 8, v28
	v_mul_f32_e32 v23, v23, v38
	v_dual_mul_f32 v22, v22, v38 :: v_dual_and_b32 v25, 0xffff, v25
	v_cvt_i32_f32_e32 v32, v32
	v_mul_f32_e32 v33, v33, v38
	v_or_b32_e32 v24, v24, v26
	v_or_b32_e32 v26, v27, v28
	v_cvt_i32_f32_e32 v23, v23
	v_and_b32_e32 v28, 0xff, v32
	v_cvt_i32_f32_e32 v33, v33
	v_cvt_i32_f32_e32 v22, v22
	v_dual_mul_f32 v31, v31, v38 :: v_dual_lshlrev_b32 v24, 16, v24
	v_lshlrev_b16 v23, 8, v23
	s_delay_alu instid0(VALU_DEP_4) | instskip(NEXT) | instid1(VALU_DEP_4)
	v_lshlrev_b16 v27, 8, v33
	v_and_b32_e32 v22, 0xff, v22
	v_cvt_i32_f32_e32 v36, v36
	v_mul_f32_e32 v35, v35, v38
	v_cvt_i32_f32_e32 v37, v37
	v_cvt_i32_f32_e32 v30, v30
	v_or_b32_e32 v22, v22, v23
	v_or_b32_e32 v23, v28, v27
	v_mul_f32_e32 v34, v34, v38
	v_cvt_i32_f32_e32 v31, v31
	v_lshlrev_b16 v33, 8, v37
	v_and_b32_e32 v30, 0xff, v30
	v_and_b32_e32 v23, 0xffff, v23
	v_cvt_i32_f32_e32 v34, v34
	v_lshlrev_b16 v31, 8, v31
	v_and_b32_e32 v26, 0xffff, v26
	v_lshlrev_b32_e32 v22, 16, v22
	v_or_b32_e32 v25, v25, v24
	v_and_b32_e32 v32, 0xff, v34
	v_and_b32_e32 v34, 0xff, v36
	v_cvt_i32_f32_e32 v35, v35
	v_or_b32_e32 v24, v26, v22
	s_delay_alu instid0(VALU_DEP_3) | instskip(NEXT) | instid1(VALU_DEP_3)
	v_or_b32_e32 v28, v34, v33
	v_lshlrev_b16 v29, 8, v35
	s_delay_alu instid0(VALU_DEP_2) | instskip(NEXT) | instid1(VALU_DEP_2)
	v_and_b32_e32 v28, 0xffff, v28
	v_or_b32_e32 v27, v32, v29
	v_or_b32_e32 v29, v30, v31
	s_delay_alu instid0(VALU_DEP_2) | instskip(NEXT) | instid1(VALU_DEP_2)
	v_lshlrev_b32_e32 v27, 16, v27
	v_lshlrev_b32_e32 v29, 16, v29
	s_delay_alu instid0(VALU_DEP_2) | instskip(NEXT) | instid1(VALU_DEP_2)
	v_or_b32_e32 v23, v23, v27
	v_or_b32_e32 v22, v28, v29
	buffer_store_b128 v[22:25], v18, s[16:19], 0 offen
	;;#ASMSTART
	s_nop 0
	;;#ASMEND
	s_branch .LBB194_4
.LBB194_13:
	s_nop 0
	s_sendmsg sendmsg(MSG_DEALLOC_VGPRS)
	s_endpgm
	.section	.rodata,"a",@progbits
	.p2align	6, 0x0
	.amdhsa_kernel _ZN5aiter43moe_smooth_per_token_scaled_quant_kernel_v1IDF16_aLi256ELi16ELb1ELb1ELi1024EEEvPT0_PfPT_S3_PiS6_iiiii
		.amdhsa_group_segment_fixed_size 4128
		.amdhsa_private_segment_fixed_size 0
		.amdhsa_kernarg_size 68
		.amdhsa_user_sgpr_count 15
		.amdhsa_user_sgpr_dispatch_ptr 0
		.amdhsa_user_sgpr_queue_ptr 0
		.amdhsa_user_sgpr_kernarg_segment_ptr 1
		.amdhsa_user_sgpr_dispatch_id 0
		.amdhsa_user_sgpr_private_segment_size 0
		.amdhsa_wavefront_size32 1
		.amdhsa_uses_dynamic_stack 0
		.amdhsa_enable_private_segment 0
		.amdhsa_system_sgpr_workgroup_id_x 1
		.amdhsa_system_sgpr_workgroup_id_y 0
		.amdhsa_system_sgpr_workgroup_id_z 0
		.amdhsa_system_sgpr_workgroup_info 0
		.amdhsa_system_vgpr_workitem_id 0
		.amdhsa_next_free_vgpr 46
		.amdhsa_next_free_sgpr 24
		.amdhsa_reserve_vcc 1
		.amdhsa_float_round_mode_32 0
		.amdhsa_float_round_mode_16_64 0
		.amdhsa_float_denorm_mode_32 3
		.amdhsa_float_denorm_mode_16_64 3
		.amdhsa_dx10_clamp 1
		.amdhsa_ieee_mode 1
		.amdhsa_fp16_overflow 0
		.amdhsa_workgroup_processor_mode 1
		.amdhsa_memory_ordered 1
		.amdhsa_forward_progress 0
		.amdhsa_shared_vgpr_count 0
		.amdhsa_exception_fp_ieee_invalid_op 0
		.amdhsa_exception_fp_denorm_src 0
		.amdhsa_exception_fp_ieee_div_zero 0
		.amdhsa_exception_fp_ieee_overflow 0
		.amdhsa_exception_fp_ieee_underflow 0
		.amdhsa_exception_fp_ieee_inexact 0
		.amdhsa_exception_int_div_zero 0
	.end_amdhsa_kernel
	.section	.text._ZN5aiter43moe_smooth_per_token_scaled_quant_kernel_v1IDF16_aLi256ELi16ELb1ELb1ELi1024EEEvPT0_PfPT_S3_PiS6_iiiii,"axG",@progbits,_ZN5aiter43moe_smooth_per_token_scaled_quant_kernel_v1IDF16_aLi256ELi16ELb1ELb1ELi1024EEEvPT0_PfPT_S3_PiS6_iiiii,comdat
.Lfunc_end194:
	.size	_ZN5aiter43moe_smooth_per_token_scaled_quant_kernel_v1IDF16_aLi256ELi16ELb1ELb1ELi1024EEEvPT0_PfPT_S3_PiS6_iiiii, .Lfunc_end194-_ZN5aiter43moe_smooth_per_token_scaled_quant_kernel_v1IDF16_aLi256ELi16ELb1ELb1ELi1024EEEvPT0_PfPT_S3_PiS6_iiiii
                                        ; -- End function
	.section	.AMDGPU.csdata,"",@progbits
; Kernel info:
; codeLenInByte = 1644
; NumSgprs: 26
; NumVgprs: 46
; ScratchSize: 0
; MemoryBound: 0
; FloatMode: 240
; IeeeMode: 1
; LDSByteSize: 4128 bytes/workgroup (compile time only)
; SGPRBlocks: 3
; VGPRBlocks: 5
; NumSGPRsForWavesPerEU: 26
; NumVGPRsForWavesPerEU: 46
; Occupancy: 16
; WaveLimiterHint : 0
; COMPUTE_PGM_RSRC2:SCRATCH_EN: 0
; COMPUTE_PGM_RSRC2:USER_SGPR: 15
; COMPUTE_PGM_RSRC2:TRAP_HANDLER: 0
; COMPUTE_PGM_RSRC2:TGID_X_EN: 1
; COMPUTE_PGM_RSRC2:TGID_Y_EN: 0
; COMPUTE_PGM_RSRC2:TGID_Z_EN: 0
; COMPUTE_PGM_RSRC2:TIDIG_COMP_CNT: 0
	.section	.text._ZN5aiter43moe_smooth_per_token_scaled_quant_kernel_v1ItaLi256ELi16ELb1ELb1ELi1024EEEvPT0_PfPT_S3_PiS6_iiiii,"axG",@progbits,_ZN5aiter43moe_smooth_per_token_scaled_quant_kernel_v1ItaLi256ELi16ELb1ELb1ELi1024EEEvPT0_PfPT_S3_PiS6_iiiii,comdat
	.protected	_ZN5aiter43moe_smooth_per_token_scaled_quant_kernel_v1ItaLi256ELi16ELb1ELb1ELi1024EEEvPT0_PfPT_S3_PiS6_iiiii ; -- Begin function _ZN5aiter43moe_smooth_per_token_scaled_quant_kernel_v1ItaLi256ELi16ELb1ELb1ELi1024EEEvPT0_PfPT_S3_PiS6_iiiii
	.globl	_ZN5aiter43moe_smooth_per_token_scaled_quant_kernel_v1ItaLi256ELi16ELb1ELb1ELi1024EEEvPT0_PfPT_S3_PiS6_iiiii
	.p2align	8
	.type	_ZN5aiter43moe_smooth_per_token_scaled_quant_kernel_v1ItaLi256ELi16ELb1ELb1ELi1024EEEvPT0_PfPT_S3_PiS6_iiiii,@function
_ZN5aiter43moe_smooth_per_token_scaled_quant_kernel_v1ItaLi256ELi16ELb1ELb1ELi1024EEEvPT0_PfPT_S3_PiS6_iiiii: ; @_ZN5aiter43moe_smooth_per_token_scaled_quant_kernel_v1ItaLi256ELi16ELb1ELb1ELi1024EEEvPT0_PfPT_S3_PiS6_iiiii
; %bb.0:
	s_clause 0x2
	s_load_b32 s18, s[0:1], 0x40
	s_load_b256 s[4:11], s[0:1], 0x20
	s_load_b64 s[2:3], s[0:1], 0x10
	s_mov_b32 s20, s15
	v_and_b32_e32 v20, 31, v0
	v_lshlrev_b32_e32 v10, 2, v0
	s_mov_b32 s15, -1
	s_delay_alu instid0(VALU_DEP_2)
	v_lshlrev_b32_e32 v1, 2, v20
	s_waitcnt lgkmcnt(0)
	s_lshl_b32 s14, s18, 2
	s_mul_i32 s16, s20, s9
	s_and_b32 s13, s7, 0xffff
	s_ashr_i32 s17, s16, 31
	s_mov_b32 s12, s6
	s_lshl_b64 s[16:17], s[16:17], 2
	s_clause 0x3
	buffer_load_b32 v11, v10, s[12:15], 0 offen
	buffer_load_b32 v12, v10, s[12:15], 0 offen offset:1024
	buffer_load_b32 v13, v10, s[12:15], 0 offen offset:2048
	;; [unrolled: 1-line block ×3, first 2 shown]
	s_add_u32 s12, s4, s16
	s_addc_u32 s4, s5, s17
	s_lshl_b32 s14, s9, 2
	s_and_b32 s13, s4, 0xffff
	s_mul_hi_i32 s7, s11, s20
	s_mul_i32 s6, s11, s20
	buffer_load_b32 v9, v1, s[12:15], 0 offen
	s_lshl_b64 s[4:5], s[6:7], 1
	v_lshlrev_b32_e32 v1, 5, v0
	s_add_u32 s12, s2, s4
	s_addc_u32 s2, s3, s5
	s_lshl_b32 s14, s10, 1
	s_and_b32 s13, s2, 0xffff
	s_clause 0x1
	buffer_load_b128 v[5:8], v1, s[12:15], 0 offen
	buffer_load_b128 v[1:4], v1, s[12:15], 16 offen
	v_cmp_gt_i32_e32 vcc_lo, s9, v20
	s_waitcnt vmcnt(5)
	ds_store_2addr_stride64_b32 v10, v11, v12 offset1:4
	s_waitcnt vmcnt(3)
	ds_store_2addr_stride64_b32 v10, v13, v14 offset0:8 offset1:12
	s_waitcnt vmcnt(0) expcnt(2) lgkmcnt(0)
	s_barrier
	buffer_gl0_inv
	v_cmp_gt_i32_e64 s2, s18, v9
	v_cmp_lt_i32_e64 s3, -1, v9
	s_delay_alu instid0(VALU_DEP_2)
	s_and_b32 s2, vcc_lo, s2
	s_delay_alu instid0(VALU_DEP_1) | instid1(SALU_CYCLE_1)
	s_and_b32 s3, s2, s3
	s_delay_alu instid0(SALU_CYCLE_1)
	s_and_saveexec_b32 s2, s3
	s_cbranch_execz .LBB195_2
; %bb.1:
	v_lshlrev_b32_e32 v9, 2, v9
	ds_load_b32 v9, v9
.LBB195_2:
	s_or_b32 exec_lo, exec_lo, s2
	s_cmp_lt_i32 s9, 1
	s_cbranch_scc1 .LBB195_13
; %bb.3:
	v_and_b32_e32 v10, 0xffff, v5
	s_clause 0x1
	s_load_b128 s[4:7], s[0:1], 0x0
	s_load_b64 s[22:23], s[0:1], 0x18
	v_lshrrev_b32_e32 v11, 16, v5
	v_and_b32_e32 v12, 0xffff, v6
	v_and_b32_e32 v13, 0xffff, v7
	v_lshrrev_b32_e32 v14, 16, v7
	v_cvt_f32_u32_e32 v5, v10
	v_lshrrev_b32_e32 v10, 16, v6
	v_cvt_f32_u32_e32 v6, v11
	v_cvt_f32_u32_e32 v7, v12
	;; [unrolled: 1-line block ×4, first 2 shown]
	v_and_b32_e32 v13, 0xffff, v8
	v_and_b32_e32 v14, 0xffff, v1
	v_lshrrev_b32_e32 v15, 16, v1
	v_and_b32_e32 v16, 0xffff, v2
	s_add_i32 s1, s10, 15
	v_lshrrev_b32_e32 v8, 16, v8
	s_ashr_i32 s2, s1, 31
	v_cvt_f32_u32_e32 v1, v13
	s_lshr_b32 s2, s2, 28
	v_cvt_f32_u32_e32 v13, v14
	v_cvt_f32_u32_e32 v14, v15
	;; [unrolled: 1-line block ×3, first 2 shown]
	v_lshrrev_b32_e32 v2, 16, v2
	v_and_b32_e32 v16, 0xffff, v3
	v_lshrrev_b32_e32 v17, 16, v3
	v_and_b32_e32 v18, 0xffff, v4
	v_lshrrev_b32_e32 v19, 16, v4
	v_lshrrev_b32_e32 v21, 3, v0
	v_and_b32_e32 v22, 7, v0
	s_add_i32 s11, s10, 3
	s_add_i32 s1, s1, s2
	s_ashr_i32 s2, s11, 31
	s_movk_i32 s0, 0x7c
	s_ashr_i32 s1, s1, 4
	s_lshr_b32 s2, s2, 30
	v_cvt_f32_u32_e32 v10, v10
	v_cvt_f32_u32_e32 v8, v8
	;; [unrolled: 1-line block ×7, first 2 shown]
	v_lshlrev_b32_e32 v18, 4, v0
	v_lshlrev_b32_e32 v19, 6, v0
	v_cmp_eq_u32_e32 vcc_lo, 31, v20
	v_and_or_b32 v20, v21, s0, 0x1000
	v_lshl_or_b32 v21, v22, 2, 0x1000
	v_cmp_eq_u32_e64 s0, 0, v0
	v_cmp_gt_u32_e64 s1, s1, v0
	v_mov_b32_e32 v0, 0
	s_add_i32 s11, s11, s2
	s_lshl_b32 s14, s10, 2
	s_mov_b32 s3, 0
	s_and_b32 s18, s11, -4
	s_mov_b32 s11, 0x76543210
	s_branch .LBB195_6
.LBB195_4:                              ;   in Loop: Header=BB195_6 Depth=1
	s_or_b32 exec_lo, exec_lo, s2
.LBB195_5:                              ;   in Loop: Header=BB195_6 Depth=1
	s_add_i32 s3, s3, 1
	s_add_i32 s20, s20, s8
	s_cmp_eq_u32 s9, s3
	s_cbranch_scc1 .LBB195_13
.LBB195_6:                              ; =>This Inner Loop Header: Depth=1
	s_waitcnt lgkmcnt(0)
	v_readlane_b32 s2, v9, s3
	s_delay_alu instid0(VALU_DEP_1)
	s_cmp_lt_i32 s2, 0
	s_cbranch_scc1 .LBB195_5
; %bb.7:                                ;   in Loop: Header=BB195_6 Depth=1
	s_mul_i32 s12, s2, s10
	s_delay_alu instid0(SALU_CYCLE_1) | instskip(NEXT) | instid1(SALU_CYCLE_1)
	s_ashr_i32 s13, s12, 31
	s_lshl_b64 s[12:13], s[12:13], 2
	s_delay_alu instid0(SALU_CYCLE_1) | instskip(SKIP_1) | instid1(SALU_CYCLE_1)
	s_add_u32 s12, s22, s12
	s_addc_u32 s2, s23, s13
	s_and_b32 s13, s2, 0xffff
	s_clause 0x3
	buffer_load_b128 v[22:25], v19, s[12:15], 0 offen
	buffer_load_b128 v[26:29], v19, s[12:15], 16 offen
	;; [unrolled: 1-line block ×4, first 2 shown]
	s_waitcnt vmcnt(3)
	v_dual_mul_f32 v36, v22, v5 :: v_dual_mul_f32 v37, v23, v6
	v_dual_mul_f32 v30, v24, v7 :: v_dual_mul_f32 v31, v25, v10
	s_waitcnt vmcnt(2)
	v_dual_mul_f32 v32, v26, v11 :: v_dual_mul_f32 v33, v27, v12
	s_delay_alu instid0(VALU_DEP_3) | instskip(SKIP_3) | instid1(VALU_DEP_3)
	v_max3_f32 v22, |v36|, 0x2edbe6ff, |v37|
	v_dual_mul_f32 v34, v28, v1 :: v_dual_mul_f32 v35, v29, v8
	s_waitcnt vmcnt(1)
	v_dual_mul_f32 v27, v38, v13 :: v_dual_mul_f32 v28, v39, v14
	v_max3_f32 v22, v22, |v30|, |v31|
	s_waitcnt vmcnt(0)
	v_mul_f32_e32 v25, v42, v3
	v_dual_mul_f32 v29, v43, v4 :: v_dual_mul_f32 v26, v45, v17
	v_mul_f32_e32 v23, v41, v2
	v_max3_f32 v22, v22, |v32|, |v33|
	s_delay_alu instid0(VALU_DEP_1) | instskip(SKIP_1) | instid1(VALU_DEP_2)
	v_max3_f32 v24, v22, |v34|, |v35|
	v_mul_f32_e32 v22, v40, v15
	v_max3_f32 v24, v24, |v27|, |v28|
	s_delay_alu instid0(VALU_DEP_1) | instskip(SKIP_1) | instid1(VALU_DEP_2)
	v_max3_f32 v38, v24, |v22|, |v23|
	v_mul_f32_e32 v24, v44, v16
	v_max3_f32 v38, v38, |v25|, |v29|
	s_delay_alu instid0(VALU_DEP_1) | instskip(NEXT) | instid1(VALU_DEP_1)
	v_max3_f32 v38, v38, |v24|, |v26|
	v_mov_b32_dpp v39, v38 quad_perm:[1,0,3,2] row_mask:0xf bank_mask:0xf
	s_delay_alu instid0(VALU_DEP_1) | instskip(NEXT) | instid1(VALU_DEP_1)
	v_cmp_gt_f32_e64 s2, v38, v39
	v_cndmask_b32_e64 v38, v39, v38, s2
	s_delay_alu instid0(VALU_DEP_1) | instskip(NEXT) | instid1(VALU_DEP_1)
	v_mov_b32_dpp v39, v38 quad_perm:[2,3,0,1] row_mask:0xf bank_mask:0xf
	v_cmp_gt_f32_e64 s2, v38, v39
	s_delay_alu instid0(VALU_DEP_1) | instskip(NEXT) | instid1(VALU_DEP_1)
	v_cndmask_b32_e64 v38, v39, v38, s2
	v_mov_b32_dpp v39, v38 row_xmask:7 row_mask:0xf bank_mask:0xf
	s_delay_alu instid0(VALU_DEP_1) | instskip(NEXT) | instid1(VALU_DEP_1)
	v_cmp_gt_f32_e64 s2, v38, v39
	v_cndmask_b32_e64 v38, v39, v38, s2
	s_delay_alu instid0(VALU_DEP_1) | instskip(NEXT) | instid1(VALU_DEP_1)
	v_mov_b32_dpp v39, v38 row_xmask:15 row_mask:0xf bank_mask:0xf
	v_cmp_gt_f32_e64 s2, v38, v39
	s_and_saveexec_b32 s12, vcc_lo
	s_cbranch_execz .LBB195_9
; %bb.8:                                ;   in Loop: Header=BB195_6 Depth=1
	s_delay_alu instid0(VALU_DEP_1) | instskip(NEXT) | instid1(VALU_DEP_1)
	v_cndmask_b32_e64 v38, v39, v38, s2
	v_permlanex16_b32 v39, v38, s11, 0xfedcba98 op_sel:[1,1]
	s_delay_alu instid0(VALU_DEP_1) | instskip(NEXT) | instid1(VALU_DEP_1)
	v_cmp_gt_f32_e64 s2, v38, v39
	v_cndmask_b32_e64 v38, v39, v38, s2
	ds_store_b32 v20, v38
.LBB195_9:                              ;   in Loop: Header=BB195_6 Depth=1
	s_or_b32 exec_lo, exec_lo, s12
	s_waitcnt lgkmcnt(0)
	s_waitcnt_vscnt null, 0x0
	s_barrier
	buffer_gl0_inv
	ds_load_b32 v38, v21
	s_waitcnt lgkmcnt(0)
	v_mov_b32_dpp v39, v38 quad_perm:[1,0,3,2] row_mask:0xf bank_mask:0xf
	s_delay_alu instid0(VALU_DEP_1) | instskip(NEXT) | instid1(VALU_DEP_1)
	v_cmp_gt_f32_e64 s2, v38, v39
	v_cndmask_b32_e64 v38, v39, v38, s2
	s_delay_alu instid0(VALU_DEP_1) | instskip(NEXT) | instid1(VALU_DEP_1)
	v_mov_b32_dpp v39, v38 quad_perm:[2,3,0,1] row_mask:0xf bank_mask:0xf
	v_cmp_gt_f32_e64 s2, v38, v39
	s_delay_alu instid0(VALU_DEP_1) | instskip(NEXT) | instid1(VALU_DEP_1)
	v_cndmask_b32_e64 v38, v39, v38, s2
	v_mov_b32_dpp v39, v38 row_xmask:7 row_mask:0xf bank_mask:0xf
	s_delay_alu instid0(VALU_DEP_1) | instskip(NEXT) | instid1(VALU_DEP_1)
	v_cmp_gt_f32_e64 s2, v38, v39
	v_cndmask_b32_e64 v38, v39, v38, s2
	s_delay_alu instid0(VALU_DEP_1)
	v_mul_f32_e32 v38, 0x3c010204, v38
	s_and_saveexec_b32 s2, s0
	s_cbranch_execz .LBB195_11
; %bb.10:                               ;   in Loop: Header=BB195_6 Depth=1
	s_ashr_i32 s21, s20, 31
	s_delay_alu instid0(SALU_CYCLE_1) | instskip(NEXT) | instid1(SALU_CYCLE_1)
	s_lshl_b64 s[12:13], s[20:21], 2
	s_add_u32 s12, s6, s12
	s_addc_u32 s13, s7, s13
	global_store_b32 v0, v38, s[12:13]
.LBB195_11:                             ;   in Loop: Header=BB195_6 Depth=1
	s_or_b32 exec_lo, exec_lo, s2
	s_and_saveexec_b32 s2, s1
	s_cbranch_execz .LBB195_4
; %bb.12:                               ;   in Loop: Header=BB195_6 Depth=1
	v_rcp_f32_e32 v38, v38
	s_mul_i32 s12, s20, s10
	s_mul_hi_i32 s13, s20, s10
	s_add_u32 s16, s4, s12
	s_addc_u32 s12, s5, s13
	s_mov_b32 s19, s15
	s_and_b32 s17, s12, 0xffff
	s_waitcnt_depctr 0xfff
	v_mul_f32_e32 v29, v29, v38
	v_mul_f32_e32 v25, v25, v38
	;; [unrolled: 1-line block ×5, first 2 shown]
	v_cvt_i32_f32_e32 v29, v29
	v_cvt_i32_f32_e32 v25, v25
	v_mul_f32_e32 v36, v36, v38
	v_mul_f32_e32 v24, v24, v38
	v_cvt_i32_f32_e32 v27, v27
	v_lshlrev_b16 v29, 8, v29
	v_and_b32_e32 v25, 0xff, v25
	v_cvt_i32_f32_e32 v26, v26
	v_cvt_i32_f32_e32 v24, v24
	;; [unrolled: 1-line block ×3, first 2 shown]
	v_mul_f32_e32 v37, v37, v38
	v_or_b32_e32 v25, v25, v29
	v_mul_f32_e32 v32, v32, v38
	v_dual_mul_f32 v30, v30, v38 :: v_dual_and_b32 v27, 0xff, v27
	v_lshlrev_b16 v26, 8, v26
	v_and_b32_e32 v24, 0xff, v24
	v_lshlrev_b16 v28, 8, v28
	v_mul_f32_e32 v23, v23, v38
	v_dual_mul_f32 v22, v22, v38 :: v_dual_and_b32 v25, 0xffff, v25
	v_cvt_i32_f32_e32 v32, v32
	v_mul_f32_e32 v33, v33, v38
	v_or_b32_e32 v24, v24, v26
	v_or_b32_e32 v26, v27, v28
	v_cvt_i32_f32_e32 v23, v23
	v_and_b32_e32 v28, 0xff, v32
	v_cvt_i32_f32_e32 v33, v33
	v_cvt_i32_f32_e32 v22, v22
	v_dual_mul_f32 v31, v31, v38 :: v_dual_lshlrev_b32 v24, 16, v24
	v_lshlrev_b16 v23, 8, v23
	s_delay_alu instid0(VALU_DEP_4) | instskip(NEXT) | instid1(VALU_DEP_4)
	v_lshlrev_b16 v27, 8, v33
	v_and_b32_e32 v22, 0xff, v22
	v_cvt_i32_f32_e32 v36, v36
	v_mul_f32_e32 v35, v35, v38
	v_cvt_i32_f32_e32 v37, v37
	v_cvt_i32_f32_e32 v30, v30
	v_or_b32_e32 v22, v22, v23
	v_or_b32_e32 v23, v28, v27
	v_mul_f32_e32 v34, v34, v38
	v_cvt_i32_f32_e32 v31, v31
	v_lshlrev_b16 v33, 8, v37
	v_and_b32_e32 v30, 0xff, v30
	v_and_b32_e32 v23, 0xffff, v23
	v_cvt_i32_f32_e32 v34, v34
	v_lshlrev_b16 v31, 8, v31
	v_and_b32_e32 v26, 0xffff, v26
	v_lshlrev_b32_e32 v22, 16, v22
	v_or_b32_e32 v25, v25, v24
	v_and_b32_e32 v32, 0xff, v34
	v_and_b32_e32 v34, 0xff, v36
	v_cvt_i32_f32_e32 v35, v35
	v_or_b32_e32 v24, v26, v22
	s_delay_alu instid0(VALU_DEP_3) | instskip(NEXT) | instid1(VALU_DEP_3)
	v_or_b32_e32 v28, v34, v33
	v_lshlrev_b16 v29, 8, v35
	s_delay_alu instid0(VALU_DEP_2) | instskip(NEXT) | instid1(VALU_DEP_2)
	v_and_b32_e32 v28, 0xffff, v28
	v_or_b32_e32 v27, v32, v29
	v_or_b32_e32 v29, v30, v31
	s_delay_alu instid0(VALU_DEP_2) | instskip(NEXT) | instid1(VALU_DEP_2)
	v_lshlrev_b32_e32 v27, 16, v27
	v_lshlrev_b32_e32 v29, 16, v29
	s_delay_alu instid0(VALU_DEP_2) | instskip(NEXT) | instid1(VALU_DEP_2)
	v_or_b32_e32 v23, v23, v27
	v_or_b32_e32 v22, v28, v29
	buffer_store_b128 v[22:25], v18, s[16:19], 0 offen
	;;#ASMSTART
	s_nop 0
	;;#ASMEND
	s_branch .LBB195_4
.LBB195_13:
	s_nop 0
	s_sendmsg sendmsg(MSG_DEALLOC_VGPRS)
	s_endpgm
	.section	.rodata,"a",@progbits
	.p2align	6, 0x0
	.amdhsa_kernel _ZN5aiter43moe_smooth_per_token_scaled_quant_kernel_v1ItaLi256ELi16ELb1ELb1ELi1024EEEvPT0_PfPT_S3_PiS6_iiiii
		.amdhsa_group_segment_fixed_size 4128
		.amdhsa_private_segment_fixed_size 0
		.amdhsa_kernarg_size 68
		.amdhsa_user_sgpr_count 15
		.amdhsa_user_sgpr_dispatch_ptr 0
		.amdhsa_user_sgpr_queue_ptr 0
		.amdhsa_user_sgpr_kernarg_segment_ptr 1
		.amdhsa_user_sgpr_dispatch_id 0
		.amdhsa_user_sgpr_private_segment_size 0
		.amdhsa_wavefront_size32 1
		.amdhsa_uses_dynamic_stack 0
		.amdhsa_enable_private_segment 0
		.amdhsa_system_sgpr_workgroup_id_x 1
		.amdhsa_system_sgpr_workgroup_id_y 0
		.amdhsa_system_sgpr_workgroup_id_z 0
		.amdhsa_system_sgpr_workgroup_info 0
		.amdhsa_system_vgpr_workitem_id 0
		.amdhsa_next_free_vgpr 46
		.amdhsa_next_free_sgpr 24
		.amdhsa_reserve_vcc 1
		.amdhsa_float_round_mode_32 0
		.amdhsa_float_round_mode_16_64 0
		.amdhsa_float_denorm_mode_32 3
		.amdhsa_float_denorm_mode_16_64 3
		.amdhsa_dx10_clamp 1
		.amdhsa_ieee_mode 1
		.amdhsa_fp16_overflow 0
		.amdhsa_workgroup_processor_mode 1
		.amdhsa_memory_ordered 1
		.amdhsa_forward_progress 0
		.amdhsa_shared_vgpr_count 0
		.amdhsa_exception_fp_ieee_invalid_op 0
		.amdhsa_exception_fp_denorm_src 0
		.amdhsa_exception_fp_ieee_div_zero 0
		.amdhsa_exception_fp_ieee_overflow 0
		.amdhsa_exception_fp_ieee_underflow 0
		.amdhsa_exception_fp_ieee_inexact 0
		.amdhsa_exception_int_div_zero 0
	.end_amdhsa_kernel
	.section	.text._ZN5aiter43moe_smooth_per_token_scaled_quant_kernel_v1ItaLi256ELi16ELb1ELb1ELi1024EEEvPT0_PfPT_S3_PiS6_iiiii,"axG",@progbits,_ZN5aiter43moe_smooth_per_token_scaled_quant_kernel_v1ItaLi256ELi16ELb1ELb1ELi1024EEEvPT0_PfPT_S3_PiS6_iiiii,comdat
.Lfunc_end195:
	.size	_ZN5aiter43moe_smooth_per_token_scaled_quant_kernel_v1ItaLi256ELi16ELb1ELb1ELi1024EEEvPT0_PfPT_S3_PiS6_iiiii, .Lfunc_end195-_ZN5aiter43moe_smooth_per_token_scaled_quant_kernel_v1ItaLi256ELi16ELb1ELb1ELi1024EEEvPT0_PfPT_S3_PiS6_iiiii
                                        ; -- End function
	.section	.AMDGPU.csdata,"",@progbits
; Kernel info:
; codeLenInByte = 1708
; NumSgprs: 26
; NumVgprs: 46
; ScratchSize: 0
; MemoryBound: 0
; FloatMode: 240
; IeeeMode: 1
; LDSByteSize: 4128 bytes/workgroup (compile time only)
; SGPRBlocks: 3
; VGPRBlocks: 5
; NumSGPRsForWavesPerEU: 26
; NumVGPRsForWavesPerEU: 46
; Occupancy: 16
; WaveLimiterHint : 0
; COMPUTE_PGM_RSRC2:SCRATCH_EN: 0
; COMPUTE_PGM_RSRC2:USER_SGPR: 15
; COMPUTE_PGM_RSRC2:TRAP_HANDLER: 0
; COMPUTE_PGM_RSRC2:TGID_X_EN: 1
; COMPUTE_PGM_RSRC2:TGID_Y_EN: 0
; COMPUTE_PGM_RSRC2:TGID_Z_EN: 0
; COMPUTE_PGM_RSRC2:TIDIG_COMP_CNT: 0
	.section	.text._ZN5aiter43moe_smooth_per_token_scaled_quant_kernel_v1IDF16_aLi256ELi16ELb1ELb0ELi1024EEEvPT0_PfPT_S3_PiS6_iiiii,"axG",@progbits,_ZN5aiter43moe_smooth_per_token_scaled_quant_kernel_v1IDF16_aLi256ELi16ELb1ELb0ELi1024EEEvPT0_PfPT_S3_PiS6_iiiii,comdat
	.protected	_ZN5aiter43moe_smooth_per_token_scaled_quant_kernel_v1IDF16_aLi256ELi16ELb1ELb0ELi1024EEEvPT0_PfPT_S3_PiS6_iiiii ; -- Begin function _ZN5aiter43moe_smooth_per_token_scaled_quant_kernel_v1IDF16_aLi256ELi16ELb1ELb0ELi1024EEEvPT0_PfPT_S3_PiS6_iiiii
	.globl	_ZN5aiter43moe_smooth_per_token_scaled_quant_kernel_v1IDF16_aLi256ELi16ELb1ELb0ELi1024EEEvPT0_PfPT_S3_PiS6_iiiii
	.p2align	8
	.type	_ZN5aiter43moe_smooth_per_token_scaled_quant_kernel_v1IDF16_aLi256ELi16ELb1ELb0ELi1024EEEvPT0_PfPT_S3_PiS6_iiiii,@function
_ZN5aiter43moe_smooth_per_token_scaled_quant_kernel_v1IDF16_aLi256ELi16ELb1ELb0ELi1024EEEvPT0_PfPT_S3_PiS6_iiiii: ; @_ZN5aiter43moe_smooth_per_token_scaled_quant_kernel_v1IDF16_aLi256ELi16ELb1ELb0ELi1024EEEvPT0_PfPT_S3_PiS6_iiiii
; %bb.0:
	s_clause 0x2
	s_load_b128 s[4:7], s[0:1], 0x30
	s_load_b64 s[2:3], s[0:1], 0x20
	s_load_b64 s[12:13], s[0:1], 0x10
	v_and_b32_e32 v20, 31, v0
	s_mov_b32 s20, s15
	s_mov_b32 s11, -1
	v_lshlrev_b32_e32 v1, 5, v0
	s_delay_alu instid0(VALU_DEP_2)
	v_lshlrev_b32_e32 v2, 2, v20
	s_waitcnt lgkmcnt(0)
	s_mul_i32 s8, s15, s5
	s_mul_hi_i32 s15, s7, s15
	s_ashr_i32 s9, s8, 31
	s_mul_i32 s14, s7, s20
	s_lshl_b64 s[8:9], s[8:9], 2
	s_delay_alu instid0(SALU_CYCLE_1)
	s_add_u32 s8, s2, s8
	s_addc_u32 s2, s3, s9
	s_lshl_b32 s10, s5, 2
	s_and_b32 s9, s2, 0xffff
	s_lshl_b64 s[2:3], s[14:15], 1
	buffer_load_b32 v9, v2, s[8:11], 0 offen
	s_add_u32 s8, s12, s2
	s_addc_u32 s2, s13, s3
	s_lshl_b32 s10, s6, 1
	s_and_b32 s9, s2, 0xffff
	s_clause 0x1
	buffer_load_b128 v[5:8], v1, s[8:11], 0 offen
	buffer_load_b128 v[1:4], v1, s[8:11], 16 offen
	s_mov_b32 s3, 0
	s_cmp_lt_i32 s5, 1
	s_waitcnt vmcnt(0) expcnt(2) lgkmcnt(55)
	s_barrier
	buffer_gl0_inv
	s_cbranch_scc1 .LBB196_11
; %bb.1:
	s_clause 0x1
	s_load_b128 s[12:15], s[0:1], 0x0
	s_load_b64 s[22:23], s[0:1], 0x18
	s_add_i32 s1, s6, 15
	v_lshrrev_b32_e32 v10, 16, v5
	s_ashr_i32 s2, s1, 31
	v_lshrrev_b32_e32 v11, 16, v6
	s_lshr_b32 s2, s2, 28
	v_lshrrev_b32_e32 v12, 16, v7
	v_lshrrev_b32_e32 v13, 16, v8
	;; [unrolled: 1-line block ×7, first 2 shown]
	v_and_b32_e32 v22, 7, v0
	s_add_i32 s7, s6, 3
	s_add_i32 s1, s1, s2
	s_ashr_i32 s2, s7, 31
	s_ashr_i32 s1, s1, 4
	s_lshr_b32 s2, s2, 30
	v_cvt_f32_f16_e32 v5, v5
	v_cvt_f32_f16_e32 v10, v10
	;; [unrolled: 1-line block ×16, first 2 shown]
	v_lshlrev_b32_e32 v18, 4, v0
	v_lshlrev_b32_e32 v19, 6, v0
	v_cmp_eq_u32_e32 vcc_lo, 31, v20
	v_and_b32_e32 v20, 0x7c, v21
	v_lshlrev_b32_e32 v21, 2, v22
	v_cmp_eq_u32_e64 s0, 0, v0
	v_cmp_gt_u32_e64 s1, s1, v0
	v_mov_b32_e32 v0, 0
	s_add_i32 s7, s7, s2
	s_lshl_b32 s10, s6, 2
	s_and_b32 s18, s7, -4
	s_mov_b32 s7, 0x76543210
	s_branch .LBB196_4
.LBB196_2:                              ;   in Loop: Header=BB196_4 Depth=1
	s_or_b32 exec_lo, exec_lo, s2
.LBB196_3:                              ;   in Loop: Header=BB196_4 Depth=1
	s_add_i32 s3, s3, 1
	s_add_i32 s20, s20, s4
	s_cmp_eq_u32 s5, s3
	s_cbranch_scc1 .LBB196_11
.LBB196_4:                              ; =>This Inner Loop Header: Depth=1
	v_readlane_b32 s2, v9, s3
	s_delay_alu instid0(VALU_DEP_1)
	s_cmp_lt_i32 s2, 0
	s_cbranch_scc1 .LBB196_3
; %bb.5:                                ;   in Loop: Header=BB196_4 Depth=1
	s_mul_i32 s8, s2, s6
	s_delay_alu instid0(SALU_CYCLE_1) | instskip(NEXT) | instid1(SALU_CYCLE_1)
	s_ashr_i32 s9, s8, 31
	s_lshl_b64 s[8:9], s[8:9], 2
	s_waitcnt lgkmcnt(0)
	s_add_u32 s8, s22, s8
	s_addc_u32 s2, s23, s9
	s_delay_alu instid0(SALU_CYCLE_1)
	s_and_b32 s9, s2, 0xffff
	s_clause 0x3
	buffer_load_b128 v[22:25], v19, s[8:11], 0 offen
	buffer_load_b128 v[26:29], v19, s[8:11], 16 offen
	;; [unrolled: 1-line block ×4, first 2 shown]
	s_waitcnt vmcnt(3)
	v_dual_mul_f32 v36, v22, v5 :: v_dual_mul_f32 v37, v23, v10
	v_dual_mul_f32 v30, v24, v6 :: v_dual_mul_f32 v31, v25, v11
	s_waitcnt vmcnt(2)
	v_dual_mul_f32 v32, v26, v7 :: v_dual_mul_f32 v33, v27, v12
	s_delay_alu instid0(VALU_DEP_3) | instskip(SKIP_3) | instid1(VALU_DEP_3)
	v_max3_f32 v22, |v36|, 0x2edbe6ff, |v37|
	v_dual_mul_f32 v34, v28, v8 :: v_dual_mul_f32 v35, v29, v13
	s_waitcnt vmcnt(1)
	v_dual_mul_f32 v27, v38, v1 :: v_dual_mul_f32 v28, v39, v14
	v_max3_f32 v22, v22, |v30|, |v31|
	s_waitcnt vmcnt(0)
	v_mul_f32_e32 v25, v42, v3
	v_dual_mul_f32 v29, v43, v16 :: v_dual_mul_f32 v26, v45, v17
	v_mul_f32_e32 v23, v41, v15
	v_max3_f32 v22, v22, |v32|, |v33|
	s_delay_alu instid0(VALU_DEP_1) | instskip(SKIP_1) | instid1(VALU_DEP_2)
	v_max3_f32 v24, v22, |v34|, |v35|
	v_mul_f32_e32 v22, v40, v2
	v_max3_f32 v24, v24, |v27|, |v28|
	s_delay_alu instid0(VALU_DEP_1) | instskip(SKIP_1) | instid1(VALU_DEP_2)
	v_max3_f32 v38, v24, |v22|, |v23|
	v_mul_f32_e32 v24, v44, v4
	v_max3_f32 v38, v38, |v25|, |v29|
	s_delay_alu instid0(VALU_DEP_1) | instskip(NEXT) | instid1(VALU_DEP_1)
	v_max3_f32 v38, v38, |v24|, |v26|
	v_mov_b32_dpp v39, v38 quad_perm:[1,0,3,2] row_mask:0xf bank_mask:0xf
	s_delay_alu instid0(VALU_DEP_1) | instskip(NEXT) | instid1(VALU_DEP_1)
	v_cmp_gt_f32_e64 s2, v38, v39
	v_cndmask_b32_e64 v38, v39, v38, s2
	s_delay_alu instid0(VALU_DEP_1) | instskip(NEXT) | instid1(VALU_DEP_1)
	v_mov_b32_dpp v39, v38 quad_perm:[2,3,0,1] row_mask:0xf bank_mask:0xf
	v_cmp_gt_f32_e64 s2, v38, v39
	s_delay_alu instid0(VALU_DEP_1) | instskip(NEXT) | instid1(VALU_DEP_1)
	v_cndmask_b32_e64 v38, v39, v38, s2
	v_mov_b32_dpp v39, v38 row_xmask:7 row_mask:0xf bank_mask:0xf
	s_delay_alu instid0(VALU_DEP_1) | instskip(NEXT) | instid1(VALU_DEP_1)
	v_cmp_gt_f32_e64 s2, v38, v39
	v_cndmask_b32_e64 v38, v39, v38, s2
	s_delay_alu instid0(VALU_DEP_1) | instskip(NEXT) | instid1(VALU_DEP_1)
	v_mov_b32_dpp v39, v38 row_xmask:15 row_mask:0xf bank_mask:0xf
	v_cmp_gt_f32_e64 s2, v38, v39
	s_and_saveexec_b32 s8, vcc_lo
	s_cbranch_execz .LBB196_7
; %bb.6:                                ;   in Loop: Header=BB196_4 Depth=1
	s_delay_alu instid0(VALU_DEP_1) | instskip(NEXT) | instid1(VALU_DEP_1)
	v_cndmask_b32_e64 v38, v39, v38, s2
	v_permlanex16_b32 v39, v38, s7, 0xfedcba98 op_sel:[1,1]
	s_delay_alu instid0(VALU_DEP_1) | instskip(NEXT) | instid1(VALU_DEP_1)
	v_cmp_gt_f32_e64 s2, v38, v39
	v_cndmask_b32_e64 v38, v39, v38, s2
	ds_store_b32 v20, v38
.LBB196_7:                              ;   in Loop: Header=BB196_4 Depth=1
	s_or_b32 exec_lo, exec_lo, s8
	s_waitcnt lgkmcnt(0)
	s_waitcnt_vscnt null, 0x0
	s_barrier
	buffer_gl0_inv
	ds_load_b32 v38, v21
	s_waitcnt lgkmcnt(0)
	v_mov_b32_dpp v39, v38 quad_perm:[1,0,3,2] row_mask:0xf bank_mask:0xf
	s_delay_alu instid0(VALU_DEP_1) | instskip(NEXT) | instid1(VALU_DEP_1)
	v_cmp_gt_f32_e64 s2, v38, v39
	v_cndmask_b32_e64 v38, v39, v38, s2
	s_delay_alu instid0(VALU_DEP_1) | instskip(NEXT) | instid1(VALU_DEP_1)
	v_mov_b32_dpp v39, v38 quad_perm:[2,3,0,1] row_mask:0xf bank_mask:0xf
	v_cmp_gt_f32_e64 s2, v38, v39
	s_delay_alu instid0(VALU_DEP_1) | instskip(NEXT) | instid1(VALU_DEP_1)
	v_cndmask_b32_e64 v38, v39, v38, s2
	v_mov_b32_dpp v39, v38 row_xmask:7 row_mask:0xf bank_mask:0xf
	s_delay_alu instid0(VALU_DEP_1) | instskip(NEXT) | instid1(VALU_DEP_1)
	v_cmp_gt_f32_e64 s2, v38, v39
	v_cndmask_b32_e64 v38, v39, v38, s2
	s_delay_alu instid0(VALU_DEP_1)
	v_mul_f32_e32 v38, 0x3c010204, v38
	s_and_saveexec_b32 s2, s0
	s_cbranch_execz .LBB196_9
; %bb.8:                                ;   in Loop: Header=BB196_4 Depth=1
	s_ashr_i32 s21, s20, 31
	s_delay_alu instid0(SALU_CYCLE_1) | instskip(NEXT) | instid1(SALU_CYCLE_1)
	s_lshl_b64 s[8:9], s[20:21], 2
	s_add_u32 s8, s14, s8
	s_addc_u32 s9, s15, s9
	global_store_b32 v0, v38, s[8:9]
.LBB196_9:                              ;   in Loop: Header=BB196_4 Depth=1
	s_or_b32 exec_lo, exec_lo, s2
	s_and_saveexec_b32 s2, s1
	s_cbranch_execz .LBB196_2
; %bb.10:                               ;   in Loop: Header=BB196_4 Depth=1
	v_rcp_f32_e32 v38, v38
	s_mul_i32 s8, s20, s6
	s_mul_hi_i32 s9, s20, s6
	s_add_u32 s16, s12, s8
	s_addc_u32 s8, s13, s9
	s_mov_b32 s19, s11
	s_and_b32 s17, s8, 0xffff
	s_waitcnt_depctr 0xfff
	v_mul_f32_e32 v29, v29, v38
	v_mul_f32_e32 v25, v25, v38
	;; [unrolled: 1-line block ×5, first 2 shown]
	v_cvt_i32_f32_e32 v29, v29
	v_cvt_i32_f32_e32 v25, v25
	v_mul_f32_e32 v36, v36, v38
	v_mul_f32_e32 v24, v24, v38
	v_cvt_i32_f32_e32 v27, v27
	v_lshlrev_b16 v29, 8, v29
	v_and_b32_e32 v25, 0xff, v25
	v_cvt_i32_f32_e32 v26, v26
	v_cvt_i32_f32_e32 v24, v24
	;; [unrolled: 1-line block ×3, first 2 shown]
	v_mul_f32_e32 v37, v37, v38
	v_or_b32_e32 v25, v25, v29
	v_mul_f32_e32 v32, v32, v38
	v_dual_mul_f32 v30, v30, v38 :: v_dual_and_b32 v27, 0xff, v27
	v_lshlrev_b16 v26, 8, v26
	v_and_b32_e32 v24, 0xff, v24
	v_lshlrev_b16 v28, 8, v28
	v_mul_f32_e32 v23, v23, v38
	v_dual_mul_f32 v22, v22, v38 :: v_dual_and_b32 v25, 0xffff, v25
	v_cvt_i32_f32_e32 v32, v32
	v_mul_f32_e32 v33, v33, v38
	v_or_b32_e32 v24, v24, v26
	v_or_b32_e32 v26, v27, v28
	v_cvt_i32_f32_e32 v23, v23
	v_and_b32_e32 v28, 0xff, v32
	v_cvt_i32_f32_e32 v33, v33
	v_cvt_i32_f32_e32 v22, v22
	v_dual_mul_f32 v31, v31, v38 :: v_dual_lshlrev_b32 v24, 16, v24
	v_lshlrev_b16 v23, 8, v23
	s_delay_alu instid0(VALU_DEP_4) | instskip(NEXT) | instid1(VALU_DEP_4)
	v_lshlrev_b16 v27, 8, v33
	v_and_b32_e32 v22, 0xff, v22
	v_cvt_i32_f32_e32 v36, v36
	v_mul_f32_e32 v35, v35, v38
	v_cvt_i32_f32_e32 v37, v37
	v_cvt_i32_f32_e32 v30, v30
	v_or_b32_e32 v22, v22, v23
	v_or_b32_e32 v23, v28, v27
	v_mul_f32_e32 v34, v34, v38
	v_cvt_i32_f32_e32 v31, v31
	v_lshlrev_b16 v33, 8, v37
	v_and_b32_e32 v30, 0xff, v30
	v_and_b32_e32 v23, 0xffff, v23
	v_cvt_i32_f32_e32 v34, v34
	v_lshlrev_b16 v31, 8, v31
	v_and_b32_e32 v26, 0xffff, v26
	v_lshlrev_b32_e32 v22, 16, v22
	v_or_b32_e32 v25, v25, v24
	v_and_b32_e32 v32, 0xff, v34
	v_and_b32_e32 v34, 0xff, v36
	v_cvt_i32_f32_e32 v35, v35
	v_or_b32_e32 v24, v26, v22
	s_delay_alu instid0(VALU_DEP_3) | instskip(NEXT) | instid1(VALU_DEP_3)
	v_or_b32_e32 v28, v34, v33
	v_lshlrev_b16 v29, 8, v35
	s_delay_alu instid0(VALU_DEP_2) | instskip(NEXT) | instid1(VALU_DEP_2)
	v_and_b32_e32 v28, 0xffff, v28
	v_or_b32_e32 v27, v32, v29
	v_or_b32_e32 v29, v30, v31
	s_delay_alu instid0(VALU_DEP_2) | instskip(NEXT) | instid1(VALU_DEP_2)
	v_lshlrev_b32_e32 v27, 16, v27
	v_lshlrev_b32_e32 v29, 16, v29
	s_delay_alu instid0(VALU_DEP_2) | instskip(NEXT) | instid1(VALU_DEP_2)
	v_or_b32_e32 v23, v23, v27
	v_or_b32_e32 v22, v28, v29
	buffer_store_b128 v[22:25], v18, s[16:19], 0 offen
	;;#ASMSTART
	s_nop 0
	;;#ASMEND
	s_branch .LBB196_2
.LBB196_11:
	s_nop 0
	s_sendmsg sendmsg(MSG_DEALLOC_VGPRS)
	s_endpgm
	.section	.rodata,"a",@progbits
	.p2align	6, 0x0
	.amdhsa_kernel _ZN5aiter43moe_smooth_per_token_scaled_quant_kernel_v1IDF16_aLi256ELi16ELb1ELb0ELi1024EEEvPT0_PfPT_S3_PiS6_iiiii
		.amdhsa_group_segment_fixed_size 32
		.amdhsa_private_segment_fixed_size 0
		.amdhsa_kernarg_size 68
		.amdhsa_user_sgpr_count 15
		.amdhsa_user_sgpr_dispatch_ptr 0
		.amdhsa_user_sgpr_queue_ptr 0
		.amdhsa_user_sgpr_kernarg_segment_ptr 1
		.amdhsa_user_sgpr_dispatch_id 0
		.amdhsa_user_sgpr_private_segment_size 0
		.amdhsa_wavefront_size32 1
		.amdhsa_uses_dynamic_stack 0
		.amdhsa_enable_private_segment 0
		.amdhsa_system_sgpr_workgroup_id_x 1
		.amdhsa_system_sgpr_workgroup_id_y 0
		.amdhsa_system_sgpr_workgroup_id_z 0
		.amdhsa_system_sgpr_workgroup_info 0
		.amdhsa_system_vgpr_workitem_id 0
		.amdhsa_next_free_vgpr 46
		.amdhsa_next_free_sgpr 24
		.amdhsa_reserve_vcc 1
		.amdhsa_float_round_mode_32 0
		.amdhsa_float_round_mode_16_64 0
		.amdhsa_float_denorm_mode_32 3
		.amdhsa_float_denorm_mode_16_64 3
		.amdhsa_dx10_clamp 1
		.amdhsa_ieee_mode 1
		.amdhsa_fp16_overflow 0
		.amdhsa_workgroup_processor_mode 1
		.amdhsa_memory_ordered 1
		.amdhsa_forward_progress 0
		.amdhsa_shared_vgpr_count 0
		.amdhsa_exception_fp_ieee_invalid_op 0
		.amdhsa_exception_fp_denorm_src 0
		.amdhsa_exception_fp_ieee_div_zero 0
		.amdhsa_exception_fp_ieee_overflow 0
		.amdhsa_exception_fp_ieee_underflow 0
		.amdhsa_exception_fp_ieee_inexact 0
		.amdhsa_exception_int_div_zero 0
	.end_amdhsa_kernel
	.section	.text._ZN5aiter43moe_smooth_per_token_scaled_quant_kernel_v1IDF16_aLi256ELi16ELb1ELb0ELi1024EEEvPT0_PfPT_S3_PiS6_iiiii,"axG",@progbits,_ZN5aiter43moe_smooth_per_token_scaled_quant_kernel_v1IDF16_aLi256ELi16ELb1ELb0ELi1024EEEvPT0_PfPT_S3_PiS6_iiiii,comdat
.Lfunc_end196:
	.size	_ZN5aiter43moe_smooth_per_token_scaled_quant_kernel_v1IDF16_aLi256ELi16ELb1ELb0ELi1024EEEvPT0_PfPT_S3_PiS6_iiiii, .Lfunc_end196-_ZN5aiter43moe_smooth_per_token_scaled_quant_kernel_v1IDF16_aLi256ELi16ELb1ELb0ELi1024EEEvPT0_PfPT_S3_PiS6_iiiii
                                        ; -- End function
	.section	.AMDGPU.csdata,"",@progbits
; Kernel info:
; codeLenInByte = 1488
; NumSgprs: 26
; NumVgprs: 46
; ScratchSize: 0
; MemoryBound: 0
; FloatMode: 240
; IeeeMode: 1
; LDSByteSize: 32 bytes/workgroup (compile time only)
; SGPRBlocks: 3
; VGPRBlocks: 5
; NumSGPRsForWavesPerEU: 26
; NumVGPRsForWavesPerEU: 46
; Occupancy: 16
; WaveLimiterHint : 0
; COMPUTE_PGM_RSRC2:SCRATCH_EN: 0
; COMPUTE_PGM_RSRC2:USER_SGPR: 15
; COMPUTE_PGM_RSRC2:TRAP_HANDLER: 0
; COMPUTE_PGM_RSRC2:TGID_X_EN: 1
; COMPUTE_PGM_RSRC2:TGID_Y_EN: 0
; COMPUTE_PGM_RSRC2:TGID_Z_EN: 0
; COMPUTE_PGM_RSRC2:TIDIG_COMP_CNT: 0
	.section	.text._ZN5aiter43moe_smooth_per_token_scaled_quant_kernel_v1ItaLi256ELi16ELb1ELb0ELi1024EEEvPT0_PfPT_S3_PiS6_iiiii,"axG",@progbits,_ZN5aiter43moe_smooth_per_token_scaled_quant_kernel_v1ItaLi256ELi16ELb1ELb0ELi1024EEEvPT0_PfPT_S3_PiS6_iiiii,comdat
	.protected	_ZN5aiter43moe_smooth_per_token_scaled_quant_kernel_v1ItaLi256ELi16ELb1ELb0ELi1024EEEvPT0_PfPT_S3_PiS6_iiiii ; -- Begin function _ZN5aiter43moe_smooth_per_token_scaled_quant_kernel_v1ItaLi256ELi16ELb1ELb0ELi1024EEEvPT0_PfPT_S3_PiS6_iiiii
	.globl	_ZN5aiter43moe_smooth_per_token_scaled_quant_kernel_v1ItaLi256ELi16ELb1ELb0ELi1024EEEvPT0_PfPT_S3_PiS6_iiiii
	.p2align	8
	.type	_ZN5aiter43moe_smooth_per_token_scaled_quant_kernel_v1ItaLi256ELi16ELb1ELb0ELi1024EEEvPT0_PfPT_S3_PiS6_iiiii,@function
_ZN5aiter43moe_smooth_per_token_scaled_quant_kernel_v1ItaLi256ELi16ELb1ELb0ELi1024EEEvPT0_PfPT_S3_PiS6_iiiii: ; @_ZN5aiter43moe_smooth_per_token_scaled_quant_kernel_v1ItaLi256ELi16ELb1ELb0ELi1024EEEvPT0_PfPT_S3_PiS6_iiiii
; %bb.0:
	s_clause 0x2
	s_load_b128 s[4:7], s[0:1], 0x30
	s_load_b64 s[2:3], s[0:1], 0x20
	s_load_b64 s[12:13], s[0:1], 0x10
	v_and_b32_e32 v20, 31, v0
	s_mov_b32 s20, s15
	s_mov_b32 s11, -1
	v_lshlrev_b32_e32 v1, 5, v0
	s_delay_alu instid0(VALU_DEP_2)
	v_lshlrev_b32_e32 v2, 2, v20
	s_waitcnt lgkmcnt(0)
	s_mul_i32 s8, s15, s5
	s_mul_hi_i32 s15, s7, s15
	s_ashr_i32 s9, s8, 31
	s_mul_i32 s14, s7, s20
	s_lshl_b64 s[8:9], s[8:9], 2
	s_delay_alu instid0(SALU_CYCLE_1)
	s_add_u32 s8, s2, s8
	s_addc_u32 s2, s3, s9
	s_lshl_b32 s10, s5, 2
	s_and_b32 s9, s2, 0xffff
	s_lshl_b64 s[2:3], s[14:15], 1
	buffer_load_b32 v9, v2, s[8:11], 0 offen
	s_add_u32 s8, s12, s2
	s_addc_u32 s2, s13, s3
	s_lshl_b32 s10, s6, 1
	s_and_b32 s9, s2, 0xffff
	s_clause 0x1
	buffer_load_b128 v[5:8], v1, s[8:11], 0 offen
	buffer_load_b128 v[1:4], v1, s[8:11], 16 offen
	s_mov_b32 s3, 0
	s_cmp_lt_i32 s5, 1
	s_waitcnt vmcnt(0) expcnt(2) lgkmcnt(55)
	s_barrier
	buffer_gl0_inv
	s_cbranch_scc1 .LBB197_11
; %bb.1:
	v_and_b32_e32 v10, 0xffff, v5
	s_clause 0x1
	s_load_b128 s[12:15], s[0:1], 0x0
	s_load_b64 s[22:23], s[0:1], 0x18
	v_lshrrev_b32_e32 v11, 16, v5
	v_and_b32_e32 v12, 0xffff, v6
	v_and_b32_e32 v13, 0xffff, v7
	v_lshrrev_b32_e32 v14, 16, v7
	v_cvt_f32_u32_e32 v5, v10
	v_lshrrev_b32_e32 v10, 16, v6
	v_cvt_f32_u32_e32 v6, v11
	v_cvt_f32_u32_e32 v7, v12
	;; [unrolled: 1-line block ×4, first 2 shown]
	v_and_b32_e32 v13, 0xffff, v8
	v_and_b32_e32 v14, 0xffff, v1
	v_lshrrev_b32_e32 v15, 16, v1
	v_and_b32_e32 v16, 0xffff, v2
	s_add_i32 s1, s6, 15
	v_lshrrev_b32_e32 v8, 16, v8
	s_ashr_i32 s2, s1, 31
	v_cvt_f32_u32_e32 v1, v13
	s_lshr_b32 s2, s2, 28
	v_cvt_f32_u32_e32 v13, v14
	v_cvt_f32_u32_e32 v14, v15
	;; [unrolled: 1-line block ×3, first 2 shown]
	v_lshrrev_b32_e32 v2, 16, v2
	v_and_b32_e32 v16, 0xffff, v3
	v_lshrrev_b32_e32 v17, 16, v3
	v_and_b32_e32 v18, 0xffff, v4
	v_lshrrev_b32_e32 v19, 16, v4
	v_lshrrev_b32_e32 v21, 3, v0
	v_and_b32_e32 v22, 7, v0
	s_add_i32 s7, s6, 3
	s_add_i32 s1, s1, s2
	s_ashr_i32 s2, s7, 31
	s_ashr_i32 s1, s1, 4
	s_lshr_b32 s2, s2, 30
	v_cvt_f32_u32_e32 v10, v10
	v_cvt_f32_u32_e32 v8, v8
	;; [unrolled: 1-line block ×7, first 2 shown]
	v_lshlrev_b32_e32 v18, 4, v0
	v_lshlrev_b32_e32 v19, 6, v0
	v_cmp_eq_u32_e32 vcc_lo, 31, v20
	v_and_b32_e32 v20, 0x7c, v21
	v_lshlrev_b32_e32 v21, 2, v22
	v_cmp_eq_u32_e64 s0, 0, v0
	v_cmp_gt_u32_e64 s1, s1, v0
	v_mov_b32_e32 v0, 0
	s_add_i32 s7, s7, s2
	s_lshl_b32 s10, s6, 2
	s_and_b32 s18, s7, -4
	s_mov_b32 s7, 0x76543210
	s_branch .LBB197_4
.LBB197_2:                              ;   in Loop: Header=BB197_4 Depth=1
	s_or_b32 exec_lo, exec_lo, s2
.LBB197_3:                              ;   in Loop: Header=BB197_4 Depth=1
	s_add_i32 s3, s3, 1
	s_add_i32 s20, s20, s4
	s_cmp_eq_u32 s5, s3
	s_cbranch_scc1 .LBB197_11
.LBB197_4:                              ; =>This Inner Loop Header: Depth=1
	v_readlane_b32 s2, v9, s3
	s_delay_alu instid0(VALU_DEP_1)
	s_cmp_lt_i32 s2, 0
	s_cbranch_scc1 .LBB197_3
; %bb.5:                                ;   in Loop: Header=BB197_4 Depth=1
	s_mul_i32 s8, s2, s6
	s_delay_alu instid0(SALU_CYCLE_1) | instskip(NEXT) | instid1(SALU_CYCLE_1)
	s_ashr_i32 s9, s8, 31
	s_lshl_b64 s[8:9], s[8:9], 2
	s_waitcnt lgkmcnt(0)
	s_add_u32 s8, s22, s8
	s_addc_u32 s2, s23, s9
	s_delay_alu instid0(SALU_CYCLE_1)
	s_and_b32 s9, s2, 0xffff
	s_clause 0x3
	buffer_load_b128 v[22:25], v19, s[8:11], 0 offen
	buffer_load_b128 v[26:29], v19, s[8:11], 16 offen
	;; [unrolled: 1-line block ×4, first 2 shown]
	s_waitcnt vmcnt(3)
	v_dual_mul_f32 v36, v22, v5 :: v_dual_mul_f32 v37, v23, v6
	v_dual_mul_f32 v30, v24, v7 :: v_dual_mul_f32 v31, v25, v10
	s_waitcnt vmcnt(2)
	v_dual_mul_f32 v32, v26, v11 :: v_dual_mul_f32 v33, v27, v12
	s_delay_alu instid0(VALU_DEP_3) | instskip(SKIP_3) | instid1(VALU_DEP_3)
	v_max3_f32 v22, |v36|, 0x2edbe6ff, |v37|
	v_dual_mul_f32 v34, v28, v1 :: v_dual_mul_f32 v35, v29, v8
	s_waitcnt vmcnt(1)
	v_dual_mul_f32 v27, v38, v13 :: v_dual_mul_f32 v28, v39, v14
	v_max3_f32 v22, v22, |v30|, |v31|
	s_waitcnt vmcnt(0)
	v_mul_f32_e32 v25, v42, v3
	v_dual_mul_f32 v29, v43, v4 :: v_dual_mul_f32 v26, v45, v17
	v_mul_f32_e32 v23, v41, v2
	v_max3_f32 v22, v22, |v32|, |v33|
	s_delay_alu instid0(VALU_DEP_1) | instskip(SKIP_1) | instid1(VALU_DEP_2)
	v_max3_f32 v24, v22, |v34|, |v35|
	v_mul_f32_e32 v22, v40, v15
	v_max3_f32 v24, v24, |v27|, |v28|
	s_delay_alu instid0(VALU_DEP_1) | instskip(SKIP_1) | instid1(VALU_DEP_2)
	v_max3_f32 v38, v24, |v22|, |v23|
	v_mul_f32_e32 v24, v44, v16
	v_max3_f32 v38, v38, |v25|, |v29|
	s_delay_alu instid0(VALU_DEP_1) | instskip(NEXT) | instid1(VALU_DEP_1)
	v_max3_f32 v38, v38, |v24|, |v26|
	v_mov_b32_dpp v39, v38 quad_perm:[1,0,3,2] row_mask:0xf bank_mask:0xf
	s_delay_alu instid0(VALU_DEP_1) | instskip(NEXT) | instid1(VALU_DEP_1)
	v_cmp_gt_f32_e64 s2, v38, v39
	v_cndmask_b32_e64 v38, v39, v38, s2
	s_delay_alu instid0(VALU_DEP_1) | instskip(NEXT) | instid1(VALU_DEP_1)
	v_mov_b32_dpp v39, v38 quad_perm:[2,3,0,1] row_mask:0xf bank_mask:0xf
	v_cmp_gt_f32_e64 s2, v38, v39
	s_delay_alu instid0(VALU_DEP_1) | instskip(NEXT) | instid1(VALU_DEP_1)
	v_cndmask_b32_e64 v38, v39, v38, s2
	v_mov_b32_dpp v39, v38 row_xmask:7 row_mask:0xf bank_mask:0xf
	s_delay_alu instid0(VALU_DEP_1) | instskip(NEXT) | instid1(VALU_DEP_1)
	v_cmp_gt_f32_e64 s2, v38, v39
	v_cndmask_b32_e64 v38, v39, v38, s2
	s_delay_alu instid0(VALU_DEP_1) | instskip(NEXT) | instid1(VALU_DEP_1)
	v_mov_b32_dpp v39, v38 row_xmask:15 row_mask:0xf bank_mask:0xf
	v_cmp_gt_f32_e64 s2, v38, v39
	s_and_saveexec_b32 s8, vcc_lo
	s_cbranch_execz .LBB197_7
; %bb.6:                                ;   in Loop: Header=BB197_4 Depth=1
	s_delay_alu instid0(VALU_DEP_1) | instskip(NEXT) | instid1(VALU_DEP_1)
	v_cndmask_b32_e64 v38, v39, v38, s2
	v_permlanex16_b32 v39, v38, s7, 0xfedcba98 op_sel:[1,1]
	s_delay_alu instid0(VALU_DEP_1) | instskip(NEXT) | instid1(VALU_DEP_1)
	v_cmp_gt_f32_e64 s2, v38, v39
	v_cndmask_b32_e64 v38, v39, v38, s2
	ds_store_b32 v20, v38
.LBB197_7:                              ;   in Loop: Header=BB197_4 Depth=1
	s_or_b32 exec_lo, exec_lo, s8
	s_waitcnt lgkmcnt(0)
	s_waitcnt_vscnt null, 0x0
	s_barrier
	buffer_gl0_inv
	ds_load_b32 v38, v21
	s_waitcnt lgkmcnt(0)
	v_mov_b32_dpp v39, v38 quad_perm:[1,0,3,2] row_mask:0xf bank_mask:0xf
	s_delay_alu instid0(VALU_DEP_1) | instskip(NEXT) | instid1(VALU_DEP_1)
	v_cmp_gt_f32_e64 s2, v38, v39
	v_cndmask_b32_e64 v38, v39, v38, s2
	s_delay_alu instid0(VALU_DEP_1) | instskip(NEXT) | instid1(VALU_DEP_1)
	v_mov_b32_dpp v39, v38 quad_perm:[2,3,0,1] row_mask:0xf bank_mask:0xf
	v_cmp_gt_f32_e64 s2, v38, v39
	s_delay_alu instid0(VALU_DEP_1) | instskip(NEXT) | instid1(VALU_DEP_1)
	v_cndmask_b32_e64 v38, v39, v38, s2
	v_mov_b32_dpp v39, v38 row_xmask:7 row_mask:0xf bank_mask:0xf
	s_delay_alu instid0(VALU_DEP_1) | instskip(NEXT) | instid1(VALU_DEP_1)
	v_cmp_gt_f32_e64 s2, v38, v39
	v_cndmask_b32_e64 v38, v39, v38, s2
	s_delay_alu instid0(VALU_DEP_1)
	v_mul_f32_e32 v38, 0x3c010204, v38
	s_and_saveexec_b32 s2, s0
	s_cbranch_execz .LBB197_9
; %bb.8:                                ;   in Loop: Header=BB197_4 Depth=1
	s_ashr_i32 s21, s20, 31
	s_delay_alu instid0(SALU_CYCLE_1) | instskip(NEXT) | instid1(SALU_CYCLE_1)
	s_lshl_b64 s[8:9], s[20:21], 2
	s_add_u32 s8, s14, s8
	s_addc_u32 s9, s15, s9
	global_store_b32 v0, v38, s[8:9]
.LBB197_9:                              ;   in Loop: Header=BB197_4 Depth=1
	s_or_b32 exec_lo, exec_lo, s2
	s_and_saveexec_b32 s2, s1
	s_cbranch_execz .LBB197_2
; %bb.10:                               ;   in Loop: Header=BB197_4 Depth=1
	v_rcp_f32_e32 v38, v38
	s_mul_i32 s8, s20, s6
	s_mul_hi_i32 s9, s20, s6
	s_add_u32 s16, s12, s8
	s_addc_u32 s8, s13, s9
	s_mov_b32 s19, s11
	s_and_b32 s17, s8, 0xffff
	s_waitcnt_depctr 0xfff
	v_mul_f32_e32 v29, v29, v38
	v_mul_f32_e32 v25, v25, v38
	;; [unrolled: 1-line block ×5, first 2 shown]
	v_cvt_i32_f32_e32 v29, v29
	v_cvt_i32_f32_e32 v25, v25
	v_mul_f32_e32 v36, v36, v38
	v_mul_f32_e32 v24, v24, v38
	v_cvt_i32_f32_e32 v27, v27
	v_lshlrev_b16 v29, 8, v29
	v_and_b32_e32 v25, 0xff, v25
	v_cvt_i32_f32_e32 v26, v26
	v_cvt_i32_f32_e32 v24, v24
	;; [unrolled: 1-line block ×3, first 2 shown]
	v_mul_f32_e32 v37, v37, v38
	v_or_b32_e32 v25, v25, v29
	v_mul_f32_e32 v32, v32, v38
	v_dual_mul_f32 v30, v30, v38 :: v_dual_and_b32 v27, 0xff, v27
	v_lshlrev_b16 v26, 8, v26
	v_and_b32_e32 v24, 0xff, v24
	v_lshlrev_b16 v28, 8, v28
	v_mul_f32_e32 v23, v23, v38
	v_dual_mul_f32 v22, v22, v38 :: v_dual_and_b32 v25, 0xffff, v25
	v_cvt_i32_f32_e32 v32, v32
	v_mul_f32_e32 v33, v33, v38
	v_or_b32_e32 v24, v24, v26
	v_or_b32_e32 v26, v27, v28
	v_cvt_i32_f32_e32 v23, v23
	v_and_b32_e32 v28, 0xff, v32
	v_cvt_i32_f32_e32 v33, v33
	v_cvt_i32_f32_e32 v22, v22
	v_dual_mul_f32 v31, v31, v38 :: v_dual_lshlrev_b32 v24, 16, v24
	v_lshlrev_b16 v23, 8, v23
	s_delay_alu instid0(VALU_DEP_4) | instskip(NEXT) | instid1(VALU_DEP_4)
	v_lshlrev_b16 v27, 8, v33
	v_and_b32_e32 v22, 0xff, v22
	v_cvt_i32_f32_e32 v36, v36
	v_mul_f32_e32 v35, v35, v38
	v_cvt_i32_f32_e32 v37, v37
	v_cvt_i32_f32_e32 v30, v30
	v_or_b32_e32 v22, v22, v23
	v_or_b32_e32 v23, v28, v27
	v_mul_f32_e32 v34, v34, v38
	v_cvt_i32_f32_e32 v31, v31
	v_lshlrev_b16 v33, 8, v37
	v_and_b32_e32 v30, 0xff, v30
	v_and_b32_e32 v23, 0xffff, v23
	v_cvt_i32_f32_e32 v34, v34
	v_lshlrev_b16 v31, 8, v31
	v_and_b32_e32 v26, 0xffff, v26
	v_lshlrev_b32_e32 v22, 16, v22
	v_or_b32_e32 v25, v25, v24
	v_and_b32_e32 v32, 0xff, v34
	v_and_b32_e32 v34, 0xff, v36
	v_cvt_i32_f32_e32 v35, v35
	v_or_b32_e32 v24, v26, v22
	s_delay_alu instid0(VALU_DEP_3) | instskip(NEXT) | instid1(VALU_DEP_3)
	v_or_b32_e32 v28, v34, v33
	v_lshlrev_b16 v29, 8, v35
	s_delay_alu instid0(VALU_DEP_2) | instskip(NEXT) | instid1(VALU_DEP_2)
	v_and_b32_e32 v28, 0xffff, v28
	v_or_b32_e32 v27, v32, v29
	v_or_b32_e32 v29, v30, v31
	s_delay_alu instid0(VALU_DEP_2) | instskip(NEXT) | instid1(VALU_DEP_2)
	v_lshlrev_b32_e32 v27, 16, v27
	v_lshlrev_b32_e32 v29, 16, v29
	s_delay_alu instid0(VALU_DEP_2) | instskip(NEXT) | instid1(VALU_DEP_2)
	v_or_b32_e32 v23, v23, v27
	v_or_b32_e32 v22, v28, v29
	buffer_store_b128 v[22:25], v18, s[16:19], 0 offen
	;;#ASMSTART
	s_nop 0
	;;#ASMEND
	s_branch .LBB197_2
.LBB197_11:
	s_nop 0
	s_sendmsg sendmsg(MSG_DEALLOC_VGPRS)
	s_endpgm
	.section	.rodata,"a",@progbits
	.p2align	6, 0x0
	.amdhsa_kernel _ZN5aiter43moe_smooth_per_token_scaled_quant_kernel_v1ItaLi256ELi16ELb1ELb0ELi1024EEEvPT0_PfPT_S3_PiS6_iiiii
		.amdhsa_group_segment_fixed_size 32
		.amdhsa_private_segment_fixed_size 0
		.amdhsa_kernarg_size 68
		.amdhsa_user_sgpr_count 15
		.amdhsa_user_sgpr_dispatch_ptr 0
		.amdhsa_user_sgpr_queue_ptr 0
		.amdhsa_user_sgpr_kernarg_segment_ptr 1
		.amdhsa_user_sgpr_dispatch_id 0
		.amdhsa_user_sgpr_private_segment_size 0
		.amdhsa_wavefront_size32 1
		.amdhsa_uses_dynamic_stack 0
		.amdhsa_enable_private_segment 0
		.amdhsa_system_sgpr_workgroup_id_x 1
		.amdhsa_system_sgpr_workgroup_id_y 0
		.amdhsa_system_sgpr_workgroup_id_z 0
		.amdhsa_system_sgpr_workgroup_info 0
		.amdhsa_system_vgpr_workitem_id 0
		.amdhsa_next_free_vgpr 46
		.amdhsa_next_free_sgpr 24
		.amdhsa_reserve_vcc 1
		.amdhsa_float_round_mode_32 0
		.amdhsa_float_round_mode_16_64 0
		.amdhsa_float_denorm_mode_32 3
		.amdhsa_float_denorm_mode_16_64 3
		.amdhsa_dx10_clamp 1
		.amdhsa_ieee_mode 1
		.amdhsa_fp16_overflow 0
		.amdhsa_workgroup_processor_mode 1
		.amdhsa_memory_ordered 1
		.amdhsa_forward_progress 0
		.amdhsa_shared_vgpr_count 0
		.amdhsa_exception_fp_ieee_invalid_op 0
		.amdhsa_exception_fp_denorm_src 0
		.amdhsa_exception_fp_ieee_div_zero 0
		.amdhsa_exception_fp_ieee_overflow 0
		.amdhsa_exception_fp_ieee_underflow 0
		.amdhsa_exception_fp_ieee_inexact 0
		.amdhsa_exception_int_div_zero 0
	.end_amdhsa_kernel
	.section	.text._ZN5aiter43moe_smooth_per_token_scaled_quant_kernel_v1ItaLi256ELi16ELb1ELb0ELi1024EEEvPT0_PfPT_S3_PiS6_iiiii,"axG",@progbits,_ZN5aiter43moe_smooth_per_token_scaled_quant_kernel_v1ItaLi256ELi16ELb1ELb0ELi1024EEEvPT0_PfPT_S3_PiS6_iiiii,comdat
.Lfunc_end197:
	.size	_ZN5aiter43moe_smooth_per_token_scaled_quant_kernel_v1ItaLi256ELi16ELb1ELb0ELi1024EEEvPT0_PfPT_S3_PiS6_iiiii, .Lfunc_end197-_ZN5aiter43moe_smooth_per_token_scaled_quant_kernel_v1ItaLi256ELi16ELb1ELb0ELi1024EEEvPT0_PfPT_S3_PiS6_iiiii
                                        ; -- End function
	.section	.AMDGPU.csdata,"",@progbits
; Kernel info:
; codeLenInByte = 1552
; NumSgprs: 26
; NumVgprs: 46
; ScratchSize: 0
; MemoryBound: 0
; FloatMode: 240
; IeeeMode: 1
; LDSByteSize: 32 bytes/workgroup (compile time only)
; SGPRBlocks: 3
; VGPRBlocks: 5
; NumSGPRsForWavesPerEU: 26
; NumVGPRsForWavesPerEU: 46
; Occupancy: 16
; WaveLimiterHint : 0
; COMPUTE_PGM_RSRC2:SCRATCH_EN: 0
; COMPUTE_PGM_RSRC2:USER_SGPR: 15
; COMPUTE_PGM_RSRC2:TRAP_HANDLER: 0
; COMPUTE_PGM_RSRC2:TGID_X_EN: 1
; COMPUTE_PGM_RSRC2:TGID_Y_EN: 0
; COMPUTE_PGM_RSRC2:TGID_Z_EN: 0
; COMPUTE_PGM_RSRC2:TIDIG_COMP_CNT: 0
	.section	.text._ZN5aiter43moe_smooth_per_token_scaled_quant_kernel_v1IDF16_aLi256ELi16ELb0ELb1ELi1024EEEvPT0_PfPT_S3_PiS6_iiiii,"axG",@progbits,_ZN5aiter43moe_smooth_per_token_scaled_quant_kernel_v1IDF16_aLi256ELi16ELb0ELb1ELi1024EEEvPT0_PfPT_S3_PiS6_iiiii,comdat
	.protected	_ZN5aiter43moe_smooth_per_token_scaled_quant_kernel_v1IDF16_aLi256ELi16ELb0ELb1ELi1024EEEvPT0_PfPT_S3_PiS6_iiiii ; -- Begin function _ZN5aiter43moe_smooth_per_token_scaled_quant_kernel_v1IDF16_aLi256ELi16ELb0ELb1ELi1024EEEvPT0_PfPT_S3_PiS6_iiiii
	.globl	_ZN5aiter43moe_smooth_per_token_scaled_quant_kernel_v1IDF16_aLi256ELi16ELb0ELb1ELi1024EEEvPT0_PfPT_S3_PiS6_iiiii
	.p2align	8
	.type	_ZN5aiter43moe_smooth_per_token_scaled_quant_kernel_v1IDF16_aLi256ELi16ELb0ELb1ELi1024EEEvPT0_PfPT_S3_PiS6_iiiii,@function
_ZN5aiter43moe_smooth_per_token_scaled_quant_kernel_v1IDF16_aLi256ELi16ELb0ELb1ELi1024EEEvPT0_PfPT_S3_PiS6_iiiii: ; @_ZN5aiter43moe_smooth_per_token_scaled_quant_kernel_v1IDF16_aLi256ELi16ELb0ELb1ELi1024EEEvPT0_PfPT_S3_PiS6_iiiii
; %bb.0:
	s_clause 0x2
	s_load_b128 s[4:7], s[0:1], 0x34
	s_load_b128 s[8:11], s[0:1], 0x20
	s_load_b64 s[2:3], s[0:1], 0x10
	v_and_b32_e32 v20, 31, v0
	v_lshlrev_b32_e32 v10, 2, v0
	s_mov_b32 s19, -1
	s_delay_alu instid0(VALU_DEP_2)
	v_lshlrev_b32_e32 v1, 2, v20
	s_waitcnt lgkmcnt(0)
	s_mul_i32 s20, s15, s4
	s_lshl_b32 s18, s7, 2
	s_ashr_i32 s21, s20, 31
	s_and_b32 s17, s11, 0xffff
	s_mov_b32 s16, s10
	s_lshl_b64 s[12:13], s[20:21], 2
	s_clause 0x3
	buffer_load_b32 v11, v10, s[16:19], 0 offen
	buffer_load_b32 v12, v10, s[16:19], 0 offen offset:1024
	buffer_load_b32 v13, v10, s[16:19], 0 offen offset:2048
	;; [unrolled: 1-line block ×3, first 2 shown]
	s_add_u32 s16, s8, s12
	s_addc_u32 s8, s9, s13
	s_lshl_b32 s18, s4, 2
	s_and_b32 s17, s8, 0xffff
	s_mul_hi_i32 s11, s6, s15
	s_mul_i32 s10, s6, s15
	buffer_load_b32 v9, v1, s[16:19], 0 offen
	s_lshl_b64 s[8:9], s[10:11], 1
	v_lshlrev_b32_e32 v1, 5, v0
	s_add_u32 s16, s2, s8
	s_addc_u32 s2, s3, s9
	s_lshl_b32 s18, s5, 1
	s_and_b32 s17, s2, 0xffff
	s_clause 0x1
	buffer_load_b128 v[5:8], v1, s[16:19], 0 offen
	buffer_load_b128 v[1:4], v1, s[16:19], 16 offen
	v_cmp_gt_i32_e32 vcc_lo, s4, v20
	s_waitcnt vmcnt(5)
	ds_store_2addr_stride64_b32 v10, v11, v12 offset1:4
	s_waitcnt vmcnt(3)
	ds_store_2addr_stride64_b32 v10, v13, v14 offset0:8 offset1:12
	s_waitcnt vmcnt(0) expcnt(2) lgkmcnt(0)
	s_barrier
	buffer_gl0_inv
	v_cmp_gt_i32_e64 s2, s7, v9
	v_cmp_lt_i32_e64 s3, -1, v9
	s_delay_alu instid0(VALU_DEP_2)
	s_and_b32 s2, vcc_lo, s2
	s_delay_alu instid0(VALU_DEP_1) | instid1(SALU_CYCLE_1)
	s_and_b32 s3, s2, s3
	s_delay_alu instid0(SALU_CYCLE_1)
	s_and_saveexec_b32 s2, s3
	s_cbranch_execz .LBB198_2
; %bb.1:
	v_lshlrev_b32_e32 v9, 2, v9
	ds_load_b32 v9, v9
.LBB198_2:
	s_or_b32 exec_lo, exec_lo, s2
	s_cmp_lt_i32 s4, 1
	s_cbranch_scc1 .LBB198_13
; %bb.3:
	s_clause 0x1
	s_load_b128 s[8:11], s[0:1], 0x0
	s_load_b64 s[6:7], s[0:1], 0x18
	s_add_i32 s1, s5, 15
	v_lshrrev_b32_e32 v10, 16, v5
	s_ashr_i32 s2, s1, 31
	v_lshrrev_b32_e32 v11, 16, v6
	s_lshr_b32 s2, s2, 28
	v_lshrrev_b32_e32 v12, 16, v7
	v_lshrrev_b32_e32 v13, 16, v8
	;; [unrolled: 1-line block ×7, first 2 shown]
	v_and_b32_e32 v22, 7, v0
	s_add_i32 s3, s5, 3
	s_add_i32 s1, s1, s2
	s_ashr_i32 s2, s3, 31
	s_movk_i32 s0, 0x7c
	s_ashr_i32 s1, s1, 4
	s_lshr_b32 s2, s2, 30
	v_cvt_f32_f16_e32 v5, v5
	v_cvt_f32_f16_e32 v10, v10
	;; [unrolled: 1-line block ×16, first 2 shown]
	v_lshlrev_b32_e32 v18, 4, v0
	v_lshlrev_b32_e32 v19, 6, v0
	v_cmp_eq_u32_e32 vcc_lo, 31, v20
	v_and_or_b32 v20, v21, s0, 0x1000
	v_lshl_or_b32 v21, v22, 2, 0x1000
	v_cmp_eq_u32_e64 s0, 0, v0
	v_cmp_gt_u32_e64 s1, s1, v0
	v_mov_b32_e32 v0, 0
	s_add_i32 s3, s3, s2
	s_mov_b32 s21, s5
	s_lshl_b32 s14, s5, 2
	s_mov_b32 s22, 0
	s_and_b32 s18, s3, -4
	s_mov_b32 s15, -1
	s_mov_b32 s5, 0x76543210
	s_branch .LBB198_6
.LBB198_4:                              ;   in Loop: Header=BB198_6 Depth=1
	s_or_b32 exec_lo, exec_lo, s3
.LBB198_5:                              ;   in Loop: Header=BB198_6 Depth=1
	s_add_i32 s22, s22, 1
	s_delay_alu instid0(SALU_CYCLE_1)
	s_cmp_eq_u32 s4, s22
	s_cbranch_scc1 .LBB198_13
.LBB198_6:                              ; =>This Inner Loop Header: Depth=1
	s_waitcnt lgkmcnt(0)
	v_readlane_b32 s2, v9, s22
	s_delay_alu instid0(VALU_DEP_1)
	s_cmp_lt_i32 s2, 0
	s_cbranch_scc1 .LBB198_5
; %bb.7:                                ;   in Loop: Header=BB198_6 Depth=1
	s_mul_i32 s2, s2, s21
	s_delay_alu instid0(SALU_CYCLE_1) | instskip(NEXT) | instid1(SALU_CYCLE_1)
	s_ashr_i32 s3, s2, 31
	s_lshl_b64 s[2:3], s[2:3], 2
	s_delay_alu instid0(SALU_CYCLE_1) | instskip(SKIP_1) | instid1(SALU_CYCLE_1)
	s_add_u32 s12, s6, s2
	s_addc_u32 s2, s7, s3
	s_and_b32 s13, s2, 0xffff
	s_clause 0x3
	buffer_load_b128 v[22:25], v19, s[12:15], 0 offen
	buffer_load_b128 v[26:29], v19, s[12:15], 16 offen
	;; [unrolled: 1-line block ×4, first 2 shown]
	s_waitcnt vmcnt(3)
	v_dual_mul_f32 v36, v22, v5 :: v_dual_mul_f32 v37, v23, v10
	v_dual_mul_f32 v30, v24, v6 :: v_dual_mul_f32 v31, v25, v11
	s_waitcnt vmcnt(2)
	v_dual_mul_f32 v32, v26, v7 :: v_dual_mul_f32 v33, v27, v12
	s_delay_alu instid0(VALU_DEP_3) | instskip(SKIP_3) | instid1(VALU_DEP_3)
	v_max3_f32 v22, |v36|, 0x2edbe6ff, |v37|
	v_dual_mul_f32 v34, v28, v8 :: v_dual_mul_f32 v35, v29, v13
	s_waitcnt vmcnt(1)
	v_dual_mul_f32 v27, v38, v1 :: v_dual_mul_f32 v28, v39, v14
	v_max3_f32 v22, v22, |v30|, |v31|
	s_waitcnt vmcnt(0)
	v_mul_f32_e32 v25, v42, v3
	v_dual_mul_f32 v29, v43, v16 :: v_dual_mul_f32 v26, v45, v17
	v_mul_f32_e32 v23, v41, v15
	v_max3_f32 v22, v22, |v32|, |v33|
	s_delay_alu instid0(VALU_DEP_1) | instskip(SKIP_1) | instid1(VALU_DEP_2)
	v_max3_f32 v24, v22, |v34|, |v35|
	v_mul_f32_e32 v22, v40, v2
	v_max3_f32 v24, v24, |v27|, |v28|
	s_delay_alu instid0(VALU_DEP_1) | instskip(SKIP_1) | instid1(VALU_DEP_2)
	v_max3_f32 v38, v24, |v22|, |v23|
	v_mul_f32_e32 v24, v44, v4
	v_max3_f32 v38, v38, |v25|, |v29|
	s_delay_alu instid0(VALU_DEP_1) | instskip(NEXT) | instid1(VALU_DEP_1)
	v_max3_f32 v38, v38, |v24|, |v26|
	v_mov_b32_dpp v39, v38 quad_perm:[1,0,3,2] row_mask:0xf bank_mask:0xf
	s_delay_alu instid0(VALU_DEP_1) | instskip(NEXT) | instid1(VALU_DEP_1)
	v_cmp_gt_f32_e64 s2, v38, v39
	v_cndmask_b32_e64 v38, v39, v38, s2
	s_delay_alu instid0(VALU_DEP_1) | instskip(NEXT) | instid1(VALU_DEP_1)
	v_mov_b32_dpp v39, v38 quad_perm:[2,3,0,1] row_mask:0xf bank_mask:0xf
	v_cmp_gt_f32_e64 s2, v38, v39
	s_delay_alu instid0(VALU_DEP_1) | instskip(NEXT) | instid1(VALU_DEP_1)
	v_cndmask_b32_e64 v38, v39, v38, s2
	v_mov_b32_dpp v39, v38 row_xmask:7 row_mask:0xf bank_mask:0xf
	s_delay_alu instid0(VALU_DEP_1) | instskip(NEXT) | instid1(VALU_DEP_1)
	v_cmp_gt_f32_e64 s2, v38, v39
	v_cndmask_b32_e64 v38, v39, v38, s2
	s_delay_alu instid0(VALU_DEP_1) | instskip(NEXT) | instid1(VALU_DEP_1)
	v_mov_b32_dpp v39, v38 row_xmask:15 row_mask:0xf bank_mask:0xf
	v_cmp_gt_f32_e64 s2, v38, v39
	s_and_saveexec_b32 s3, vcc_lo
	s_cbranch_execz .LBB198_9
; %bb.8:                                ;   in Loop: Header=BB198_6 Depth=1
	s_delay_alu instid0(VALU_DEP_1) | instskip(NEXT) | instid1(VALU_DEP_1)
	v_cndmask_b32_e64 v38, v39, v38, s2
	v_permlanex16_b32 v39, v38, s5, 0xfedcba98 op_sel:[1,1]
	s_delay_alu instid0(VALU_DEP_1) | instskip(NEXT) | instid1(VALU_DEP_1)
	v_cmp_gt_f32_e64 s2, v38, v39
	v_cndmask_b32_e64 v38, v39, v38, s2
	ds_store_b32 v20, v38
.LBB198_9:                              ;   in Loop: Header=BB198_6 Depth=1
	s_or_b32 exec_lo, exec_lo, s3
	s_waitcnt lgkmcnt(0)
	s_waitcnt_vscnt null, 0x0
	s_barrier
	buffer_gl0_inv
	ds_load_b32 v38, v21
	s_waitcnt lgkmcnt(0)
	v_mov_b32_dpp v39, v38 quad_perm:[1,0,3,2] row_mask:0xf bank_mask:0xf
	s_delay_alu instid0(VALU_DEP_1) | instskip(NEXT) | instid1(VALU_DEP_1)
	v_cmp_gt_f32_e64 s2, v38, v39
	v_cndmask_b32_e64 v38, v39, v38, s2
	s_delay_alu instid0(VALU_DEP_1) | instskip(NEXT) | instid1(VALU_DEP_1)
	v_mov_b32_dpp v39, v38 quad_perm:[2,3,0,1] row_mask:0xf bank_mask:0xf
	v_cmp_gt_f32_e64 s2, v38, v39
	s_delay_alu instid0(VALU_DEP_1) | instskip(NEXT) | instid1(VALU_DEP_1)
	v_cndmask_b32_e64 v38, v39, v38, s2
	v_mov_b32_dpp v39, v38 row_xmask:7 row_mask:0xf bank_mask:0xf
	s_delay_alu instid0(VALU_DEP_1) | instskip(NEXT) | instid1(VALU_DEP_1)
	v_cmp_gt_f32_e64 s2, v38, v39
	v_cndmask_b32_e64 v38, v39, v38, s2
	s_add_i32 s2, s20, s22
	s_delay_alu instid0(VALU_DEP_1)
	v_mul_f32_e32 v38, 0x3c010204, v38
	s_and_saveexec_b32 s12, s0
	s_cbranch_execz .LBB198_11
; %bb.10:                               ;   in Loop: Header=BB198_6 Depth=1
	s_ashr_i32 s3, s2, 31
	s_delay_alu instid0(SALU_CYCLE_1) | instskip(NEXT) | instid1(SALU_CYCLE_1)
	s_lshl_b64 s[16:17], s[2:3], 2
	s_add_u32 s16, s10, s16
	s_addc_u32 s17, s11, s17
	global_store_b32 v0, v38, s[16:17]
.LBB198_11:                             ;   in Loop: Header=BB198_6 Depth=1
	s_or_b32 exec_lo, exec_lo, s12
	s_and_saveexec_b32 s3, s1
	s_cbranch_execz .LBB198_4
; %bb.12:                               ;   in Loop: Header=BB198_6 Depth=1
	v_rcp_f32_e32 v38, v38
	s_mul_i32 s12, s2, s21
	s_mul_hi_i32 s2, s2, s21
	s_add_u32 s16, s8, s12
	s_addc_u32 s2, s9, s2
	s_mov_b32 s19, s15
	s_and_b32 s17, s2, 0xffff
	s_waitcnt_depctr 0xfff
	v_mul_f32_e32 v29, v29, v38
	v_mul_f32_e32 v25, v25, v38
	;; [unrolled: 1-line block ×5, first 2 shown]
	v_cvt_i32_f32_e32 v29, v29
	v_cvt_i32_f32_e32 v25, v25
	v_mul_f32_e32 v36, v36, v38
	v_mul_f32_e32 v24, v24, v38
	v_cvt_i32_f32_e32 v27, v27
	v_lshlrev_b16 v29, 8, v29
	v_and_b32_e32 v25, 0xff, v25
	v_cvt_i32_f32_e32 v26, v26
	v_cvt_i32_f32_e32 v24, v24
	;; [unrolled: 1-line block ×3, first 2 shown]
	v_mul_f32_e32 v37, v37, v38
	v_or_b32_e32 v25, v25, v29
	v_mul_f32_e32 v32, v32, v38
	v_dual_mul_f32 v30, v30, v38 :: v_dual_and_b32 v27, 0xff, v27
	v_lshlrev_b16 v26, 8, v26
	v_and_b32_e32 v24, 0xff, v24
	v_lshlrev_b16 v28, 8, v28
	v_mul_f32_e32 v23, v23, v38
	v_dual_mul_f32 v22, v22, v38 :: v_dual_and_b32 v25, 0xffff, v25
	v_cvt_i32_f32_e32 v32, v32
	v_mul_f32_e32 v33, v33, v38
	v_or_b32_e32 v24, v24, v26
	v_or_b32_e32 v26, v27, v28
	v_cvt_i32_f32_e32 v23, v23
	v_and_b32_e32 v28, 0xff, v32
	v_cvt_i32_f32_e32 v33, v33
	v_cvt_i32_f32_e32 v22, v22
	v_dual_mul_f32 v31, v31, v38 :: v_dual_lshlrev_b32 v24, 16, v24
	v_lshlrev_b16 v23, 8, v23
	s_delay_alu instid0(VALU_DEP_4) | instskip(NEXT) | instid1(VALU_DEP_4)
	v_lshlrev_b16 v27, 8, v33
	v_and_b32_e32 v22, 0xff, v22
	v_cvt_i32_f32_e32 v36, v36
	v_mul_f32_e32 v35, v35, v38
	v_cvt_i32_f32_e32 v37, v37
	v_cvt_i32_f32_e32 v30, v30
	v_or_b32_e32 v22, v22, v23
	v_or_b32_e32 v23, v28, v27
	v_mul_f32_e32 v34, v34, v38
	v_cvt_i32_f32_e32 v31, v31
	v_lshlrev_b16 v33, 8, v37
	v_and_b32_e32 v30, 0xff, v30
	v_and_b32_e32 v23, 0xffff, v23
	v_cvt_i32_f32_e32 v34, v34
	v_lshlrev_b16 v31, 8, v31
	v_and_b32_e32 v26, 0xffff, v26
	v_lshlrev_b32_e32 v22, 16, v22
	v_or_b32_e32 v25, v25, v24
	v_and_b32_e32 v32, 0xff, v34
	v_and_b32_e32 v34, 0xff, v36
	v_cvt_i32_f32_e32 v35, v35
	v_or_b32_e32 v24, v26, v22
	s_delay_alu instid0(VALU_DEP_3) | instskip(NEXT) | instid1(VALU_DEP_3)
	v_or_b32_e32 v28, v34, v33
	v_lshlrev_b16 v29, 8, v35
	s_delay_alu instid0(VALU_DEP_2) | instskip(NEXT) | instid1(VALU_DEP_2)
	v_and_b32_e32 v28, 0xffff, v28
	v_or_b32_e32 v27, v32, v29
	v_or_b32_e32 v29, v30, v31
	s_delay_alu instid0(VALU_DEP_2) | instskip(NEXT) | instid1(VALU_DEP_2)
	v_lshlrev_b32_e32 v27, 16, v27
	v_lshlrev_b32_e32 v29, 16, v29
	s_delay_alu instid0(VALU_DEP_2) | instskip(NEXT) | instid1(VALU_DEP_2)
	v_or_b32_e32 v23, v23, v27
	v_or_b32_e32 v22, v28, v29
	buffer_store_b128 v[22:25], v18, s[16:19], 0 offen
	;;#ASMSTART
	s_nop 0
	;;#ASMEND
	s_branch .LBB198_4
.LBB198_13:
	s_nop 0
	s_sendmsg sendmsg(MSG_DEALLOC_VGPRS)
	s_endpgm
	.section	.rodata,"a",@progbits
	.p2align	6, 0x0
	.amdhsa_kernel _ZN5aiter43moe_smooth_per_token_scaled_quant_kernel_v1IDF16_aLi256ELi16ELb0ELb1ELi1024EEEvPT0_PfPT_S3_PiS6_iiiii
		.amdhsa_group_segment_fixed_size 4128
		.amdhsa_private_segment_fixed_size 0
		.amdhsa_kernarg_size 68
		.amdhsa_user_sgpr_count 15
		.amdhsa_user_sgpr_dispatch_ptr 0
		.amdhsa_user_sgpr_queue_ptr 0
		.amdhsa_user_sgpr_kernarg_segment_ptr 1
		.amdhsa_user_sgpr_dispatch_id 0
		.amdhsa_user_sgpr_private_segment_size 0
		.amdhsa_wavefront_size32 1
		.amdhsa_uses_dynamic_stack 0
		.amdhsa_enable_private_segment 0
		.amdhsa_system_sgpr_workgroup_id_x 1
		.amdhsa_system_sgpr_workgroup_id_y 0
		.amdhsa_system_sgpr_workgroup_id_z 0
		.amdhsa_system_sgpr_workgroup_info 0
		.amdhsa_system_vgpr_workitem_id 0
		.amdhsa_next_free_vgpr 46
		.amdhsa_next_free_sgpr 23
		.amdhsa_reserve_vcc 1
		.amdhsa_float_round_mode_32 0
		.amdhsa_float_round_mode_16_64 0
		.amdhsa_float_denorm_mode_32 3
		.amdhsa_float_denorm_mode_16_64 3
		.amdhsa_dx10_clamp 1
		.amdhsa_ieee_mode 1
		.amdhsa_fp16_overflow 0
		.amdhsa_workgroup_processor_mode 1
		.amdhsa_memory_ordered 1
		.amdhsa_forward_progress 0
		.amdhsa_shared_vgpr_count 0
		.amdhsa_exception_fp_ieee_invalid_op 0
		.amdhsa_exception_fp_denorm_src 0
		.amdhsa_exception_fp_ieee_div_zero 0
		.amdhsa_exception_fp_ieee_overflow 0
		.amdhsa_exception_fp_ieee_underflow 0
		.amdhsa_exception_fp_ieee_inexact 0
		.amdhsa_exception_int_div_zero 0
	.end_amdhsa_kernel
	.section	.text._ZN5aiter43moe_smooth_per_token_scaled_quant_kernel_v1IDF16_aLi256ELi16ELb0ELb1ELi1024EEEvPT0_PfPT_S3_PiS6_iiiii,"axG",@progbits,_ZN5aiter43moe_smooth_per_token_scaled_quant_kernel_v1IDF16_aLi256ELi16ELb0ELb1ELi1024EEEvPT0_PfPT_S3_PiS6_iiiii,comdat
.Lfunc_end198:
	.size	_ZN5aiter43moe_smooth_per_token_scaled_quant_kernel_v1IDF16_aLi256ELi16ELb0ELb1ELi1024EEEvPT0_PfPT_S3_PiS6_iiiii, .Lfunc_end198-_ZN5aiter43moe_smooth_per_token_scaled_quant_kernel_v1IDF16_aLi256ELi16ELb0ELb1ELi1024EEEvPT0_PfPT_S3_PiS6_iiiii
                                        ; -- End function
	.section	.AMDGPU.csdata,"",@progbits
; Kernel info:
; codeLenInByte = 1652
; NumSgprs: 25
; NumVgprs: 46
; ScratchSize: 0
; MemoryBound: 0
; FloatMode: 240
; IeeeMode: 1
; LDSByteSize: 4128 bytes/workgroup (compile time only)
; SGPRBlocks: 3
; VGPRBlocks: 5
; NumSGPRsForWavesPerEU: 25
; NumVGPRsForWavesPerEU: 46
; Occupancy: 16
; WaveLimiterHint : 0
; COMPUTE_PGM_RSRC2:SCRATCH_EN: 0
; COMPUTE_PGM_RSRC2:USER_SGPR: 15
; COMPUTE_PGM_RSRC2:TRAP_HANDLER: 0
; COMPUTE_PGM_RSRC2:TGID_X_EN: 1
; COMPUTE_PGM_RSRC2:TGID_Y_EN: 0
; COMPUTE_PGM_RSRC2:TGID_Z_EN: 0
; COMPUTE_PGM_RSRC2:TIDIG_COMP_CNT: 0
	.section	.text._ZN5aiter43moe_smooth_per_token_scaled_quant_kernel_v1ItaLi256ELi16ELb0ELb1ELi1024EEEvPT0_PfPT_S3_PiS6_iiiii,"axG",@progbits,_ZN5aiter43moe_smooth_per_token_scaled_quant_kernel_v1ItaLi256ELi16ELb0ELb1ELi1024EEEvPT0_PfPT_S3_PiS6_iiiii,comdat
	.protected	_ZN5aiter43moe_smooth_per_token_scaled_quant_kernel_v1ItaLi256ELi16ELb0ELb1ELi1024EEEvPT0_PfPT_S3_PiS6_iiiii ; -- Begin function _ZN5aiter43moe_smooth_per_token_scaled_quant_kernel_v1ItaLi256ELi16ELb0ELb1ELi1024EEEvPT0_PfPT_S3_PiS6_iiiii
	.globl	_ZN5aiter43moe_smooth_per_token_scaled_quant_kernel_v1ItaLi256ELi16ELb0ELb1ELi1024EEEvPT0_PfPT_S3_PiS6_iiiii
	.p2align	8
	.type	_ZN5aiter43moe_smooth_per_token_scaled_quant_kernel_v1ItaLi256ELi16ELb0ELb1ELi1024EEEvPT0_PfPT_S3_PiS6_iiiii,@function
_ZN5aiter43moe_smooth_per_token_scaled_quant_kernel_v1ItaLi256ELi16ELb0ELb1ELi1024EEEvPT0_PfPT_S3_PiS6_iiiii: ; @_ZN5aiter43moe_smooth_per_token_scaled_quant_kernel_v1ItaLi256ELi16ELb0ELb1ELi1024EEEvPT0_PfPT_S3_PiS6_iiiii
; %bb.0:
	s_clause 0x2
	s_load_b128 s[4:7], s[0:1], 0x34
	s_load_b128 s[8:11], s[0:1], 0x20
	s_load_b64 s[2:3], s[0:1], 0x10
	v_and_b32_e32 v20, 31, v0
	v_lshlrev_b32_e32 v10, 2, v0
	s_mov_b32 s19, -1
	s_delay_alu instid0(VALU_DEP_2)
	v_lshlrev_b32_e32 v1, 2, v20
	s_waitcnt lgkmcnt(0)
	s_mul_i32 s20, s15, s4
	s_lshl_b32 s18, s7, 2
	s_ashr_i32 s21, s20, 31
	s_and_b32 s17, s11, 0xffff
	s_mov_b32 s16, s10
	s_lshl_b64 s[12:13], s[20:21], 2
	s_clause 0x3
	buffer_load_b32 v11, v10, s[16:19], 0 offen
	buffer_load_b32 v12, v10, s[16:19], 0 offen offset:1024
	buffer_load_b32 v13, v10, s[16:19], 0 offen offset:2048
	;; [unrolled: 1-line block ×3, first 2 shown]
	s_add_u32 s16, s8, s12
	s_addc_u32 s8, s9, s13
	s_lshl_b32 s18, s4, 2
	s_and_b32 s17, s8, 0xffff
	s_mul_hi_i32 s11, s6, s15
	s_mul_i32 s10, s6, s15
	buffer_load_b32 v9, v1, s[16:19], 0 offen
	s_lshl_b64 s[8:9], s[10:11], 1
	v_lshlrev_b32_e32 v1, 5, v0
	s_add_u32 s16, s2, s8
	s_addc_u32 s2, s3, s9
	s_lshl_b32 s18, s5, 1
	s_and_b32 s17, s2, 0xffff
	s_clause 0x1
	buffer_load_b128 v[5:8], v1, s[16:19], 0 offen
	buffer_load_b128 v[1:4], v1, s[16:19], 16 offen
	v_cmp_gt_i32_e32 vcc_lo, s4, v20
	s_waitcnt vmcnt(5)
	ds_store_2addr_stride64_b32 v10, v11, v12 offset1:4
	s_waitcnt vmcnt(3)
	ds_store_2addr_stride64_b32 v10, v13, v14 offset0:8 offset1:12
	s_waitcnt vmcnt(0) expcnt(2) lgkmcnt(0)
	s_barrier
	buffer_gl0_inv
	v_cmp_gt_i32_e64 s2, s7, v9
	v_cmp_lt_i32_e64 s3, -1, v9
	s_delay_alu instid0(VALU_DEP_2)
	s_and_b32 s2, vcc_lo, s2
	s_delay_alu instid0(VALU_DEP_1) | instid1(SALU_CYCLE_1)
	s_and_b32 s3, s2, s3
	s_delay_alu instid0(SALU_CYCLE_1)
	s_and_saveexec_b32 s2, s3
	s_cbranch_execz .LBB199_2
; %bb.1:
	v_lshlrev_b32_e32 v9, 2, v9
	ds_load_b32 v9, v9
.LBB199_2:
	s_or_b32 exec_lo, exec_lo, s2
	s_cmp_lt_i32 s4, 1
	s_cbranch_scc1 .LBB199_13
; %bb.3:
	v_and_b32_e32 v10, 0xffff, v5
	s_clause 0x1
	s_load_b128 s[8:11], s[0:1], 0x0
	s_load_b64 s[6:7], s[0:1], 0x18
	v_lshrrev_b32_e32 v11, 16, v5
	v_and_b32_e32 v12, 0xffff, v6
	v_and_b32_e32 v13, 0xffff, v7
	v_lshrrev_b32_e32 v14, 16, v7
	v_cvt_f32_u32_e32 v5, v10
	v_lshrrev_b32_e32 v10, 16, v6
	v_cvt_f32_u32_e32 v6, v11
	v_cvt_f32_u32_e32 v7, v12
	;; [unrolled: 1-line block ×4, first 2 shown]
	v_and_b32_e32 v13, 0xffff, v8
	v_and_b32_e32 v14, 0xffff, v1
	v_lshrrev_b32_e32 v15, 16, v1
	v_and_b32_e32 v16, 0xffff, v2
	s_add_i32 s1, s5, 15
	v_lshrrev_b32_e32 v8, 16, v8
	s_ashr_i32 s2, s1, 31
	v_cvt_f32_u32_e32 v1, v13
	s_lshr_b32 s2, s2, 28
	v_cvt_f32_u32_e32 v13, v14
	v_cvt_f32_u32_e32 v14, v15
	v_cvt_f32_u32_e32 v15, v16
	v_lshrrev_b32_e32 v2, 16, v2
	v_and_b32_e32 v16, 0xffff, v3
	v_lshrrev_b32_e32 v17, 16, v3
	v_and_b32_e32 v18, 0xffff, v4
	v_lshrrev_b32_e32 v19, 16, v4
	v_lshrrev_b32_e32 v21, 3, v0
	v_and_b32_e32 v22, 7, v0
	s_add_i32 s3, s5, 3
	s_add_i32 s1, s1, s2
	s_ashr_i32 s2, s3, 31
	s_movk_i32 s0, 0x7c
	s_ashr_i32 s1, s1, 4
	s_lshr_b32 s2, s2, 30
	v_cvt_f32_u32_e32 v10, v10
	v_cvt_f32_u32_e32 v8, v8
	v_cvt_f32_u32_e32 v2, v2
	v_cvt_f32_u32_e32 v3, v16
	v_cvt_f32_u32_e32 v4, v17
	v_cvt_f32_u32_e32 v16, v18
	v_cvt_f32_u32_e32 v17, v19
	v_lshlrev_b32_e32 v18, 4, v0
	v_lshlrev_b32_e32 v19, 6, v0
	v_cmp_eq_u32_e32 vcc_lo, 31, v20
	v_and_or_b32 v20, v21, s0, 0x1000
	v_lshl_or_b32 v21, v22, 2, 0x1000
	v_cmp_eq_u32_e64 s0, 0, v0
	v_cmp_gt_u32_e64 s1, s1, v0
	v_mov_b32_e32 v0, 0
	s_add_i32 s3, s3, s2
	s_mov_b32 s21, s5
	s_lshl_b32 s14, s5, 2
	s_mov_b32 s22, 0
	s_and_b32 s18, s3, -4
	s_mov_b32 s15, -1
	s_mov_b32 s5, 0x76543210
	s_branch .LBB199_6
.LBB199_4:                              ;   in Loop: Header=BB199_6 Depth=1
	s_or_b32 exec_lo, exec_lo, s3
.LBB199_5:                              ;   in Loop: Header=BB199_6 Depth=1
	s_add_i32 s22, s22, 1
	s_delay_alu instid0(SALU_CYCLE_1)
	s_cmp_eq_u32 s4, s22
	s_cbranch_scc1 .LBB199_13
.LBB199_6:                              ; =>This Inner Loop Header: Depth=1
	s_waitcnt lgkmcnt(0)
	v_readlane_b32 s2, v9, s22
	s_delay_alu instid0(VALU_DEP_1)
	s_cmp_lt_i32 s2, 0
	s_cbranch_scc1 .LBB199_5
; %bb.7:                                ;   in Loop: Header=BB199_6 Depth=1
	s_mul_i32 s2, s2, s21
	s_delay_alu instid0(SALU_CYCLE_1) | instskip(NEXT) | instid1(SALU_CYCLE_1)
	s_ashr_i32 s3, s2, 31
	s_lshl_b64 s[2:3], s[2:3], 2
	s_delay_alu instid0(SALU_CYCLE_1) | instskip(SKIP_1) | instid1(SALU_CYCLE_1)
	s_add_u32 s12, s6, s2
	s_addc_u32 s2, s7, s3
	s_and_b32 s13, s2, 0xffff
	s_clause 0x3
	buffer_load_b128 v[22:25], v19, s[12:15], 0 offen
	buffer_load_b128 v[26:29], v19, s[12:15], 16 offen
	;; [unrolled: 1-line block ×4, first 2 shown]
	s_waitcnt vmcnt(3)
	v_dual_mul_f32 v36, v22, v5 :: v_dual_mul_f32 v37, v23, v6
	v_dual_mul_f32 v30, v24, v7 :: v_dual_mul_f32 v31, v25, v10
	s_waitcnt vmcnt(2)
	v_dual_mul_f32 v32, v26, v11 :: v_dual_mul_f32 v33, v27, v12
	s_delay_alu instid0(VALU_DEP_3) | instskip(SKIP_3) | instid1(VALU_DEP_3)
	v_max3_f32 v22, |v36|, 0x2edbe6ff, |v37|
	v_dual_mul_f32 v34, v28, v1 :: v_dual_mul_f32 v35, v29, v8
	s_waitcnt vmcnt(1)
	v_dual_mul_f32 v27, v38, v13 :: v_dual_mul_f32 v28, v39, v14
	v_max3_f32 v22, v22, |v30|, |v31|
	s_waitcnt vmcnt(0)
	v_mul_f32_e32 v25, v42, v3
	v_dual_mul_f32 v29, v43, v4 :: v_dual_mul_f32 v26, v45, v17
	v_mul_f32_e32 v23, v41, v2
	v_max3_f32 v22, v22, |v32|, |v33|
	s_delay_alu instid0(VALU_DEP_1) | instskip(SKIP_1) | instid1(VALU_DEP_2)
	v_max3_f32 v24, v22, |v34|, |v35|
	v_mul_f32_e32 v22, v40, v15
	v_max3_f32 v24, v24, |v27|, |v28|
	s_delay_alu instid0(VALU_DEP_1) | instskip(SKIP_1) | instid1(VALU_DEP_2)
	v_max3_f32 v38, v24, |v22|, |v23|
	v_mul_f32_e32 v24, v44, v16
	v_max3_f32 v38, v38, |v25|, |v29|
	s_delay_alu instid0(VALU_DEP_1) | instskip(NEXT) | instid1(VALU_DEP_1)
	v_max3_f32 v38, v38, |v24|, |v26|
	v_mov_b32_dpp v39, v38 quad_perm:[1,0,3,2] row_mask:0xf bank_mask:0xf
	s_delay_alu instid0(VALU_DEP_1) | instskip(NEXT) | instid1(VALU_DEP_1)
	v_cmp_gt_f32_e64 s2, v38, v39
	v_cndmask_b32_e64 v38, v39, v38, s2
	s_delay_alu instid0(VALU_DEP_1) | instskip(NEXT) | instid1(VALU_DEP_1)
	v_mov_b32_dpp v39, v38 quad_perm:[2,3,0,1] row_mask:0xf bank_mask:0xf
	v_cmp_gt_f32_e64 s2, v38, v39
	s_delay_alu instid0(VALU_DEP_1) | instskip(NEXT) | instid1(VALU_DEP_1)
	v_cndmask_b32_e64 v38, v39, v38, s2
	v_mov_b32_dpp v39, v38 row_xmask:7 row_mask:0xf bank_mask:0xf
	s_delay_alu instid0(VALU_DEP_1) | instskip(NEXT) | instid1(VALU_DEP_1)
	v_cmp_gt_f32_e64 s2, v38, v39
	v_cndmask_b32_e64 v38, v39, v38, s2
	s_delay_alu instid0(VALU_DEP_1) | instskip(NEXT) | instid1(VALU_DEP_1)
	v_mov_b32_dpp v39, v38 row_xmask:15 row_mask:0xf bank_mask:0xf
	v_cmp_gt_f32_e64 s2, v38, v39
	s_and_saveexec_b32 s3, vcc_lo
	s_cbranch_execz .LBB199_9
; %bb.8:                                ;   in Loop: Header=BB199_6 Depth=1
	s_delay_alu instid0(VALU_DEP_1) | instskip(NEXT) | instid1(VALU_DEP_1)
	v_cndmask_b32_e64 v38, v39, v38, s2
	v_permlanex16_b32 v39, v38, s5, 0xfedcba98 op_sel:[1,1]
	s_delay_alu instid0(VALU_DEP_1) | instskip(NEXT) | instid1(VALU_DEP_1)
	v_cmp_gt_f32_e64 s2, v38, v39
	v_cndmask_b32_e64 v38, v39, v38, s2
	ds_store_b32 v20, v38
.LBB199_9:                              ;   in Loop: Header=BB199_6 Depth=1
	s_or_b32 exec_lo, exec_lo, s3
	s_waitcnt lgkmcnt(0)
	s_waitcnt_vscnt null, 0x0
	s_barrier
	buffer_gl0_inv
	ds_load_b32 v38, v21
	s_waitcnt lgkmcnt(0)
	v_mov_b32_dpp v39, v38 quad_perm:[1,0,3,2] row_mask:0xf bank_mask:0xf
	s_delay_alu instid0(VALU_DEP_1) | instskip(NEXT) | instid1(VALU_DEP_1)
	v_cmp_gt_f32_e64 s2, v38, v39
	v_cndmask_b32_e64 v38, v39, v38, s2
	s_delay_alu instid0(VALU_DEP_1) | instskip(NEXT) | instid1(VALU_DEP_1)
	v_mov_b32_dpp v39, v38 quad_perm:[2,3,0,1] row_mask:0xf bank_mask:0xf
	v_cmp_gt_f32_e64 s2, v38, v39
	s_delay_alu instid0(VALU_DEP_1) | instskip(NEXT) | instid1(VALU_DEP_1)
	v_cndmask_b32_e64 v38, v39, v38, s2
	v_mov_b32_dpp v39, v38 row_xmask:7 row_mask:0xf bank_mask:0xf
	s_delay_alu instid0(VALU_DEP_1) | instskip(NEXT) | instid1(VALU_DEP_1)
	v_cmp_gt_f32_e64 s2, v38, v39
	v_cndmask_b32_e64 v38, v39, v38, s2
	s_add_i32 s2, s20, s22
	s_delay_alu instid0(VALU_DEP_1)
	v_mul_f32_e32 v38, 0x3c010204, v38
	s_and_saveexec_b32 s12, s0
	s_cbranch_execz .LBB199_11
; %bb.10:                               ;   in Loop: Header=BB199_6 Depth=1
	s_ashr_i32 s3, s2, 31
	s_delay_alu instid0(SALU_CYCLE_1) | instskip(NEXT) | instid1(SALU_CYCLE_1)
	s_lshl_b64 s[16:17], s[2:3], 2
	s_add_u32 s16, s10, s16
	s_addc_u32 s17, s11, s17
	global_store_b32 v0, v38, s[16:17]
.LBB199_11:                             ;   in Loop: Header=BB199_6 Depth=1
	s_or_b32 exec_lo, exec_lo, s12
	s_and_saveexec_b32 s3, s1
	s_cbranch_execz .LBB199_4
; %bb.12:                               ;   in Loop: Header=BB199_6 Depth=1
	v_rcp_f32_e32 v38, v38
	s_mul_i32 s12, s2, s21
	s_mul_hi_i32 s2, s2, s21
	s_add_u32 s16, s8, s12
	s_addc_u32 s2, s9, s2
	s_mov_b32 s19, s15
	s_and_b32 s17, s2, 0xffff
	s_waitcnt_depctr 0xfff
	v_mul_f32_e32 v29, v29, v38
	v_mul_f32_e32 v25, v25, v38
	;; [unrolled: 1-line block ×5, first 2 shown]
	v_cvt_i32_f32_e32 v29, v29
	v_cvt_i32_f32_e32 v25, v25
	v_mul_f32_e32 v36, v36, v38
	v_mul_f32_e32 v24, v24, v38
	v_cvt_i32_f32_e32 v27, v27
	v_lshlrev_b16 v29, 8, v29
	v_and_b32_e32 v25, 0xff, v25
	v_cvt_i32_f32_e32 v26, v26
	v_cvt_i32_f32_e32 v24, v24
	;; [unrolled: 1-line block ×3, first 2 shown]
	v_mul_f32_e32 v37, v37, v38
	v_or_b32_e32 v25, v25, v29
	v_mul_f32_e32 v32, v32, v38
	v_dual_mul_f32 v30, v30, v38 :: v_dual_and_b32 v27, 0xff, v27
	v_lshlrev_b16 v26, 8, v26
	v_and_b32_e32 v24, 0xff, v24
	v_lshlrev_b16 v28, 8, v28
	v_mul_f32_e32 v23, v23, v38
	v_dual_mul_f32 v22, v22, v38 :: v_dual_and_b32 v25, 0xffff, v25
	v_cvt_i32_f32_e32 v32, v32
	v_mul_f32_e32 v33, v33, v38
	v_or_b32_e32 v24, v24, v26
	v_or_b32_e32 v26, v27, v28
	v_cvt_i32_f32_e32 v23, v23
	v_and_b32_e32 v28, 0xff, v32
	v_cvt_i32_f32_e32 v33, v33
	v_cvt_i32_f32_e32 v22, v22
	v_dual_mul_f32 v31, v31, v38 :: v_dual_lshlrev_b32 v24, 16, v24
	v_lshlrev_b16 v23, 8, v23
	s_delay_alu instid0(VALU_DEP_4) | instskip(NEXT) | instid1(VALU_DEP_4)
	v_lshlrev_b16 v27, 8, v33
	v_and_b32_e32 v22, 0xff, v22
	v_cvt_i32_f32_e32 v36, v36
	v_mul_f32_e32 v35, v35, v38
	v_cvt_i32_f32_e32 v37, v37
	v_cvt_i32_f32_e32 v30, v30
	v_or_b32_e32 v22, v22, v23
	v_or_b32_e32 v23, v28, v27
	v_mul_f32_e32 v34, v34, v38
	v_cvt_i32_f32_e32 v31, v31
	v_lshlrev_b16 v33, 8, v37
	v_and_b32_e32 v30, 0xff, v30
	v_and_b32_e32 v23, 0xffff, v23
	v_cvt_i32_f32_e32 v34, v34
	v_lshlrev_b16 v31, 8, v31
	v_and_b32_e32 v26, 0xffff, v26
	v_lshlrev_b32_e32 v22, 16, v22
	v_or_b32_e32 v25, v25, v24
	v_and_b32_e32 v32, 0xff, v34
	v_and_b32_e32 v34, 0xff, v36
	v_cvt_i32_f32_e32 v35, v35
	v_or_b32_e32 v24, v26, v22
	s_delay_alu instid0(VALU_DEP_3) | instskip(NEXT) | instid1(VALU_DEP_3)
	v_or_b32_e32 v28, v34, v33
	v_lshlrev_b16 v29, 8, v35
	s_delay_alu instid0(VALU_DEP_2) | instskip(NEXT) | instid1(VALU_DEP_2)
	v_and_b32_e32 v28, 0xffff, v28
	v_or_b32_e32 v27, v32, v29
	v_or_b32_e32 v29, v30, v31
	s_delay_alu instid0(VALU_DEP_2) | instskip(NEXT) | instid1(VALU_DEP_2)
	v_lshlrev_b32_e32 v27, 16, v27
	v_lshlrev_b32_e32 v29, 16, v29
	s_delay_alu instid0(VALU_DEP_2) | instskip(NEXT) | instid1(VALU_DEP_2)
	v_or_b32_e32 v23, v23, v27
	v_or_b32_e32 v22, v28, v29
	buffer_store_b128 v[22:25], v18, s[16:19], 0 offen
	;;#ASMSTART
	s_nop 0
	;;#ASMEND
	s_branch .LBB199_4
.LBB199_13:
	s_nop 0
	s_sendmsg sendmsg(MSG_DEALLOC_VGPRS)
	s_endpgm
	.section	.rodata,"a",@progbits
	.p2align	6, 0x0
	.amdhsa_kernel _ZN5aiter43moe_smooth_per_token_scaled_quant_kernel_v1ItaLi256ELi16ELb0ELb1ELi1024EEEvPT0_PfPT_S3_PiS6_iiiii
		.amdhsa_group_segment_fixed_size 4128
		.amdhsa_private_segment_fixed_size 0
		.amdhsa_kernarg_size 68
		.amdhsa_user_sgpr_count 15
		.amdhsa_user_sgpr_dispatch_ptr 0
		.amdhsa_user_sgpr_queue_ptr 0
		.amdhsa_user_sgpr_kernarg_segment_ptr 1
		.amdhsa_user_sgpr_dispatch_id 0
		.amdhsa_user_sgpr_private_segment_size 0
		.amdhsa_wavefront_size32 1
		.amdhsa_uses_dynamic_stack 0
		.amdhsa_enable_private_segment 0
		.amdhsa_system_sgpr_workgroup_id_x 1
		.amdhsa_system_sgpr_workgroup_id_y 0
		.amdhsa_system_sgpr_workgroup_id_z 0
		.amdhsa_system_sgpr_workgroup_info 0
		.amdhsa_system_vgpr_workitem_id 0
		.amdhsa_next_free_vgpr 46
		.amdhsa_next_free_sgpr 23
		.amdhsa_reserve_vcc 1
		.amdhsa_float_round_mode_32 0
		.amdhsa_float_round_mode_16_64 0
		.amdhsa_float_denorm_mode_32 3
		.amdhsa_float_denorm_mode_16_64 3
		.amdhsa_dx10_clamp 1
		.amdhsa_ieee_mode 1
		.amdhsa_fp16_overflow 0
		.amdhsa_workgroup_processor_mode 1
		.amdhsa_memory_ordered 1
		.amdhsa_forward_progress 0
		.amdhsa_shared_vgpr_count 0
		.amdhsa_exception_fp_ieee_invalid_op 0
		.amdhsa_exception_fp_denorm_src 0
		.amdhsa_exception_fp_ieee_div_zero 0
		.amdhsa_exception_fp_ieee_overflow 0
		.amdhsa_exception_fp_ieee_underflow 0
		.amdhsa_exception_fp_ieee_inexact 0
		.amdhsa_exception_int_div_zero 0
	.end_amdhsa_kernel
	.section	.text._ZN5aiter43moe_smooth_per_token_scaled_quant_kernel_v1ItaLi256ELi16ELb0ELb1ELi1024EEEvPT0_PfPT_S3_PiS6_iiiii,"axG",@progbits,_ZN5aiter43moe_smooth_per_token_scaled_quant_kernel_v1ItaLi256ELi16ELb0ELb1ELi1024EEEvPT0_PfPT_S3_PiS6_iiiii,comdat
.Lfunc_end199:
	.size	_ZN5aiter43moe_smooth_per_token_scaled_quant_kernel_v1ItaLi256ELi16ELb0ELb1ELi1024EEEvPT0_PfPT_S3_PiS6_iiiii, .Lfunc_end199-_ZN5aiter43moe_smooth_per_token_scaled_quant_kernel_v1ItaLi256ELi16ELb0ELb1ELi1024EEEvPT0_PfPT_S3_PiS6_iiiii
                                        ; -- End function
	.section	.AMDGPU.csdata,"",@progbits
; Kernel info:
; codeLenInByte = 1716
; NumSgprs: 25
; NumVgprs: 46
; ScratchSize: 0
; MemoryBound: 0
; FloatMode: 240
; IeeeMode: 1
; LDSByteSize: 4128 bytes/workgroup (compile time only)
; SGPRBlocks: 3
; VGPRBlocks: 5
; NumSGPRsForWavesPerEU: 25
; NumVGPRsForWavesPerEU: 46
; Occupancy: 16
; WaveLimiterHint : 0
; COMPUTE_PGM_RSRC2:SCRATCH_EN: 0
; COMPUTE_PGM_RSRC2:USER_SGPR: 15
; COMPUTE_PGM_RSRC2:TRAP_HANDLER: 0
; COMPUTE_PGM_RSRC2:TGID_X_EN: 1
; COMPUTE_PGM_RSRC2:TGID_Y_EN: 0
; COMPUTE_PGM_RSRC2:TGID_Z_EN: 0
; COMPUTE_PGM_RSRC2:TIDIG_COMP_CNT: 0
	.section	.text._ZN5aiter43moe_smooth_per_token_scaled_quant_kernel_v1IDF16_aLi256ELi16ELb0ELb0ELi1024EEEvPT0_PfPT_S3_PiS6_iiiii,"axG",@progbits,_ZN5aiter43moe_smooth_per_token_scaled_quant_kernel_v1IDF16_aLi256ELi16ELb0ELb0ELi1024EEEvPT0_PfPT_S3_PiS6_iiiii,comdat
	.protected	_ZN5aiter43moe_smooth_per_token_scaled_quant_kernel_v1IDF16_aLi256ELi16ELb0ELb0ELi1024EEEvPT0_PfPT_S3_PiS6_iiiii ; -- Begin function _ZN5aiter43moe_smooth_per_token_scaled_quant_kernel_v1IDF16_aLi256ELi16ELb0ELb0ELi1024EEEvPT0_PfPT_S3_PiS6_iiiii
	.globl	_ZN5aiter43moe_smooth_per_token_scaled_quant_kernel_v1IDF16_aLi256ELi16ELb0ELb0ELi1024EEEvPT0_PfPT_S3_PiS6_iiiii
	.p2align	8
	.type	_ZN5aiter43moe_smooth_per_token_scaled_quant_kernel_v1IDF16_aLi256ELi16ELb0ELb0ELi1024EEEvPT0_PfPT_S3_PiS6_iiiii,@function
_ZN5aiter43moe_smooth_per_token_scaled_quant_kernel_v1IDF16_aLi256ELi16ELb0ELb0ELi1024EEEvPT0_PfPT_S3_PiS6_iiiii: ; @_ZN5aiter43moe_smooth_per_token_scaled_quant_kernel_v1IDF16_aLi256ELi16ELb0ELb0ELi1024EEEvPT0_PfPT_S3_PiS6_iiiii
; %bb.0:
	s_clause 0x2
	s_load_b128 s[4:7], s[0:1], 0x34
	s_load_b64 s[2:3], s[0:1], 0x20
	s_load_b64 s[12:13], s[0:1], 0x10
	v_and_b32_e32 v20, 31, v0
	s_mov_b32 s11, -1
	v_lshlrev_b32_e32 v1, 5, v0
	s_delay_alu instid0(VALU_DEP_2)
	v_lshlrev_b32_e32 v2, 2, v20
	s_waitcnt lgkmcnt(0)
	s_mul_i32 s20, s15, s4
	s_mul_hi_i32 s7, s6, s15
	s_ashr_i32 s21, s20, 31
	s_mul_i32 s6, s6, s15
	s_lshl_b64 s[8:9], s[20:21], 2
	s_mov_b32 s21, 0
	s_add_u32 s8, s2, s8
	s_addc_u32 s2, s3, s9
	s_lshl_b32 s10, s4, 2
	s_and_b32 s9, s2, 0xffff
	s_lshl_b64 s[2:3], s[6:7], 1
	buffer_load_b32 v9, v2, s[8:11], 0 offen
	s_add_u32 s8, s12, s2
	s_addc_u32 s2, s13, s3
	s_lshl_b32 s10, s5, 1
	s_and_b32 s9, s2, 0xffff
	s_clause 0x1
	buffer_load_b128 v[5:8], v1, s[8:11], 0 offen
	buffer_load_b128 v[1:4], v1, s[8:11], 16 offen
	s_cmp_lt_i32 s4, 1
	s_waitcnt vmcnt(0) expcnt(2) lgkmcnt(55)
	s_barrier
	buffer_gl0_inv
	s_cbranch_scc1 .LBB200_11
; %bb.1:
	s_clause 0x1
	s_load_b128 s[12:15], s[0:1], 0x0
	s_load_b64 s[6:7], s[0:1], 0x18
	s_add_i32 s1, s5, 15
	v_lshrrev_b32_e32 v10, 16, v5
	s_ashr_i32 s2, s1, 31
	v_lshrrev_b32_e32 v11, 16, v6
	s_lshr_b32 s2, s2, 28
	v_lshrrev_b32_e32 v12, 16, v7
	v_lshrrev_b32_e32 v13, 16, v8
	;; [unrolled: 1-line block ×7, first 2 shown]
	v_and_b32_e32 v22, 7, v0
	s_add_i32 s3, s5, 3
	s_add_i32 s1, s1, s2
	s_ashr_i32 s2, s3, 31
	s_ashr_i32 s1, s1, 4
	s_lshr_b32 s2, s2, 30
	v_cvt_f32_f16_e32 v5, v5
	v_cvt_f32_f16_e32 v10, v10
	;; [unrolled: 1-line block ×16, first 2 shown]
	v_lshlrev_b32_e32 v18, 4, v0
	v_lshlrev_b32_e32 v19, 6, v0
	v_cmp_eq_u32_e32 vcc_lo, 31, v20
	v_and_b32_e32 v20, 0x7c, v21
	v_lshlrev_b32_e32 v21, 2, v22
	v_cmp_eq_u32_e64 s0, 0, v0
	v_cmp_gt_u32_e64 s1, s1, v0
	v_mov_b32_e32 v0, 0
	s_add_i32 s3, s3, s2
	s_mov_b32 s22, s5
	s_lshl_b32 s10, s5, 2
	s_and_b32 s18, s3, -4
	s_mov_b32 s5, 0x76543210
	s_branch .LBB200_4
.LBB200_2:                              ;   in Loop: Header=BB200_4 Depth=1
	s_or_b32 exec_lo, exec_lo, s3
.LBB200_3:                              ;   in Loop: Header=BB200_4 Depth=1
	s_add_i32 s21, s21, 1
	s_delay_alu instid0(SALU_CYCLE_1)
	s_cmp_eq_u32 s4, s21
	s_cbranch_scc1 .LBB200_11
.LBB200_4:                              ; =>This Inner Loop Header: Depth=1
	v_readlane_b32 s2, v9, s21
	s_delay_alu instid0(VALU_DEP_1)
	s_cmp_lt_i32 s2, 0
	s_cbranch_scc1 .LBB200_3
; %bb.5:                                ;   in Loop: Header=BB200_4 Depth=1
	s_mul_i32 s2, s2, s22
	s_delay_alu instid0(SALU_CYCLE_1) | instskip(NEXT) | instid1(SALU_CYCLE_1)
	s_ashr_i32 s3, s2, 31
	s_lshl_b64 s[2:3], s[2:3], 2
	s_waitcnt lgkmcnt(0)
	s_add_u32 s8, s6, s2
	s_addc_u32 s2, s7, s3
	s_delay_alu instid0(SALU_CYCLE_1)
	s_and_b32 s9, s2, 0xffff
	s_clause 0x3
	buffer_load_b128 v[22:25], v19, s[8:11], 0 offen
	buffer_load_b128 v[26:29], v19, s[8:11], 16 offen
	;; [unrolled: 1-line block ×4, first 2 shown]
	s_waitcnt vmcnt(3)
	v_dual_mul_f32 v36, v22, v5 :: v_dual_mul_f32 v37, v23, v10
	v_dual_mul_f32 v30, v24, v6 :: v_dual_mul_f32 v31, v25, v11
	s_waitcnt vmcnt(2)
	v_dual_mul_f32 v32, v26, v7 :: v_dual_mul_f32 v33, v27, v12
	s_delay_alu instid0(VALU_DEP_3) | instskip(SKIP_3) | instid1(VALU_DEP_3)
	v_max3_f32 v22, |v36|, 0x2edbe6ff, |v37|
	v_dual_mul_f32 v34, v28, v8 :: v_dual_mul_f32 v35, v29, v13
	s_waitcnt vmcnt(1)
	v_dual_mul_f32 v27, v38, v1 :: v_dual_mul_f32 v28, v39, v14
	v_max3_f32 v22, v22, |v30|, |v31|
	s_waitcnt vmcnt(0)
	v_mul_f32_e32 v25, v42, v3
	v_dual_mul_f32 v29, v43, v16 :: v_dual_mul_f32 v26, v45, v17
	v_mul_f32_e32 v23, v41, v15
	v_max3_f32 v22, v22, |v32|, |v33|
	s_delay_alu instid0(VALU_DEP_1) | instskip(SKIP_1) | instid1(VALU_DEP_2)
	v_max3_f32 v24, v22, |v34|, |v35|
	v_mul_f32_e32 v22, v40, v2
	v_max3_f32 v24, v24, |v27|, |v28|
	s_delay_alu instid0(VALU_DEP_1) | instskip(SKIP_1) | instid1(VALU_DEP_2)
	v_max3_f32 v38, v24, |v22|, |v23|
	v_mul_f32_e32 v24, v44, v4
	v_max3_f32 v38, v38, |v25|, |v29|
	s_delay_alu instid0(VALU_DEP_1) | instskip(NEXT) | instid1(VALU_DEP_1)
	v_max3_f32 v38, v38, |v24|, |v26|
	v_mov_b32_dpp v39, v38 quad_perm:[1,0,3,2] row_mask:0xf bank_mask:0xf
	s_delay_alu instid0(VALU_DEP_1) | instskip(NEXT) | instid1(VALU_DEP_1)
	v_cmp_gt_f32_e64 s2, v38, v39
	v_cndmask_b32_e64 v38, v39, v38, s2
	s_delay_alu instid0(VALU_DEP_1) | instskip(NEXT) | instid1(VALU_DEP_1)
	v_mov_b32_dpp v39, v38 quad_perm:[2,3,0,1] row_mask:0xf bank_mask:0xf
	v_cmp_gt_f32_e64 s2, v38, v39
	s_delay_alu instid0(VALU_DEP_1) | instskip(NEXT) | instid1(VALU_DEP_1)
	v_cndmask_b32_e64 v38, v39, v38, s2
	v_mov_b32_dpp v39, v38 row_xmask:7 row_mask:0xf bank_mask:0xf
	s_delay_alu instid0(VALU_DEP_1) | instskip(NEXT) | instid1(VALU_DEP_1)
	v_cmp_gt_f32_e64 s2, v38, v39
	v_cndmask_b32_e64 v38, v39, v38, s2
	s_delay_alu instid0(VALU_DEP_1) | instskip(NEXT) | instid1(VALU_DEP_1)
	v_mov_b32_dpp v39, v38 row_xmask:15 row_mask:0xf bank_mask:0xf
	v_cmp_gt_f32_e64 s2, v38, v39
	s_and_saveexec_b32 s3, vcc_lo
	s_cbranch_execz .LBB200_7
; %bb.6:                                ;   in Loop: Header=BB200_4 Depth=1
	s_delay_alu instid0(VALU_DEP_1) | instskip(NEXT) | instid1(VALU_DEP_1)
	v_cndmask_b32_e64 v38, v39, v38, s2
	v_permlanex16_b32 v39, v38, s5, 0xfedcba98 op_sel:[1,1]
	s_delay_alu instid0(VALU_DEP_1) | instskip(NEXT) | instid1(VALU_DEP_1)
	v_cmp_gt_f32_e64 s2, v38, v39
	v_cndmask_b32_e64 v38, v39, v38, s2
	ds_store_b32 v20, v38
.LBB200_7:                              ;   in Loop: Header=BB200_4 Depth=1
	s_or_b32 exec_lo, exec_lo, s3
	s_waitcnt lgkmcnt(0)
	s_waitcnt_vscnt null, 0x0
	s_barrier
	buffer_gl0_inv
	ds_load_b32 v38, v21
	s_waitcnt lgkmcnt(0)
	v_mov_b32_dpp v39, v38 quad_perm:[1,0,3,2] row_mask:0xf bank_mask:0xf
	s_delay_alu instid0(VALU_DEP_1) | instskip(NEXT) | instid1(VALU_DEP_1)
	v_cmp_gt_f32_e64 s2, v38, v39
	v_cndmask_b32_e64 v38, v39, v38, s2
	s_delay_alu instid0(VALU_DEP_1) | instskip(NEXT) | instid1(VALU_DEP_1)
	v_mov_b32_dpp v39, v38 quad_perm:[2,3,0,1] row_mask:0xf bank_mask:0xf
	v_cmp_gt_f32_e64 s2, v38, v39
	s_delay_alu instid0(VALU_DEP_1) | instskip(NEXT) | instid1(VALU_DEP_1)
	v_cndmask_b32_e64 v38, v39, v38, s2
	v_mov_b32_dpp v39, v38 row_xmask:7 row_mask:0xf bank_mask:0xf
	s_delay_alu instid0(VALU_DEP_1) | instskip(NEXT) | instid1(VALU_DEP_1)
	v_cmp_gt_f32_e64 s2, v38, v39
	v_cndmask_b32_e64 v38, v39, v38, s2
	s_add_i32 s2, s20, s21
	s_delay_alu instid0(VALU_DEP_1)
	v_mul_f32_e32 v38, 0x3c010204, v38
	s_and_saveexec_b32 s8, s0
	s_cbranch_execz .LBB200_9
; %bb.8:                                ;   in Loop: Header=BB200_4 Depth=1
	s_ashr_i32 s3, s2, 31
	s_delay_alu instid0(SALU_CYCLE_1) | instskip(NEXT) | instid1(SALU_CYCLE_1)
	s_lshl_b64 s[16:17], s[2:3], 2
	s_add_u32 s16, s14, s16
	s_addc_u32 s17, s15, s17
	global_store_b32 v0, v38, s[16:17]
.LBB200_9:                              ;   in Loop: Header=BB200_4 Depth=1
	s_or_b32 exec_lo, exec_lo, s8
	s_and_saveexec_b32 s3, s1
	s_cbranch_execz .LBB200_2
; %bb.10:                               ;   in Loop: Header=BB200_4 Depth=1
	v_rcp_f32_e32 v38, v38
	s_mul_i32 s8, s2, s22
	s_mul_hi_i32 s2, s2, s22
	s_add_u32 s16, s12, s8
	s_addc_u32 s2, s13, s2
	s_mov_b32 s19, s11
	s_and_b32 s17, s2, 0xffff
	s_waitcnt_depctr 0xfff
	v_mul_f32_e32 v29, v29, v38
	v_mul_f32_e32 v25, v25, v38
	;; [unrolled: 1-line block ×5, first 2 shown]
	v_cvt_i32_f32_e32 v29, v29
	v_cvt_i32_f32_e32 v25, v25
	v_mul_f32_e32 v36, v36, v38
	v_mul_f32_e32 v24, v24, v38
	v_cvt_i32_f32_e32 v27, v27
	v_lshlrev_b16 v29, 8, v29
	v_and_b32_e32 v25, 0xff, v25
	v_cvt_i32_f32_e32 v26, v26
	v_cvt_i32_f32_e32 v24, v24
	;; [unrolled: 1-line block ×3, first 2 shown]
	v_mul_f32_e32 v37, v37, v38
	v_or_b32_e32 v25, v25, v29
	v_mul_f32_e32 v32, v32, v38
	v_dual_mul_f32 v30, v30, v38 :: v_dual_and_b32 v27, 0xff, v27
	v_lshlrev_b16 v26, 8, v26
	v_and_b32_e32 v24, 0xff, v24
	v_lshlrev_b16 v28, 8, v28
	v_mul_f32_e32 v23, v23, v38
	v_dual_mul_f32 v22, v22, v38 :: v_dual_and_b32 v25, 0xffff, v25
	v_cvt_i32_f32_e32 v32, v32
	v_mul_f32_e32 v33, v33, v38
	v_or_b32_e32 v24, v24, v26
	v_or_b32_e32 v26, v27, v28
	v_cvt_i32_f32_e32 v23, v23
	v_and_b32_e32 v28, 0xff, v32
	v_cvt_i32_f32_e32 v33, v33
	v_cvt_i32_f32_e32 v22, v22
	v_dual_mul_f32 v31, v31, v38 :: v_dual_lshlrev_b32 v24, 16, v24
	v_lshlrev_b16 v23, 8, v23
	s_delay_alu instid0(VALU_DEP_4) | instskip(NEXT) | instid1(VALU_DEP_4)
	v_lshlrev_b16 v27, 8, v33
	v_and_b32_e32 v22, 0xff, v22
	v_cvt_i32_f32_e32 v36, v36
	v_mul_f32_e32 v35, v35, v38
	v_cvt_i32_f32_e32 v37, v37
	v_cvt_i32_f32_e32 v30, v30
	v_or_b32_e32 v22, v22, v23
	v_or_b32_e32 v23, v28, v27
	v_mul_f32_e32 v34, v34, v38
	v_cvt_i32_f32_e32 v31, v31
	v_lshlrev_b16 v33, 8, v37
	v_and_b32_e32 v30, 0xff, v30
	v_and_b32_e32 v23, 0xffff, v23
	v_cvt_i32_f32_e32 v34, v34
	v_lshlrev_b16 v31, 8, v31
	v_and_b32_e32 v26, 0xffff, v26
	v_lshlrev_b32_e32 v22, 16, v22
	v_or_b32_e32 v25, v25, v24
	v_and_b32_e32 v32, 0xff, v34
	v_and_b32_e32 v34, 0xff, v36
	v_cvt_i32_f32_e32 v35, v35
	v_or_b32_e32 v24, v26, v22
	s_delay_alu instid0(VALU_DEP_3) | instskip(NEXT) | instid1(VALU_DEP_3)
	v_or_b32_e32 v28, v34, v33
	v_lshlrev_b16 v29, 8, v35
	s_delay_alu instid0(VALU_DEP_2) | instskip(NEXT) | instid1(VALU_DEP_2)
	v_and_b32_e32 v28, 0xffff, v28
	v_or_b32_e32 v27, v32, v29
	v_or_b32_e32 v29, v30, v31
	s_delay_alu instid0(VALU_DEP_2) | instskip(NEXT) | instid1(VALU_DEP_2)
	v_lshlrev_b32_e32 v27, 16, v27
	v_lshlrev_b32_e32 v29, 16, v29
	s_delay_alu instid0(VALU_DEP_2) | instskip(NEXT) | instid1(VALU_DEP_2)
	v_or_b32_e32 v23, v23, v27
	v_or_b32_e32 v22, v28, v29
	buffer_store_b128 v[22:25], v18, s[16:19], 0 offen
	;;#ASMSTART
	s_nop 0
	;;#ASMEND
	s_branch .LBB200_2
.LBB200_11:
	s_nop 0
	s_sendmsg sendmsg(MSG_DEALLOC_VGPRS)
	s_endpgm
	.section	.rodata,"a",@progbits
	.p2align	6, 0x0
	.amdhsa_kernel _ZN5aiter43moe_smooth_per_token_scaled_quant_kernel_v1IDF16_aLi256ELi16ELb0ELb0ELi1024EEEvPT0_PfPT_S3_PiS6_iiiii
		.amdhsa_group_segment_fixed_size 32
		.amdhsa_private_segment_fixed_size 0
		.amdhsa_kernarg_size 68
		.amdhsa_user_sgpr_count 15
		.amdhsa_user_sgpr_dispatch_ptr 0
		.amdhsa_user_sgpr_queue_ptr 0
		.amdhsa_user_sgpr_kernarg_segment_ptr 1
		.amdhsa_user_sgpr_dispatch_id 0
		.amdhsa_user_sgpr_private_segment_size 0
		.amdhsa_wavefront_size32 1
		.amdhsa_uses_dynamic_stack 0
		.amdhsa_enable_private_segment 0
		.amdhsa_system_sgpr_workgroup_id_x 1
		.amdhsa_system_sgpr_workgroup_id_y 0
		.amdhsa_system_sgpr_workgroup_id_z 0
		.amdhsa_system_sgpr_workgroup_info 0
		.amdhsa_system_vgpr_workitem_id 0
		.amdhsa_next_free_vgpr 46
		.amdhsa_next_free_sgpr 23
		.amdhsa_reserve_vcc 1
		.amdhsa_float_round_mode_32 0
		.amdhsa_float_round_mode_16_64 0
		.amdhsa_float_denorm_mode_32 3
		.amdhsa_float_denorm_mode_16_64 3
		.amdhsa_dx10_clamp 1
		.amdhsa_ieee_mode 1
		.amdhsa_fp16_overflow 0
		.amdhsa_workgroup_processor_mode 1
		.amdhsa_memory_ordered 1
		.amdhsa_forward_progress 0
		.amdhsa_shared_vgpr_count 0
		.amdhsa_exception_fp_ieee_invalid_op 0
		.amdhsa_exception_fp_denorm_src 0
		.amdhsa_exception_fp_ieee_div_zero 0
		.amdhsa_exception_fp_ieee_overflow 0
		.amdhsa_exception_fp_ieee_underflow 0
		.amdhsa_exception_fp_ieee_inexact 0
		.amdhsa_exception_int_div_zero 0
	.end_amdhsa_kernel
	.section	.text._ZN5aiter43moe_smooth_per_token_scaled_quant_kernel_v1IDF16_aLi256ELi16ELb0ELb0ELi1024EEEvPT0_PfPT_S3_PiS6_iiiii,"axG",@progbits,_ZN5aiter43moe_smooth_per_token_scaled_quant_kernel_v1IDF16_aLi256ELi16ELb0ELb0ELi1024EEEvPT0_PfPT_S3_PiS6_iiiii,comdat
.Lfunc_end200:
	.size	_ZN5aiter43moe_smooth_per_token_scaled_quant_kernel_v1IDF16_aLi256ELi16ELb0ELb0ELi1024EEEvPT0_PfPT_S3_PiS6_iiiii, .Lfunc_end200-_ZN5aiter43moe_smooth_per_token_scaled_quant_kernel_v1IDF16_aLi256ELi16ELb0ELb0ELi1024EEEvPT0_PfPT_S3_PiS6_iiiii
                                        ; -- End function
	.section	.AMDGPU.csdata,"",@progbits
; Kernel info:
; codeLenInByte = 1488
; NumSgprs: 25
; NumVgprs: 46
; ScratchSize: 0
; MemoryBound: 0
; FloatMode: 240
; IeeeMode: 1
; LDSByteSize: 32 bytes/workgroup (compile time only)
; SGPRBlocks: 3
; VGPRBlocks: 5
; NumSGPRsForWavesPerEU: 25
; NumVGPRsForWavesPerEU: 46
; Occupancy: 16
; WaveLimiterHint : 0
; COMPUTE_PGM_RSRC2:SCRATCH_EN: 0
; COMPUTE_PGM_RSRC2:USER_SGPR: 15
; COMPUTE_PGM_RSRC2:TRAP_HANDLER: 0
; COMPUTE_PGM_RSRC2:TGID_X_EN: 1
; COMPUTE_PGM_RSRC2:TGID_Y_EN: 0
; COMPUTE_PGM_RSRC2:TGID_Z_EN: 0
; COMPUTE_PGM_RSRC2:TIDIG_COMP_CNT: 0
	.section	.text._ZN5aiter43moe_smooth_per_token_scaled_quant_kernel_v1ItaLi256ELi16ELb0ELb0ELi1024EEEvPT0_PfPT_S3_PiS6_iiiii,"axG",@progbits,_ZN5aiter43moe_smooth_per_token_scaled_quant_kernel_v1ItaLi256ELi16ELb0ELb0ELi1024EEEvPT0_PfPT_S3_PiS6_iiiii,comdat
	.protected	_ZN5aiter43moe_smooth_per_token_scaled_quant_kernel_v1ItaLi256ELi16ELb0ELb0ELi1024EEEvPT0_PfPT_S3_PiS6_iiiii ; -- Begin function _ZN5aiter43moe_smooth_per_token_scaled_quant_kernel_v1ItaLi256ELi16ELb0ELb0ELi1024EEEvPT0_PfPT_S3_PiS6_iiiii
	.globl	_ZN5aiter43moe_smooth_per_token_scaled_quant_kernel_v1ItaLi256ELi16ELb0ELb0ELi1024EEEvPT0_PfPT_S3_PiS6_iiiii
	.p2align	8
	.type	_ZN5aiter43moe_smooth_per_token_scaled_quant_kernel_v1ItaLi256ELi16ELb0ELb0ELi1024EEEvPT0_PfPT_S3_PiS6_iiiii,@function
_ZN5aiter43moe_smooth_per_token_scaled_quant_kernel_v1ItaLi256ELi16ELb0ELb0ELi1024EEEvPT0_PfPT_S3_PiS6_iiiii: ; @_ZN5aiter43moe_smooth_per_token_scaled_quant_kernel_v1ItaLi256ELi16ELb0ELb0ELi1024EEEvPT0_PfPT_S3_PiS6_iiiii
; %bb.0:
	s_clause 0x2
	s_load_b128 s[4:7], s[0:1], 0x34
	s_load_b64 s[2:3], s[0:1], 0x20
	s_load_b64 s[12:13], s[0:1], 0x10
	v_and_b32_e32 v20, 31, v0
	s_mov_b32 s11, -1
	v_lshlrev_b32_e32 v1, 5, v0
	s_delay_alu instid0(VALU_DEP_2)
	v_lshlrev_b32_e32 v2, 2, v20
	s_waitcnt lgkmcnt(0)
	s_mul_i32 s20, s15, s4
	s_mul_hi_i32 s7, s6, s15
	s_ashr_i32 s21, s20, 31
	s_mul_i32 s6, s6, s15
	s_lshl_b64 s[8:9], s[20:21], 2
	s_mov_b32 s21, 0
	s_add_u32 s8, s2, s8
	s_addc_u32 s2, s3, s9
	s_lshl_b32 s10, s4, 2
	s_and_b32 s9, s2, 0xffff
	s_lshl_b64 s[2:3], s[6:7], 1
	buffer_load_b32 v9, v2, s[8:11], 0 offen
	s_add_u32 s8, s12, s2
	s_addc_u32 s2, s13, s3
	s_lshl_b32 s10, s5, 1
	s_and_b32 s9, s2, 0xffff
	s_clause 0x1
	buffer_load_b128 v[5:8], v1, s[8:11], 0 offen
	buffer_load_b128 v[1:4], v1, s[8:11], 16 offen
	s_cmp_lt_i32 s4, 1
	s_waitcnt vmcnt(0) expcnt(2) lgkmcnt(55)
	s_barrier
	buffer_gl0_inv
	s_cbranch_scc1 .LBB201_11
; %bb.1:
	v_and_b32_e32 v10, 0xffff, v5
	s_clause 0x1
	s_load_b128 s[12:15], s[0:1], 0x0
	s_load_b64 s[6:7], s[0:1], 0x18
	v_lshrrev_b32_e32 v11, 16, v5
	v_and_b32_e32 v12, 0xffff, v6
	v_and_b32_e32 v13, 0xffff, v7
	v_lshrrev_b32_e32 v14, 16, v7
	v_cvt_f32_u32_e32 v5, v10
	v_lshrrev_b32_e32 v10, 16, v6
	v_cvt_f32_u32_e32 v6, v11
	v_cvt_f32_u32_e32 v7, v12
	;; [unrolled: 1-line block ×4, first 2 shown]
	v_and_b32_e32 v13, 0xffff, v8
	v_and_b32_e32 v14, 0xffff, v1
	v_lshrrev_b32_e32 v15, 16, v1
	v_and_b32_e32 v16, 0xffff, v2
	s_add_i32 s1, s5, 15
	v_lshrrev_b32_e32 v8, 16, v8
	s_ashr_i32 s2, s1, 31
	v_cvt_f32_u32_e32 v1, v13
	s_lshr_b32 s2, s2, 28
	v_cvt_f32_u32_e32 v13, v14
	v_cvt_f32_u32_e32 v14, v15
	;; [unrolled: 1-line block ×3, first 2 shown]
	v_lshrrev_b32_e32 v2, 16, v2
	v_and_b32_e32 v16, 0xffff, v3
	v_lshrrev_b32_e32 v17, 16, v3
	v_and_b32_e32 v18, 0xffff, v4
	v_lshrrev_b32_e32 v19, 16, v4
	v_lshrrev_b32_e32 v21, 3, v0
	v_and_b32_e32 v22, 7, v0
	s_add_i32 s3, s5, 3
	s_add_i32 s1, s1, s2
	s_ashr_i32 s2, s3, 31
	s_ashr_i32 s1, s1, 4
	s_lshr_b32 s2, s2, 30
	v_cvt_f32_u32_e32 v10, v10
	v_cvt_f32_u32_e32 v8, v8
	;; [unrolled: 1-line block ×7, first 2 shown]
	v_lshlrev_b32_e32 v18, 4, v0
	v_lshlrev_b32_e32 v19, 6, v0
	v_cmp_eq_u32_e32 vcc_lo, 31, v20
	v_and_b32_e32 v20, 0x7c, v21
	v_lshlrev_b32_e32 v21, 2, v22
	v_cmp_eq_u32_e64 s0, 0, v0
	v_cmp_gt_u32_e64 s1, s1, v0
	v_mov_b32_e32 v0, 0
	s_add_i32 s3, s3, s2
	s_mov_b32 s22, s5
	s_lshl_b32 s10, s5, 2
	s_and_b32 s18, s3, -4
	s_mov_b32 s5, 0x76543210
	s_branch .LBB201_4
.LBB201_2:                              ;   in Loop: Header=BB201_4 Depth=1
	s_or_b32 exec_lo, exec_lo, s3
.LBB201_3:                              ;   in Loop: Header=BB201_4 Depth=1
	s_add_i32 s21, s21, 1
	s_delay_alu instid0(SALU_CYCLE_1)
	s_cmp_eq_u32 s4, s21
	s_cbranch_scc1 .LBB201_11
.LBB201_4:                              ; =>This Inner Loop Header: Depth=1
	v_readlane_b32 s2, v9, s21
	s_delay_alu instid0(VALU_DEP_1)
	s_cmp_lt_i32 s2, 0
	s_cbranch_scc1 .LBB201_3
; %bb.5:                                ;   in Loop: Header=BB201_4 Depth=1
	s_mul_i32 s2, s2, s22
	s_delay_alu instid0(SALU_CYCLE_1) | instskip(NEXT) | instid1(SALU_CYCLE_1)
	s_ashr_i32 s3, s2, 31
	s_lshl_b64 s[2:3], s[2:3], 2
	s_waitcnt lgkmcnt(0)
	s_add_u32 s8, s6, s2
	s_addc_u32 s2, s7, s3
	s_delay_alu instid0(SALU_CYCLE_1)
	s_and_b32 s9, s2, 0xffff
	s_clause 0x3
	buffer_load_b128 v[22:25], v19, s[8:11], 0 offen
	buffer_load_b128 v[26:29], v19, s[8:11], 16 offen
	buffer_load_b128 v[38:41], v19, s[8:11], 32 offen
	buffer_load_b128 v[42:45], v19, s[8:11], 48 offen
	s_waitcnt vmcnt(3)
	v_dual_mul_f32 v36, v22, v5 :: v_dual_mul_f32 v37, v23, v6
	v_dual_mul_f32 v30, v24, v7 :: v_dual_mul_f32 v31, v25, v10
	s_waitcnt vmcnt(2)
	v_dual_mul_f32 v32, v26, v11 :: v_dual_mul_f32 v33, v27, v12
	s_delay_alu instid0(VALU_DEP_3) | instskip(SKIP_3) | instid1(VALU_DEP_3)
	v_max3_f32 v22, |v36|, 0x2edbe6ff, |v37|
	v_dual_mul_f32 v34, v28, v1 :: v_dual_mul_f32 v35, v29, v8
	s_waitcnt vmcnt(1)
	v_dual_mul_f32 v27, v38, v13 :: v_dual_mul_f32 v28, v39, v14
	v_max3_f32 v22, v22, |v30|, |v31|
	s_waitcnt vmcnt(0)
	v_mul_f32_e32 v25, v42, v3
	v_dual_mul_f32 v29, v43, v4 :: v_dual_mul_f32 v26, v45, v17
	v_mul_f32_e32 v23, v41, v2
	v_max3_f32 v22, v22, |v32|, |v33|
	s_delay_alu instid0(VALU_DEP_1) | instskip(SKIP_1) | instid1(VALU_DEP_2)
	v_max3_f32 v24, v22, |v34|, |v35|
	v_mul_f32_e32 v22, v40, v15
	v_max3_f32 v24, v24, |v27|, |v28|
	s_delay_alu instid0(VALU_DEP_1) | instskip(SKIP_1) | instid1(VALU_DEP_2)
	v_max3_f32 v38, v24, |v22|, |v23|
	v_mul_f32_e32 v24, v44, v16
	v_max3_f32 v38, v38, |v25|, |v29|
	s_delay_alu instid0(VALU_DEP_1) | instskip(NEXT) | instid1(VALU_DEP_1)
	v_max3_f32 v38, v38, |v24|, |v26|
	v_mov_b32_dpp v39, v38 quad_perm:[1,0,3,2] row_mask:0xf bank_mask:0xf
	s_delay_alu instid0(VALU_DEP_1) | instskip(NEXT) | instid1(VALU_DEP_1)
	v_cmp_gt_f32_e64 s2, v38, v39
	v_cndmask_b32_e64 v38, v39, v38, s2
	s_delay_alu instid0(VALU_DEP_1) | instskip(NEXT) | instid1(VALU_DEP_1)
	v_mov_b32_dpp v39, v38 quad_perm:[2,3,0,1] row_mask:0xf bank_mask:0xf
	v_cmp_gt_f32_e64 s2, v38, v39
	s_delay_alu instid0(VALU_DEP_1) | instskip(NEXT) | instid1(VALU_DEP_1)
	v_cndmask_b32_e64 v38, v39, v38, s2
	v_mov_b32_dpp v39, v38 row_xmask:7 row_mask:0xf bank_mask:0xf
	s_delay_alu instid0(VALU_DEP_1) | instskip(NEXT) | instid1(VALU_DEP_1)
	v_cmp_gt_f32_e64 s2, v38, v39
	v_cndmask_b32_e64 v38, v39, v38, s2
	s_delay_alu instid0(VALU_DEP_1) | instskip(NEXT) | instid1(VALU_DEP_1)
	v_mov_b32_dpp v39, v38 row_xmask:15 row_mask:0xf bank_mask:0xf
	v_cmp_gt_f32_e64 s2, v38, v39
	s_and_saveexec_b32 s3, vcc_lo
	s_cbranch_execz .LBB201_7
; %bb.6:                                ;   in Loop: Header=BB201_4 Depth=1
	s_delay_alu instid0(VALU_DEP_1) | instskip(NEXT) | instid1(VALU_DEP_1)
	v_cndmask_b32_e64 v38, v39, v38, s2
	v_permlanex16_b32 v39, v38, s5, 0xfedcba98 op_sel:[1,1]
	s_delay_alu instid0(VALU_DEP_1) | instskip(NEXT) | instid1(VALU_DEP_1)
	v_cmp_gt_f32_e64 s2, v38, v39
	v_cndmask_b32_e64 v38, v39, v38, s2
	ds_store_b32 v20, v38
.LBB201_7:                              ;   in Loop: Header=BB201_4 Depth=1
	s_or_b32 exec_lo, exec_lo, s3
	s_waitcnt lgkmcnt(0)
	s_waitcnt_vscnt null, 0x0
	s_barrier
	buffer_gl0_inv
	ds_load_b32 v38, v21
	s_waitcnt lgkmcnt(0)
	v_mov_b32_dpp v39, v38 quad_perm:[1,0,3,2] row_mask:0xf bank_mask:0xf
	s_delay_alu instid0(VALU_DEP_1) | instskip(NEXT) | instid1(VALU_DEP_1)
	v_cmp_gt_f32_e64 s2, v38, v39
	v_cndmask_b32_e64 v38, v39, v38, s2
	s_delay_alu instid0(VALU_DEP_1) | instskip(NEXT) | instid1(VALU_DEP_1)
	v_mov_b32_dpp v39, v38 quad_perm:[2,3,0,1] row_mask:0xf bank_mask:0xf
	v_cmp_gt_f32_e64 s2, v38, v39
	s_delay_alu instid0(VALU_DEP_1) | instskip(NEXT) | instid1(VALU_DEP_1)
	v_cndmask_b32_e64 v38, v39, v38, s2
	v_mov_b32_dpp v39, v38 row_xmask:7 row_mask:0xf bank_mask:0xf
	s_delay_alu instid0(VALU_DEP_1) | instskip(NEXT) | instid1(VALU_DEP_1)
	v_cmp_gt_f32_e64 s2, v38, v39
	v_cndmask_b32_e64 v38, v39, v38, s2
	s_add_i32 s2, s20, s21
	s_delay_alu instid0(VALU_DEP_1)
	v_mul_f32_e32 v38, 0x3c010204, v38
	s_and_saveexec_b32 s8, s0
	s_cbranch_execz .LBB201_9
; %bb.8:                                ;   in Loop: Header=BB201_4 Depth=1
	s_ashr_i32 s3, s2, 31
	s_delay_alu instid0(SALU_CYCLE_1) | instskip(NEXT) | instid1(SALU_CYCLE_1)
	s_lshl_b64 s[16:17], s[2:3], 2
	s_add_u32 s16, s14, s16
	s_addc_u32 s17, s15, s17
	global_store_b32 v0, v38, s[16:17]
.LBB201_9:                              ;   in Loop: Header=BB201_4 Depth=1
	s_or_b32 exec_lo, exec_lo, s8
	s_and_saveexec_b32 s3, s1
	s_cbranch_execz .LBB201_2
; %bb.10:                               ;   in Loop: Header=BB201_4 Depth=1
	v_rcp_f32_e32 v38, v38
	s_mul_i32 s8, s2, s22
	s_mul_hi_i32 s2, s2, s22
	s_add_u32 s16, s12, s8
	s_addc_u32 s2, s13, s2
	s_mov_b32 s19, s11
	s_and_b32 s17, s2, 0xffff
	s_waitcnt_depctr 0xfff
	v_mul_f32_e32 v29, v29, v38
	v_mul_f32_e32 v25, v25, v38
	;; [unrolled: 1-line block ×5, first 2 shown]
	v_cvt_i32_f32_e32 v29, v29
	v_cvt_i32_f32_e32 v25, v25
	v_mul_f32_e32 v36, v36, v38
	v_mul_f32_e32 v24, v24, v38
	v_cvt_i32_f32_e32 v27, v27
	v_lshlrev_b16 v29, 8, v29
	v_and_b32_e32 v25, 0xff, v25
	v_cvt_i32_f32_e32 v26, v26
	v_cvt_i32_f32_e32 v24, v24
	;; [unrolled: 1-line block ×3, first 2 shown]
	v_mul_f32_e32 v37, v37, v38
	v_or_b32_e32 v25, v25, v29
	v_mul_f32_e32 v32, v32, v38
	v_dual_mul_f32 v30, v30, v38 :: v_dual_and_b32 v27, 0xff, v27
	v_lshlrev_b16 v26, 8, v26
	v_and_b32_e32 v24, 0xff, v24
	v_lshlrev_b16 v28, 8, v28
	v_mul_f32_e32 v23, v23, v38
	v_dual_mul_f32 v22, v22, v38 :: v_dual_and_b32 v25, 0xffff, v25
	v_cvt_i32_f32_e32 v32, v32
	v_mul_f32_e32 v33, v33, v38
	v_or_b32_e32 v24, v24, v26
	v_or_b32_e32 v26, v27, v28
	v_cvt_i32_f32_e32 v23, v23
	v_and_b32_e32 v28, 0xff, v32
	v_cvt_i32_f32_e32 v33, v33
	v_cvt_i32_f32_e32 v22, v22
	v_dual_mul_f32 v31, v31, v38 :: v_dual_lshlrev_b32 v24, 16, v24
	v_lshlrev_b16 v23, 8, v23
	s_delay_alu instid0(VALU_DEP_4) | instskip(NEXT) | instid1(VALU_DEP_4)
	v_lshlrev_b16 v27, 8, v33
	v_and_b32_e32 v22, 0xff, v22
	v_cvt_i32_f32_e32 v36, v36
	v_mul_f32_e32 v35, v35, v38
	v_cvt_i32_f32_e32 v37, v37
	v_cvt_i32_f32_e32 v30, v30
	v_or_b32_e32 v22, v22, v23
	v_or_b32_e32 v23, v28, v27
	v_mul_f32_e32 v34, v34, v38
	v_cvt_i32_f32_e32 v31, v31
	v_lshlrev_b16 v33, 8, v37
	v_and_b32_e32 v30, 0xff, v30
	v_and_b32_e32 v23, 0xffff, v23
	v_cvt_i32_f32_e32 v34, v34
	v_lshlrev_b16 v31, 8, v31
	v_and_b32_e32 v26, 0xffff, v26
	v_lshlrev_b32_e32 v22, 16, v22
	v_or_b32_e32 v25, v25, v24
	v_and_b32_e32 v32, 0xff, v34
	v_and_b32_e32 v34, 0xff, v36
	v_cvt_i32_f32_e32 v35, v35
	v_or_b32_e32 v24, v26, v22
	s_delay_alu instid0(VALU_DEP_3) | instskip(NEXT) | instid1(VALU_DEP_3)
	v_or_b32_e32 v28, v34, v33
	v_lshlrev_b16 v29, 8, v35
	s_delay_alu instid0(VALU_DEP_2) | instskip(NEXT) | instid1(VALU_DEP_2)
	v_and_b32_e32 v28, 0xffff, v28
	v_or_b32_e32 v27, v32, v29
	v_or_b32_e32 v29, v30, v31
	s_delay_alu instid0(VALU_DEP_2) | instskip(NEXT) | instid1(VALU_DEP_2)
	v_lshlrev_b32_e32 v27, 16, v27
	v_lshlrev_b32_e32 v29, 16, v29
	s_delay_alu instid0(VALU_DEP_2) | instskip(NEXT) | instid1(VALU_DEP_2)
	v_or_b32_e32 v23, v23, v27
	v_or_b32_e32 v22, v28, v29
	buffer_store_b128 v[22:25], v18, s[16:19], 0 offen
	;;#ASMSTART
	s_nop 0
	;;#ASMEND
	s_branch .LBB201_2
.LBB201_11:
	s_nop 0
	s_sendmsg sendmsg(MSG_DEALLOC_VGPRS)
	s_endpgm
	.section	.rodata,"a",@progbits
	.p2align	6, 0x0
	.amdhsa_kernel _ZN5aiter43moe_smooth_per_token_scaled_quant_kernel_v1ItaLi256ELi16ELb0ELb0ELi1024EEEvPT0_PfPT_S3_PiS6_iiiii
		.amdhsa_group_segment_fixed_size 32
		.amdhsa_private_segment_fixed_size 0
		.amdhsa_kernarg_size 68
		.amdhsa_user_sgpr_count 15
		.amdhsa_user_sgpr_dispatch_ptr 0
		.amdhsa_user_sgpr_queue_ptr 0
		.amdhsa_user_sgpr_kernarg_segment_ptr 1
		.amdhsa_user_sgpr_dispatch_id 0
		.amdhsa_user_sgpr_private_segment_size 0
		.amdhsa_wavefront_size32 1
		.amdhsa_uses_dynamic_stack 0
		.amdhsa_enable_private_segment 0
		.amdhsa_system_sgpr_workgroup_id_x 1
		.amdhsa_system_sgpr_workgroup_id_y 0
		.amdhsa_system_sgpr_workgroup_id_z 0
		.amdhsa_system_sgpr_workgroup_info 0
		.amdhsa_system_vgpr_workitem_id 0
		.amdhsa_next_free_vgpr 46
		.amdhsa_next_free_sgpr 23
		.amdhsa_reserve_vcc 1
		.amdhsa_float_round_mode_32 0
		.amdhsa_float_round_mode_16_64 0
		.amdhsa_float_denorm_mode_32 3
		.amdhsa_float_denorm_mode_16_64 3
		.amdhsa_dx10_clamp 1
		.amdhsa_ieee_mode 1
		.amdhsa_fp16_overflow 0
		.amdhsa_workgroup_processor_mode 1
		.amdhsa_memory_ordered 1
		.amdhsa_forward_progress 0
		.amdhsa_shared_vgpr_count 0
		.amdhsa_exception_fp_ieee_invalid_op 0
		.amdhsa_exception_fp_denorm_src 0
		.amdhsa_exception_fp_ieee_div_zero 0
		.amdhsa_exception_fp_ieee_overflow 0
		.amdhsa_exception_fp_ieee_underflow 0
		.amdhsa_exception_fp_ieee_inexact 0
		.amdhsa_exception_int_div_zero 0
	.end_amdhsa_kernel
	.section	.text._ZN5aiter43moe_smooth_per_token_scaled_quant_kernel_v1ItaLi256ELi16ELb0ELb0ELi1024EEEvPT0_PfPT_S3_PiS6_iiiii,"axG",@progbits,_ZN5aiter43moe_smooth_per_token_scaled_quant_kernel_v1ItaLi256ELi16ELb0ELb0ELi1024EEEvPT0_PfPT_S3_PiS6_iiiii,comdat
.Lfunc_end201:
	.size	_ZN5aiter43moe_smooth_per_token_scaled_quant_kernel_v1ItaLi256ELi16ELb0ELb0ELi1024EEEvPT0_PfPT_S3_PiS6_iiiii, .Lfunc_end201-_ZN5aiter43moe_smooth_per_token_scaled_quant_kernel_v1ItaLi256ELi16ELb0ELb0ELi1024EEEvPT0_PfPT_S3_PiS6_iiiii
                                        ; -- End function
	.section	.AMDGPU.csdata,"",@progbits
; Kernel info:
; codeLenInByte = 1552
; NumSgprs: 25
; NumVgprs: 46
; ScratchSize: 0
; MemoryBound: 0
; FloatMode: 240
; IeeeMode: 1
; LDSByteSize: 32 bytes/workgroup (compile time only)
; SGPRBlocks: 3
; VGPRBlocks: 5
; NumSGPRsForWavesPerEU: 25
; NumVGPRsForWavesPerEU: 46
; Occupancy: 16
; WaveLimiterHint : 0
; COMPUTE_PGM_RSRC2:SCRATCH_EN: 0
; COMPUTE_PGM_RSRC2:USER_SGPR: 15
; COMPUTE_PGM_RSRC2:TRAP_HANDLER: 0
; COMPUTE_PGM_RSRC2:TGID_X_EN: 1
; COMPUTE_PGM_RSRC2:TGID_Y_EN: 0
; COMPUTE_PGM_RSRC2:TGID_Z_EN: 0
; COMPUTE_PGM_RSRC2:TIDIG_COMP_CNT: 0
	.section	.text._ZN5aiter43moe_smooth_per_token_scaled_quant_kernel_v1IDF16_aLi512ELi16ELb1ELb1ELi1024EEEvPT0_PfPT_S3_PiS6_iiiii,"axG",@progbits,_ZN5aiter43moe_smooth_per_token_scaled_quant_kernel_v1IDF16_aLi512ELi16ELb1ELb1ELi1024EEEvPT0_PfPT_S3_PiS6_iiiii,comdat
	.protected	_ZN5aiter43moe_smooth_per_token_scaled_quant_kernel_v1IDF16_aLi512ELi16ELb1ELb1ELi1024EEEvPT0_PfPT_S3_PiS6_iiiii ; -- Begin function _ZN5aiter43moe_smooth_per_token_scaled_quant_kernel_v1IDF16_aLi512ELi16ELb1ELb1ELi1024EEEvPT0_PfPT_S3_PiS6_iiiii
	.globl	_ZN5aiter43moe_smooth_per_token_scaled_quant_kernel_v1IDF16_aLi512ELi16ELb1ELb1ELi1024EEEvPT0_PfPT_S3_PiS6_iiiii
	.p2align	8
	.type	_ZN5aiter43moe_smooth_per_token_scaled_quant_kernel_v1IDF16_aLi512ELi16ELb1ELb1ELi1024EEEvPT0_PfPT_S3_PiS6_iiiii,@function
_ZN5aiter43moe_smooth_per_token_scaled_quant_kernel_v1IDF16_aLi512ELi16ELb1ELb1ELi1024EEEvPT0_PfPT_S3_PiS6_iiiii: ; @_ZN5aiter43moe_smooth_per_token_scaled_quant_kernel_v1IDF16_aLi512ELi16ELb1ELb1ELi1024EEEvPT0_PfPT_S3_PiS6_iiiii
; %bb.0:
	s_clause 0x2
	s_load_b32 s18, s[0:1], 0x40
	s_load_b256 s[4:11], s[0:1], 0x20
	s_load_b64 s[2:3], s[0:1], 0x10
	s_mov_b32 s20, s15
	v_and_b32_e32 v20, 31, v0
	v_lshlrev_b32_e32 v10, 2, v0
	s_mov_b32 s15, -1
	s_delay_alu instid0(VALU_DEP_2)
	v_lshlrev_b32_e32 v1, 2, v20
	s_waitcnt lgkmcnt(0)
	s_lshl_b32 s14, s18, 2
	s_mul_i32 s16, s20, s9
	s_and_b32 s13, s7, 0xffff
	s_ashr_i32 s17, s16, 31
	s_mov_b32 s12, s6
	s_lshl_b64 s[16:17], s[16:17], 2
	s_clause 0x1
	buffer_load_b32 v11, v10, s[12:15], 0 offen
	buffer_load_b32 v12, v10, s[12:15], 0 offen offset:2048
	s_add_u32 s12, s4, s16
	s_addc_u32 s4, s5, s17
	s_lshl_b32 s14, s9, 2
	s_and_b32 s13, s4, 0xffff
	s_mul_hi_i32 s7, s11, s20
	s_mul_i32 s6, s11, s20
	buffer_load_b32 v9, v1, s[12:15], 0 offen
	s_lshl_b64 s[4:5], s[6:7], 1
	v_lshlrev_b32_e32 v1, 5, v0
	s_add_u32 s12, s2, s4
	s_addc_u32 s2, s3, s5
	s_lshl_b32 s14, s10, 1
	s_and_b32 s13, s2, 0xffff
	s_clause 0x1
	buffer_load_b128 v[5:8], v1, s[12:15], 0 offen
	buffer_load_b128 v[1:4], v1, s[12:15], 16 offen
	v_cmp_gt_i32_e32 vcc_lo, s9, v20
	s_waitcnt vmcnt(3)
	ds_store_2addr_stride64_b32 v10, v11, v12 offset1:8
	s_waitcnt vmcnt(0) expcnt(2) lgkmcnt(0)
	s_barrier
	buffer_gl0_inv
	v_cmp_gt_i32_e64 s2, s18, v9
	v_cmp_lt_i32_e64 s3, -1, v9
	s_delay_alu instid0(VALU_DEP_2)
	s_and_b32 s2, vcc_lo, s2
	s_delay_alu instid0(VALU_DEP_1) | instid1(SALU_CYCLE_1)
	s_and_b32 s3, s2, s3
	s_delay_alu instid0(SALU_CYCLE_1)
	s_and_saveexec_b32 s2, s3
	s_cbranch_execz .LBB202_2
; %bb.1:
	v_lshlrev_b32_e32 v9, 2, v9
	ds_load_b32 v9, v9
.LBB202_2:
	s_or_b32 exec_lo, exec_lo, s2
	s_cmp_lt_i32 s9, 1
	s_cbranch_scc1 .LBB202_13
; %bb.3:
	s_clause 0x1
	s_load_b128 s[4:7], s[0:1], 0x0
	s_load_b64 s[22:23], s[0:1], 0x18
	s_add_i32 s1, s10, 15
	v_lshrrev_b32_e32 v10, 16, v5
	s_ashr_i32 s2, s1, 31
	v_lshrrev_b32_e32 v11, 16, v6
	s_lshr_b32 s2, s2, 28
	v_lshrrev_b32_e32 v12, 16, v7
	v_lshrrev_b32_e32 v13, 16, v8
	;; [unrolled: 1-line block ×7, first 2 shown]
	v_and_b32_e32 v22, 15, v0
	s_add_i32 s11, s10, 3
	s_add_i32 s1, s1, s2
	s_ashr_i32 s2, s11, 31
	s_movk_i32 s0, 0x7c
	s_ashr_i32 s1, s1, 4
	s_lshr_b32 s2, s2, 30
	v_cvt_f32_f16_e32 v5, v5
	v_cvt_f32_f16_e32 v10, v10
	;; [unrolled: 1-line block ×16, first 2 shown]
	v_lshlrev_b32_e32 v18, 4, v0
	v_lshlrev_b32_e32 v19, 6, v0
	v_cmp_eq_u32_e32 vcc_lo, 31, v20
	v_and_or_b32 v20, v21, s0, 0x1000
	v_lshl_or_b32 v21, v22, 2, 0x1000
	v_cmp_eq_u32_e64 s0, 0, v0
	v_cmp_gt_u32_e64 s1, s1, v0
	v_mov_b32_e32 v0, 0
	s_add_i32 s11, s11, s2
	s_lshl_b32 s14, s10, 2
	s_mov_b32 s3, 0
	s_and_b32 s18, s11, -4
	s_mov_b32 s11, 0x76543210
	s_branch .LBB202_6
.LBB202_4:                              ;   in Loop: Header=BB202_6 Depth=1
	s_or_b32 exec_lo, exec_lo, s2
.LBB202_5:                              ;   in Loop: Header=BB202_6 Depth=1
	s_add_i32 s3, s3, 1
	s_add_i32 s20, s20, s8
	s_cmp_eq_u32 s9, s3
	s_cbranch_scc1 .LBB202_13
.LBB202_6:                              ; =>This Inner Loop Header: Depth=1
	s_waitcnt lgkmcnt(0)
	v_readlane_b32 s2, v9, s3
	s_delay_alu instid0(VALU_DEP_1)
	s_cmp_lt_i32 s2, 0
	s_cbranch_scc1 .LBB202_5
; %bb.7:                                ;   in Loop: Header=BB202_6 Depth=1
	s_mul_i32 s12, s2, s10
	s_delay_alu instid0(SALU_CYCLE_1) | instskip(NEXT) | instid1(SALU_CYCLE_1)
	s_ashr_i32 s13, s12, 31
	s_lshl_b64 s[12:13], s[12:13], 2
	s_delay_alu instid0(SALU_CYCLE_1) | instskip(SKIP_1) | instid1(SALU_CYCLE_1)
	s_add_u32 s12, s22, s12
	s_addc_u32 s2, s23, s13
	s_and_b32 s13, s2, 0xffff
	s_clause 0x3
	buffer_load_b128 v[22:25], v19, s[12:15], 0 offen
	buffer_load_b128 v[26:29], v19, s[12:15], 16 offen
	buffer_load_b128 v[38:41], v19, s[12:15], 32 offen
	buffer_load_b128 v[42:45], v19, s[12:15], 48 offen
	s_waitcnt vmcnt(3)
	v_dual_mul_f32 v36, v22, v5 :: v_dual_mul_f32 v37, v23, v10
	v_dual_mul_f32 v30, v24, v6 :: v_dual_mul_f32 v31, v25, v11
	s_waitcnt vmcnt(2)
	v_dual_mul_f32 v32, v26, v7 :: v_dual_mul_f32 v33, v27, v12
	s_delay_alu instid0(VALU_DEP_3) | instskip(SKIP_3) | instid1(VALU_DEP_3)
	v_max3_f32 v22, |v36|, 0x2edbe6ff, |v37|
	v_dual_mul_f32 v34, v28, v8 :: v_dual_mul_f32 v35, v29, v13
	s_waitcnt vmcnt(1)
	v_dual_mul_f32 v27, v38, v1 :: v_dual_mul_f32 v28, v39, v14
	v_max3_f32 v22, v22, |v30|, |v31|
	s_waitcnt vmcnt(0)
	v_mul_f32_e32 v25, v42, v3
	v_dual_mul_f32 v29, v43, v16 :: v_dual_mul_f32 v26, v45, v17
	v_mul_f32_e32 v23, v41, v15
	v_max3_f32 v22, v22, |v32|, |v33|
	s_delay_alu instid0(VALU_DEP_1) | instskip(SKIP_1) | instid1(VALU_DEP_2)
	v_max3_f32 v24, v22, |v34|, |v35|
	v_mul_f32_e32 v22, v40, v2
	v_max3_f32 v24, v24, |v27|, |v28|
	s_delay_alu instid0(VALU_DEP_1) | instskip(SKIP_1) | instid1(VALU_DEP_2)
	v_max3_f32 v38, v24, |v22|, |v23|
	v_mul_f32_e32 v24, v44, v4
	v_max3_f32 v38, v38, |v25|, |v29|
	s_delay_alu instid0(VALU_DEP_1) | instskip(NEXT) | instid1(VALU_DEP_1)
	v_max3_f32 v38, v38, |v24|, |v26|
	v_mov_b32_dpp v39, v38 quad_perm:[1,0,3,2] row_mask:0xf bank_mask:0xf
	s_delay_alu instid0(VALU_DEP_1) | instskip(NEXT) | instid1(VALU_DEP_1)
	v_cmp_gt_f32_e64 s2, v38, v39
	v_cndmask_b32_e64 v38, v39, v38, s2
	s_delay_alu instid0(VALU_DEP_1) | instskip(NEXT) | instid1(VALU_DEP_1)
	v_mov_b32_dpp v39, v38 quad_perm:[2,3,0,1] row_mask:0xf bank_mask:0xf
	v_cmp_gt_f32_e64 s2, v38, v39
	s_delay_alu instid0(VALU_DEP_1) | instskip(NEXT) | instid1(VALU_DEP_1)
	v_cndmask_b32_e64 v38, v39, v38, s2
	v_mov_b32_dpp v39, v38 row_xmask:7 row_mask:0xf bank_mask:0xf
	s_delay_alu instid0(VALU_DEP_1) | instskip(NEXT) | instid1(VALU_DEP_1)
	v_cmp_gt_f32_e64 s2, v38, v39
	v_cndmask_b32_e64 v38, v39, v38, s2
	s_delay_alu instid0(VALU_DEP_1) | instskip(NEXT) | instid1(VALU_DEP_1)
	v_mov_b32_dpp v39, v38 row_xmask:15 row_mask:0xf bank_mask:0xf
	v_cmp_gt_f32_e64 s2, v38, v39
	s_and_saveexec_b32 s12, vcc_lo
	s_cbranch_execz .LBB202_9
; %bb.8:                                ;   in Loop: Header=BB202_6 Depth=1
	s_delay_alu instid0(VALU_DEP_1) | instskip(NEXT) | instid1(VALU_DEP_1)
	v_cndmask_b32_e64 v38, v39, v38, s2
	v_permlanex16_b32 v39, v38, s11, 0xfedcba98 op_sel:[1,1]
	s_delay_alu instid0(VALU_DEP_1) | instskip(NEXT) | instid1(VALU_DEP_1)
	v_cmp_gt_f32_e64 s2, v38, v39
	v_cndmask_b32_e64 v38, v39, v38, s2
	ds_store_b32 v20, v38
.LBB202_9:                              ;   in Loop: Header=BB202_6 Depth=1
	s_or_b32 exec_lo, exec_lo, s12
	s_waitcnt lgkmcnt(0)
	s_waitcnt_vscnt null, 0x0
	s_barrier
	buffer_gl0_inv
	ds_load_b32 v38, v21
	s_waitcnt lgkmcnt(0)
	v_mov_b32_dpp v39, v38 quad_perm:[1,0,3,2] row_mask:0xf bank_mask:0xf
	s_delay_alu instid0(VALU_DEP_1) | instskip(NEXT) | instid1(VALU_DEP_1)
	v_cmp_gt_f32_e64 s2, v38, v39
	v_cndmask_b32_e64 v38, v39, v38, s2
	s_delay_alu instid0(VALU_DEP_1) | instskip(NEXT) | instid1(VALU_DEP_1)
	v_mov_b32_dpp v39, v38 quad_perm:[2,3,0,1] row_mask:0xf bank_mask:0xf
	v_cmp_gt_f32_e64 s2, v38, v39
	s_delay_alu instid0(VALU_DEP_1) | instskip(NEXT) | instid1(VALU_DEP_1)
	v_cndmask_b32_e64 v38, v39, v38, s2
	v_mov_b32_dpp v39, v38 row_xmask:7 row_mask:0xf bank_mask:0xf
	s_delay_alu instid0(VALU_DEP_1) | instskip(NEXT) | instid1(VALU_DEP_1)
	v_cmp_gt_f32_e64 s2, v38, v39
	v_cndmask_b32_e64 v38, v39, v38, s2
	s_delay_alu instid0(VALU_DEP_1) | instskip(NEXT) | instid1(VALU_DEP_1)
	v_mov_b32_dpp v39, v38 row_xmask:15 row_mask:0xf bank_mask:0xf
	v_cmp_gt_f32_e64 s2, v38, v39
	s_delay_alu instid0(VALU_DEP_1) | instskip(NEXT) | instid1(VALU_DEP_1)
	v_cndmask_b32_e64 v38, v39, v38, s2
	v_mul_f32_e32 v38, 0x3c010204, v38
	s_and_saveexec_b32 s2, s0
	s_cbranch_execz .LBB202_11
; %bb.10:                               ;   in Loop: Header=BB202_6 Depth=1
	s_ashr_i32 s21, s20, 31
	s_delay_alu instid0(SALU_CYCLE_1) | instskip(NEXT) | instid1(SALU_CYCLE_1)
	s_lshl_b64 s[12:13], s[20:21], 2
	s_add_u32 s12, s6, s12
	s_addc_u32 s13, s7, s13
	global_store_b32 v0, v38, s[12:13]
.LBB202_11:                             ;   in Loop: Header=BB202_6 Depth=1
	s_or_b32 exec_lo, exec_lo, s2
	s_and_saveexec_b32 s2, s1
	s_cbranch_execz .LBB202_4
; %bb.12:                               ;   in Loop: Header=BB202_6 Depth=1
	v_rcp_f32_e32 v38, v38
	s_mul_i32 s12, s20, s10
	s_mul_hi_i32 s13, s20, s10
	s_add_u32 s16, s4, s12
	s_addc_u32 s12, s5, s13
	s_mov_b32 s19, s15
	s_and_b32 s17, s12, 0xffff
	s_waitcnt_depctr 0xfff
	v_mul_f32_e32 v29, v29, v38
	v_mul_f32_e32 v25, v25, v38
	;; [unrolled: 1-line block ×5, first 2 shown]
	v_cvt_i32_f32_e32 v29, v29
	v_cvt_i32_f32_e32 v25, v25
	v_mul_f32_e32 v36, v36, v38
	v_mul_f32_e32 v24, v24, v38
	v_cvt_i32_f32_e32 v27, v27
	v_lshlrev_b16 v29, 8, v29
	v_and_b32_e32 v25, 0xff, v25
	v_cvt_i32_f32_e32 v26, v26
	v_cvt_i32_f32_e32 v24, v24
	v_cvt_i32_f32_e32 v28, v28
	v_mul_f32_e32 v37, v37, v38
	v_or_b32_e32 v25, v25, v29
	v_mul_f32_e32 v32, v32, v38
	v_dual_mul_f32 v30, v30, v38 :: v_dual_and_b32 v27, 0xff, v27
	v_lshlrev_b16 v26, 8, v26
	v_and_b32_e32 v24, 0xff, v24
	v_lshlrev_b16 v28, 8, v28
	v_mul_f32_e32 v23, v23, v38
	v_dual_mul_f32 v22, v22, v38 :: v_dual_and_b32 v25, 0xffff, v25
	v_cvt_i32_f32_e32 v32, v32
	v_mul_f32_e32 v33, v33, v38
	v_or_b32_e32 v24, v24, v26
	v_or_b32_e32 v26, v27, v28
	v_cvt_i32_f32_e32 v23, v23
	v_and_b32_e32 v28, 0xff, v32
	v_cvt_i32_f32_e32 v33, v33
	v_cvt_i32_f32_e32 v22, v22
	v_dual_mul_f32 v31, v31, v38 :: v_dual_lshlrev_b32 v24, 16, v24
	v_lshlrev_b16 v23, 8, v23
	s_delay_alu instid0(VALU_DEP_4) | instskip(NEXT) | instid1(VALU_DEP_4)
	v_lshlrev_b16 v27, 8, v33
	v_and_b32_e32 v22, 0xff, v22
	v_cvt_i32_f32_e32 v36, v36
	v_mul_f32_e32 v35, v35, v38
	v_cvt_i32_f32_e32 v37, v37
	v_cvt_i32_f32_e32 v30, v30
	v_or_b32_e32 v22, v22, v23
	v_or_b32_e32 v23, v28, v27
	v_mul_f32_e32 v34, v34, v38
	v_cvt_i32_f32_e32 v31, v31
	v_lshlrev_b16 v33, 8, v37
	v_and_b32_e32 v30, 0xff, v30
	v_and_b32_e32 v23, 0xffff, v23
	v_cvt_i32_f32_e32 v34, v34
	v_lshlrev_b16 v31, 8, v31
	v_and_b32_e32 v26, 0xffff, v26
	v_lshlrev_b32_e32 v22, 16, v22
	v_or_b32_e32 v25, v25, v24
	v_and_b32_e32 v32, 0xff, v34
	v_and_b32_e32 v34, 0xff, v36
	v_cvt_i32_f32_e32 v35, v35
	v_or_b32_e32 v24, v26, v22
	s_delay_alu instid0(VALU_DEP_3) | instskip(NEXT) | instid1(VALU_DEP_3)
	v_or_b32_e32 v28, v34, v33
	v_lshlrev_b16 v29, 8, v35
	s_delay_alu instid0(VALU_DEP_2) | instskip(NEXT) | instid1(VALU_DEP_2)
	v_and_b32_e32 v28, 0xffff, v28
	v_or_b32_e32 v27, v32, v29
	v_or_b32_e32 v29, v30, v31
	s_delay_alu instid0(VALU_DEP_2) | instskip(NEXT) | instid1(VALU_DEP_2)
	v_lshlrev_b32_e32 v27, 16, v27
	v_lshlrev_b32_e32 v29, 16, v29
	s_delay_alu instid0(VALU_DEP_2) | instskip(NEXT) | instid1(VALU_DEP_2)
	v_or_b32_e32 v23, v23, v27
	v_or_b32_e32 v22, v28, v29
	buffer_store_b128 v[22:25], v18, s[16:19], 0 offen
	;;#ASMSTART
	s_nop 0
	;;#ASMEND
	s_branch .LBB202_4
.LBB202_13:
	s_nop 0
	s_sendmsg sendmsg(MSG_DEALLOC_VGPRS)
	s_endpgm
	.section	.rodata,"a",@progbits
	.p2align	6, 0x0
	.amdhsa_kernel _ZN5aiter43moe_smooth_per_token_scaled_quant_kernel_v1IDF16_aLi512ELi16ELb1ELb1ELi1024EEEvPT0_PfPT_S3_PiS6_iiiii
		.amdhsa_group_segment_fixed_size 4160
		.amdhsa_private_segment_fixed_size 0
		.amdhsa_kernarg_size 68
		.amdhsa_user_sgpr_count 15
		.amdhsa_user_sgpr_dispatch_ptr 0
		.amdhsa_user_sgpr_queue_ptr 0
		.amdhsa_user_sgpr_kernarg_segment_ptr 1
		.amdhsa_user_sgpr_dispatch_id 0
		.amdhsa_user_sgpr_private_segment_size 0
		.amdhsa_wavefront_size32 1
		.amdhsa_uses_dynamic_stack 0
		.amdhsa_enable_private_segment 0
		.amdhsa_system_sgpr_workgroup_id_x 1
		.amdhsa_system_sgpr_workgroup_id_y 0
		.amdhsa_system_sgpr_workgroup_id_z 0
		.amdhsa_system_sgpr_workgroup_info 0
		.amdhsa_system_vgpr_workitem_id 0
		.amdhsa_next_free_vgpr 46
		.amdhsa_next_free_sgpr 24
		.amdhsa_reserve_vcc 1
		.amdhsa_float_round_mode_32 0
		.amdhsa_float_round_mode_16_64 0
		.amdhsa_float_denorm_mode_32 3
		.amdhsa_float_denorm_mode_16_64 3
		.amdhsa_dx10_clamp 1
		.amdhsa_ieee_mode 1
		.amdhsa_fp16_overflow 0
		.amdhsa_workgroup_processor_mode 1
		.amdhsa_memory_ordered 1
		.amdhsa_forward_progress 0
		.amdhsa_shared_vgpr_count 0
		.amdhsa_exception_fp_ieee_invalid_op 0
		.amdhsa_exception_fp_denorm_src 0
		.amdhsa_exception_fp_ieee_div_zero 0
		.amdhsa_exception_fp_ieee_overflow 0
		.amdhsa_exception_fp_ieee_underflow 0
		.amdhsa_exception_fp_ieee_inexact 0
		.amdhsa_exception_int_div_zero 0
	.end_amdhsa_kernel
	.section	.text._ZN5aiter43moe_smooth_per_token_scaled_quant_kernel_v1IDF16_aLi512ELi16ELb1ELb1ELi1024EEEvPT0_PfPT_S3_PiS6_iiiii,"axG",@progbits,_ZN5aiter43moe_smooth_per_token_scaled_quant_kernel_v1IDF16_aLi512ELi16ELb1ELb1ELi1024EEEvPT0_PfPT_S3_PiS6_iiiii,comdat
.Lfunc_end202:
	.size	_ZN5aiter43moe_smooth_per_token_scaled_quant_kernel_v1IDF16_aLi512ELi16ELb1ELb1ELi1024EEEvPT0_PfPT_S3_PiS6_iiiii, .Lfunc_end202-_ZN5aiter43moe_smooth_per_token_scaled_quant_kernel_v1IDF16_aLi512ELi16ELb1ELb1ELi1024EEEvPT0_PfPT_S3_PiS6_iiiii
                                        ; -- End function
	.section	.AMDGPU.csdata,"",@progbits
; Kernel info:
; codeLenInByte = 1644
; NumSgprs: 26
; NumVgprs: 46
; ScratchSize: 0
; MemoryBound: 0
; FloatMode: 240
; IeeeMode: 1
; LDSByteSize: 4160 bytes/workgroup (compile time only)
; SGPRBlocks: 3
; VGPRBlocks: 5
; NumSGPRsForWavesPerEU: 26
; NumVGPRsForWavesPerEU: 46
; Occupancy: 16
; WaveLimiterHint : 0
; COMPUTE_PGM_RSRC2:SCRATCH_EN: 0
; COMPUTE_PGM_RSRC2:USER_SGPR: 15
; COMPUTE_PGM_RSRC2:TRAP_HANDLER: 0
; COMPUTE_PGM_RSRC2:TGID_X_EN: 1
; COMPUTE_PGM_RSRC2:TGID_Y_EN: 0
; COMPUTE_PGM_RSRC2:TGID_Z_EN: 0
; COMPUTE_PGM_RSRC2:TIDIG_COMP_CNT: 0
	.section	.text._ZN5aiter43moe_smooth_per_token_scaled_quant_kernel_v1ItaLi512ELi16ELb1ELb1ELi1024EEEvPT0_PfPT_S3_PiS6_iiiii,"axG",@progbits,_ZN5aiter43moe_smooth_per_token_scaled_quant_kernel_v1ItaLi512ELi16ELb1ELb1ELi1024EEEvPT0_PfPT_S3_PiS6_iiiii,comdat
	.protected	_ZN5aiter43moe_smooth_per_token_scaled_quant_kernel_v1ItaLi512ELi16ELb1ELb1ELi1024EEEvPT0_PfPT_S3_PiS6_iiiii ; -- Begin function _ZN5aiter43moe_smooth_per_token_scaled_quant_kernel_v1ItaLi512ELi16ELb1ELb1ELi1024EEEvPT0_PfPT_S3_PiS6_iiiii
	.globl	_ZN5aiter43moe_smooth_per_token_scaled_quant_kernel_v1ItaLi512ELi16ELb1ELb1ELi1024EEEvPT0_PfPT_S3_PiS6_iiiii
	.p2align	8
	.type	_ZN5aiter43moe_smooth_per_token_scaled_quant_kernel_v1ItaLi512ELi16ELb1ELb1ELi1024EEEvPT0_PfPT_S3_PiS6_iiiii,@function
_ZN5aiter43moe_smooth_per_token_scaled_quant_kernel_v1ItaLi512ELi16ELb1ELb1ELi1024EEEvPT0_PfPT_S3_PiS6_iiiii: ; @_ZN5aiter43moe_smooth_per_token_scaled_quant_kernel_v1ItaLi512ELi16ELb1ELb1ELi1024EEEvPT0_PfPT_S3_PiS6_iiiii
; %bb.0:
	s_clause 0x2
	s_load_b32 s18, s[0:1], 0x40
	s_load_b256 s[4:11], s[0:1], 0x20
	s_load_b64 s[2:3], s[0:1], 0x10
	s_mov_b32 s20, s15
	v_and_b32_e32 v20, 31, v0
	v_lshlrev_b32_e32 v10, 2, v0
	s_mov_b32 s15, -1
	s_delay_alu instid0(VALU_DEP_2)
	v_lshlrev_b32_e32 v1, 2, v20
	s_waitcnt lgkmcnt(0)
	s_lshl_b32 s14, s18, 2
	s_mul_i32 s16, s20, s9
	s_and_b32 s13, s7, 0xffff
	s_ashr_i32 s17, s16, 31
	s_mov_b32 s12, s6
	s_lshl_b64 s[16:17], s[16:17], 2
	s_clause 0x1
	buffer_load_b32 v11, v10, s[12:15], 0 offen
	buffer_load_b32 v12, v10, s[12:15], 0 offen offset:2048
	s_add_u32 s12, s4, s16
	s_addc_u32 s4, s5, s17
	s_lshl_b32 s14, s9, 2
	s_and_b32 s13, s4, 0xffff
	s_mul_hi_i32 s7, s11, s20
	s_mul_i32 s6, s11, s20
	buffer_load_b32 v9, v1, s[12:15], 0 offen
	s_lshl_b64 s[4:5], s[6:7], 1
	v_lshlrev_b32_e32 v1, 5, v0
	s_add_u32 s12, s2, s4
	s_addc_u32 s2, s3, s5
	s_lshl_b32 s14, s10, 1
	s_and_b32 s13, s2, 0xffff
	s_clause 0x1
	buffer_load_b128 v[5:8], v1, s[12:15], 0 offen
	buffer_load_b128 v[1:4], v1, s[12:15], 16 offen
	v_cmp_gt_i32_e32 vcc_lo, s9, v20
	s_waitcnt vmcnt(3)
	ds_store_2addr_stride64_b32 v10, v11, v12 offset1:8
	s_waitcnt vmcnt(0) expcnt(2) lgkmcnt(0)
	s_barrier
	buffer_gl0_inv
	v_cmp_gt_i32_e64 s2, s18, v9
	v_cmp_lt_i32_e64 s3, -1, v9
	s_delay_alu instid0(VALU_DEP_2)
	s_and_b32 s2, vcc_lo, s2
	s_delay_alu instid0(VALU_DEP_1) | instid1(SALU_CYCLE_1)
	s_and_b32 s3, s2, s3
	s_delay_alu instid0(SALU_CYCLE_1)
	s_and_saveexec_b32 s2, s3
	s_cbranch_execz .LBB203_2
; %bb.1:
	v_lshlrev_b32_e32 v9, 2, v9
	ds_load_b32 v9, v9
.LBB203_2:
	s_or_b32 exec_lo, exec_lo, s2
	s_cmp_lt_i32 s9, 1
	s_cbranch_scc1 .LBB203_13
; %bb.3:
	v_and_b32_e32 v10, 0xffff, v5
	s_clause 0x1
	s_load_b128 s[4:7], s[0:1], 0x0
	s_load_b64 s[22:23], s[0:1], 0x18
	v_lshrrev_b32_e32 v11, 16, v5
	v_and_b32_e32 v12, 0xffff, v6
	v_and_b32_e32 v13, 0xffff, v7
	v_lshrrev_b32_e32 v14, 16, v7
	v_cvt_f32_u32_e32 v5, v10
	v_lshrrev_b32_e32 v10, 16, v6
	v_cvt_f32_u32_e32 v6, v11
	v_cvt_f32_u32_e32 v7, v12
	;; [unrolled: 1-line block ×4, first 2 shown]
	v_and_b32_e32 v13, 0xffff, v8
	v_and_b32_e32 v14, 0xffff, v1
	v_lshrrev_b32_e32 v15, 16, v1
	v_and_b32_e32 v16, 0xffff, v2
	s_add_i32 s1, s10, 15
	v_lshrrev_b32_e32 v8, 16, v8
	s_ashr_i32 s2, s1, 31
	v_cvt_f32_u32_e32 v1, v13
	s_lshr_b32 s2, s2, 28
	v_cvt_f32_u32_e32 v13, v14
	v_cvt_f32_u32_e32 v14, v15
	;; [unrolled: 1-line block ×3, first 2 shown]
	v_lshrrev_b32_e32 v2, 16, v2
	v_and_b32_e32 v16, 0xffff, v3
	v_lshrrev_b32_e32 v17, 16, v3
	v_and_b32_e32 v18, 0xffff, v4
	v_lshrrev_b32_e32 v19, 16, v4
	v_lshrrev_b32_e32 v21, 3, v0
	v_and_b32_e32 v22, 15, v0
	s_add_i32 s11, s10, 3
	s_add_i32 s1, s1, s2
	s_ashr_i32 s2, s11, 31
	s_movk_i32 s0, 0x7c
	s_ashr_i32 s1, s1, 4
	s_lshr_b32 s2, s2, 30
	v_cvt_f32_u32_e32 v10, v10
	v_cvt_f32_u32_e32 v8, v8
	v_cvt_f32_u32_e32 v2, v2
	v_cvt_f32_u32_e32 v3, v16
	v_cvt_f32_u32_e32 v4, v17
	v_cvt_f32_u32_e32 v16, v18
	v_cvt_f32_u32_e32 v17, v19
	v_lshlrev_b32_e32 v18, 4, v0
	v_lshlrev_b32_e32 v19, 6, v0
	v_cmp_eq_u32_e32 vcc_lo, 31, v20
	v_and_or_b32 v20, v21, s0, 0x1000
	v_lshl_or_b32 v21, v22, 2, 0x1000
	v_cmp_eq_u32_e64 s0, 0, v0
	v_cmp_gt_u32_e64 s1, s1, v0
	v_mov_b32_e32 v0, 0
	s_add_i32 s11, s11, s2
	s_lshl_b32 s14, s10, 2
	s_mov_b32 s3, 0
	s_and_b32 s18, s11, -4
	s_mov_b32 s11, 0x76543210
	s_branch .LBB203_6
.LBB203_4:                              ;   in Loop: Header=BB203_6 Depth=1
	s_or_b32 exec_lo, exec_lo, s2
.LBB203_5:                              ;   in Loop: Header=BB203_6 Depth=1
	s_add_i32 s3, s3, 1
	s_add_i32 s20, s20, s8
	s_cmp_eq_u32 s9, s3
	s_cbranch_scc1 .LBB203_13
.LBB203_6:                              ; =>This Inner Loop Header: Depth=1
	s_waitcnt lgkmcnt(0)
	v_readlane_b32 s2, v9, s3
	s_delay_alu instid0(VALU_DEP_1)
	s_cmp_lt_i32 s2, 0
	s_cbranch_scc1 .LBB203_5
; %bb.7:                                ;   in Loop: Header=BB203_6 Depth=1
	s_mul_i32 s12, s2, s10
	s_delay_alu instid0(SALU_CYCLE_1) | instskip(NEXT) | instid1(SALU_CYCLE_1)
	s_ashr_i32 s13, s12, 31
	s_lshl_b64 s[12:13], s[12:13], 2
	s_delay_alu instid0(SALU_CYCLE_1) | instskip(SKIP_1) | instid1(SALU_CYCLE_1)
	s_add_u32 s12, s22, s12
	s_addc_u32 s2, s23, s13
	s_and_b32 s13, s2, 0xffff
	s_clause 0x3
	buffer_load_b128 v[22:25], v19, s[12:15], 0 offen
	buffer_load_b128 v[26:29], v19, s[12:15], 16 offen
	;; [unrolled: 1-line block ×4, first 2 shown]
	s_waitcnt vmcnt(3)
	v_dual_mul_f32 v36, v22, v5 :: v_dual_mul_f32 v37, v23, v6
	v_dual_mul_f32 v30, v24, v7 :: v_dual_mul_f32 v31, v25, v10
	s_waitcnt vmcnt(2)
	v_dual_mul_f32 v32, v26, v11 :: v_dual_mul_f32 v33, v27, v12
	s_delay_alu instid0(VALU_DEP_3) | instskip(SKIP_3) | instid1(VALU_DEP_3)
	v_max3_f32 v22, |v36|, 0x2edbe6ff, |v37|
	v_dual_mul_f32 v34, v28, v1 :: v_dual_mul_f32 v35, v29, v8
	s_waitcnt vmcnt(1)
	v_dual_mul_f32 v27, v38, v13 :: v_dual_mul_f32 v28, v39, v14
	v_max3_f32 v22, v22, |v30|, |v31|
	s_waitcnt vmcnt(0)
	v_mul_f32_e32 v25, v42, v3
	v_dual_mul_f32 v29, v43, v4 :: v_dual_mul_f32 v26, v45, v17
	v_mul_f32_e32 v23, v41, v2
	v_max3_f32 v22, v22, |v32|, |v33|
	s_delay_alu instid0(VALU_DEP_1) | instskip(SKIP_1) | instid1(VALU_DEP_2)
	v_max3_f32 v24, v22, |v34|, |v35|
	v_mul_f32_e32 v22, v40, v15
	v_max3_f32 v24, v24, |v27|, |v28|
	s_delay_alu instid0(VALU_DEP_1) | instskip(SKIP_1) | instid1(VALU_DEP_2)
	v_max3_f32 v38, v24, |v22|, |v23|
	v_mul_f32_e32 v24, v44, v16
	v_max3_f32 v38, v38, |v25|, |v29|
	s_delay_alu instid0(VALU_DEP_1) | instskip(NEXT) | instid1(VALU_DEP_1)
	v_max3_f32 v38, v38, |v24|, |v26|
	v_mov_b32_dpp v39, v38 quad_perm:[1,0,3,2] row_mask:0xf bank_mask:0xf
	s_delay_alu instid0(VALU_DEP_1) | instskip(NEXT) | instid1(VALU_DEP_1)
	v_cmp_gt_f32_e64 s2, v38, v39
	v_cndmask_b32_e64 v38, v39, v38, s2
	s_delay_alu instid0(VALU_DEP_1) | instskip(NEXT) | instid1(VALU_DEP_1)
	v_mov_b32_dpp v39, v38 quad_perm:[2,3,0,1] row_mask:0xf bank_mask:0xf
	v_cmp_gt_f32_e64 s2, v38, v39
	s_delay_alu instid0(VALU_DEP_1) | instskip(NEXT) | instid1(VALU_DEP_1)
	v_cndmask_b32_e64 v38, v39, v38, s2
	v_mov_b32_dpp v39, v38 row_xmask:7 row_mask:0xf bank_mask:0xf
	s_delay_alu instid0(VALU_DEP_1) | instskip(NEXT) | instid1(VALU_DEP_1)
	v_cmp_gt_f32_e64 s2, v38, v39
	v_cndmask_b32_e64 v38, v39, v38, s2
	s_delay_alu instid0(VALU_DEP_1) | instskip(NEXT) | instid1(VALU_DEP_1)
	v_mov_b32_dpp v39, v38 row_xmask:15 row_mask:0xf bank_mask:0xf
	v_cmp_gt_f32_e64 s2, v38, v39
	s_and_saveexec_b32 s12, vcc_lo
	s_cbranch_execz .LBB203_9
; %bb.8:                                ;   in Loop: Header=BB203_6 Depth=1
	s_delay_alu instid0(VALU_DEP_1) | instskip(NEXT) | instid1(VALU_DEP_1)
	v_cndmask_b32_e64 v38, v39, v38, s2
	v_permlanex16_b32 v39, v38, s11, 0xfedcba98 op_sel:[1,1]
	s_delay_alu instid0(VALU_DEP_1) | instskip(NEXT) | instid1(VALU_DEP_1)
	v_cmp_gt_f32_e64 s2, v38, v39
	v_cndmask_b32_e64 v38, v39, v38, s2
	ds_store_b32 v20, v38
.LBB203_9:                              ;   in Loop: Header=BB203_6 Depth=1
	s_or_b32 exec_lo, exec_lo, s12
	s_waitcnt lgkmcnt(0)
	s_waitcnt_vscnt null, 0x0
	s_barrier
	buffer_gl0_inv
	ds_load_b32 v38, v21
	s_waitcnt lgkmcnt(0)
	v_mov_b32_dpp v39, v38 quad_perm:[1,0,3,2] row_mask:0xf bank_mask:0xf
	s_delay_alu instid0(VALU_DEP_1) | instskip(NEXT) | instid1(VALU_DEP_1)
	v_cmp_gt_f32_e64 s2, v38, v39
	v_cndmask_b32_e64 v38, v39, v38, s2
	s_delay_alu instid0(VALU_DEP_1) | instskip(NEXT) | instid1(VALU_DEP_1)
	v_mov_b32_dpp v39, v38 quad_perm:[2,3,0,1] row_mask:0xf bank_mask:0xf
	v_cmp_gt_f32_e64 s2, v38, v39
	s_delay_alu instid0(VALU_DEP_1) | instskip(NEXT) | instid1(VALU_DEP_1)
	v_cndmask_b32_e64 v38, v39, v38, s2
	v_mov_b32_dpp v39, v38 row_xmask:7 row_mask:0xf bank_mask:0xf
	s_delay_alu instid0(VALU_DEP_1) | instskip(NEXT) | instid1(VALU_DEP_1)
	v_cmp_gt_f32_e64 s2, v38, v39
	v_cndmask_b32_e64 v38, v39, v38, s2
	s_delay_alu instid0(VALU_DEP_1) | instskip(NEXT) | instid1(VALU_DEP_1)
	v_mov_b32_dpp v39, v38 row_xmask:15 row_mask:0xf bank_mask:0xf
	v_cmp_gt_f32_e64 s2, v38, v39
	s_delay_alu instid0(VALU_DEP_1) | instskip(NEXT) | instid1(VALU_DEP_1)
	v_cndmask_b32_e64 v38, v39, v38, s2
	v_mul_f32_e32 v38, 0x3c010204, v38
	s_and_saveexec_b32 s2, s0
	s_cbranch_execz .LBB203_11
; %bb.10:                               ;   in Loop: Header=BB203_6 Depth=1
	s_ashr_i32 s21, s20, 31
	s_delay_alu instid0(SALU_CYCLE_1) | instskip(NEXT) | instid1(SALU_CYCLE_1)
	s_lshl_b64 s[12:13], s[20:21], 2
	s_add_u32 s12, s6, s12
	s_addc_u32 s13, s7, s13
	global_store_b32 v0, v38, s[12:13]
.LBB203_11:                             ;   in Loop: Header=BB203_6 Depth=1
	s_or_b32 exec_lo, exec_lo, s2
	s_and_saveexec_b32 s2, s1
	s_cbranch_execz .LBB203_4
; %bb.12:                               ;   in Loop: Header=BB203_6 Depth=1
	v_rcp_f32_e32 v38, v38
	s_mul_i32 s12, s20, s10
	s_mul_hi_i32 s13, s20, s10
	s_add_u32 s16, s4, s12
	s_addc_u32 s12, s5, s13
	s_mov_b32 s19, s15
	s_and_b32 s17, s12, 0xffff
	s_waitcnt_depctr 0xfff
	v_mul_f32_e32 v29, v29, v38
	v_mul_f32_e32 v25, v25, v38
	;; [unrolled: 1-line block ×5, first 2 shown]
	v_cvt_i32_f32_e32 v29, v29
	v_cvt_i32_f32_e32 v25, v25
	v_mul_f32_e32 v36, v36, v38
	v_mul_f32_e32 v24, v24, v38
	v_cvt_i32_f32_e32 v27, v27
	v_lshlrev_b16 v29, 8, v29
	v_and_b32_e32 v25, 0xff, v25
	v_cvt_i32_f32_e32 v26, v26
	v_cvt_i32_f32_e32 v24, v24
	;; [unrolled: 1-line block ×3, first 2 shown]
	v_mul_f32_e32 v37, v37, v38
	v_or_b32_e32 v25, v25, v29
	v_mul_f32_e32 v32, v32, v38
	v_dual_mul_f32 v30, v30, v38 :: v_dual_and_b32 v27, 0xff, v27
	v_lshlrev_b16 v26, 8, v26
	v_and_b32_e32 v24, 0xff, v24
	v_lshlrev_b16 v28, 8, v28
	v_mul_f32_e32 v23, v23, v38
	v_dual_mul_f32 v22, v22, v38 :: v_dual_and_b32 v25, 0xffff, v25
	v_cvt_i32_f32_e32 v32, v32
	v_mul_f32_e32 v33, v33, v38
	v_or_b32_e32 v24, v24, v26
	v_or_b32_e32 v26, v27, v28
	v_cvt_i32_f32_e32 v23, v23
	v_and_b32_e32 v28, 0xff, v32
	v_cvt_i32_f32_e32 v33, v33
	v_cvt_i32_f32_e32 v22, v22
	v_dual_mul_f32 v31, v31, v38 :: v_dual_lshlrev_b32 v24, 16, v24
	v_lshlrev_b16 v23, 8, v23
	s_delay_alu instid0(VALU_DEP_4) | instskip(NEXT) | instid1(VALU_DEP_4)
	v_lshlrev_b16 v27, 8, v33
	v_and_b32_e32 v22, 0xff, v22
	v_cvt_i32_f32_e32 v36, v36
	v_mul_f32_e32 v35, v35, v38
	v_cvt_i32_f32_e32 v37, v37
	v_cvt_i32_f32_e32 v30, v30
	v_or_b32_e32 v22, v22, v23
	v_or_b32_e32 v23, v28, v27
	v_mul_f32_e32 v34, v34, v38
	v_cvt_i32_f32_e32 v31, v31
	v_lshlrev_b16 v33, 8, v37
	v_and_b32_e32 v30, 0xff, v30
	v_and_b32_e32 v23, 0xffff, v23
	v_cvt_i32_f32_e32 v34, v34
	v_lshlrev_b16 v31, 8, v31
	v_and_b32_e32 v26, 0xffff, v26
	v_lshlrev_b32_e32 v22, 16, v22
	v_or_b32_e32 v25, v25, v24
	v_and_b32_e32 v32, 0xff, v34
	v_and_b32_e32 v34, 0xff, v36
	v_cvt_i32_f32_e32 v35, v35
	v_or_b32_e32 v24, v26, v22
	s_delay_alu instid0(VALU_DEP_3) | instskip(NEXT) | instid1(VALU_DEP_3)
	v_or_b32_e32 v28, v34, v33
	v_lshlrev_b16 v29, 8, v35
	s_delay_alu instid0(VALU_DEP_2) | instskip(NEXT) | instid1(VALU_DEP_2)
	v_and_b32_e32 v28, 0xffff, v28
	v_or_b32_e32 v27, v32, v29
	v_or_b32_e32 v29, v30, v31
	s_delay_alu instid0(VALU_DEP_2) | instskip(NEXT) | instid1(VALU_DEP_2)
	v_lshlrev_b32_e32 v27, 16, v27
	v_lshlrev_b32_e32 v29, 16, v29
	s_delay_alu instid0(VALU_DEP_2) | instskip(NEXT) | instid1(VALU_DEP_2)
	v_or_b32_e32 v23, v23, v27
	v_or_b32_e32 v22, v28, v29
	buffer_store_b128 v[22:25], v18, s[16:19], 0 offen
	;;#ASMSTART
	s_nop 0
	;;#ASMEND
	s_branch .LBB203_4
.LBB203_13:
	s_nop 0
	s_sendmsg sendmsg(MSG_DEALLOC_VGPRS)
	s_endpgm
	.section	.rodata,"a",@progbits
	.p2align	6, 0x0
	.amdhsa_kernel _ZN5aiter43moe_smooth_per_token_scaled_quant_kernel_v1ItaLi512ELi16ELb1ELb1ELi1024EEEvPT0_PfPT_S3_PiS6_iiiii
		.amdhsa_group_segment_fixed_size 4160
		.amdhsa_private_segment_fixed_size 0
		.amdhsa_kernarg_size 68
		.amdhsa_user_sgpr_count 15
		.amdhsa_user_sgpr_dispatch_ptr 0
		.amdhsa_user_sgpr_queue_ptr 0
		.amdhsa_user_sgpr_kernarg_segment_ptr 1
		.amdhsa_user_sgpr_dispatch_id 0
		.amdhsa_user_sgpr_private_segment_size 0
		.amdhsa_wavefront_size32 1
		.amdhsa_uses_dynamic_stack 0
		.amdhsa_enable_private_segment 0
		.amdhsa_system_sgpr_workgroup_id_x 1
		.amdhsa_system_sgpr_workgroup_id_y 0
		.amdhsa_system_sgpr_workgroup_id_z 0
		.amdhsa_system_sgpr_workgroup_info 0
		.amdhsa_system_vgpr_workitem_id 0
		.amdhsa_next_free_vgpr 46
		.amdhsa_next_free_sgpr 24
		.amdhsa_reserve_vcc 1
		.amdhsa_float_round_mode_32 0
		.amdhsa_float_round_mode_16_64 0
		.amdhsa_float_denorm_mode_32 3
		.amdhsa_float_denorm_mode_16_64 3
		.amdhsa_dx10_clamp 1
		.amdhsa_ieee_mode 1
		.amdhsa_fp16_overflow 0
		.amdhsa_workgroup_processor_mode 1
		.amdhsa_memory_ordered 1
		.amdhsa_forward_progress 0
		.amdhsa_shared_vgpr_count 0
		.amdhsa_exception_fp_ieee_invalid_op 0
		.amdhsa_exception_fp_denorm_src 0
		.amdhsa_exception_fp_ieee_div_zero 0
		.amdhsa_exception_fp_ieee_overflow 0
		.amdhsa_exception_fp_ieee_underflow 0
		.amdhsa_exception_fp_ieee_inexact 0
		.amdhsa_exception_int_div_zero 0
	.end_amdhsa_kernel
	.section	.text._ZN5aiter43moe_smooth_per_token_scaled_quant_kernel_v1ItaLi512ELi16ELb1ELb1ELi1024EEEvPT0_PfPT_S3_PiS6_iiiii,"axG",@progbits,_ZN5aiter43moe_smooth_per_token_scaled_quant_kernel_v1ItaLi512ELi16ELb1ELb1ELi1024EEEvPT0_PfPT_S3_PiS6_iiiii,comdat
.Lfunc_end203:
	.size	_ZN5aiter43moe_smooth_per_token_scaled_quant_kernel_v1ItaLi512ELi16ELb1ELb1ELi1024EEEvPT0_PfPT_S3_PiS6_iiiii, .Lfunc_end203-_ZN5aiter43moe_smooth_per_token_scaled_quant_kernel_v1ItaLi512ELi16ELb1ELb1ELi1024EEEvPT0_PfPT_S3_PiS6_iiiii
                                        ; -- End function
	.section	.AMDGPU.csdata,"",@progbits
; Kernel info:
; codeLenInByte = 1708
; NumSgprs: 26
; NumVgprs: 46
; ScratchSize: 0
; MemoryBound: 0
; FloatMode: 240
; IeeeMode: 1
; LDSByteSize: 4160 bytes/workgroup (compile time only)
; SGPRBlocks: 3
; VGPRBlocks: 5
; NumSGPRsForWavesPerEU: 26
; NumVGPRsForWavesPerEU: 46
; Occupancy: 16
; WaveLimiterHint : 0
; COMPUTE_PGM_RSRC2:SCRATCH_EN: 0
; COMPUTE_PGM_RSRC2:USER_SGPR: 15
; COMPUTE_PGM_RSRC2:TRAP_HANDLER: 0
; COMPUTE_PGM_RSRC2:TGID_X_EN: 1
; COMPUTE_PGM_RSRC2:TGID_Y_EN: 0
; COMPUTE_PGM_RSRC2:TGID_Z_EN: 0
; COMPUTE_PGM_RSRC2:TIDIG_COMP_CNT: 0
	.section	.text._ZN5aiter43moe_smooth_per_token_scaled_quant_kernel_v1IDF16_aLi512ELi16ELb1ELb0ELi1024EEEvPT0_PfPT_S3_PiS6_iiiii,"axG",@progbits,_ZN5aiter43moe_smooth_per_token_scaled_quant_kernel_v1IDF16_aLi512ELi16ELb1ELb0ELi1024EEEvPT0_PfPT_S3_PiS6_iiiii,comdat
	.protected	_ZN5aiter43moe_smooth_per_token_scaled_quant_kernel_v1IDF16_aLi512ELi16ELb1ELb0ELi1024EEEvPT0_PfPT_S3_PiS6_iiiii ; -- Begin function _ZN5aiter43moe_smooth_per_token_scaled_quant_kernel_v1IDF16_aLi512ELi16ELb1ELb0ELi1024EEEvPT0_PfPT_S3_PiS6_iiiii
	.globl	_ZN5aiter43moe_smooth_per_token_scaled_quant_kernel_v1IDF16_aLi512ELi16ELb1ELb0ELi1024EEEvPT0_PfPT_S3_PiS6_iiiii
	.p2align	8
	.type	_ZN5aiter43moe_smooth_per_token_scaled_quant_kernel_v1IDF16_aLi512ELi16ELb1ELb0ELi1024EEEvPT0_PfPT_S3_PiS6_iiiii,@function
_ZN5aiter43moe_smooth_per_token_scaled_quant_kernel_v1IDF16_aLi512ELi16ELb1ELb0ELi1024EEEvPT0_PfPT_S3_PiS6_iiiii: ; @_ZN5aiter43moe_smooth_per_token_scaled_quant_kernel_v1IDF16_aLi512ELi16ELb1ELb0ELi1024EEEvPT0_PfPT_S3_PiS6_iiiii
; %bb.0:
	s_clause 0x2
	s_load_b128 s[4:7], s[0:1], 0x30
	s_load_b64 s[2:3], s[0:1], 0x20
	s_load_b64 s[12:13], s[0:1], 0x10
	v_and_b32_e32 v20, 31, v0
	s_mov_b32 s20, s15
	s_mov_b32 s11, -1
	v_lshlrev_b32_e32 v1, 5, v0
	s_delay_alu instid0(VALU_DEP_2)
	v_lshlrev_b32_e32 v2, 2, v20
	s_waitcnt lgkmcnt(0)
	s_mul_i32 s8, s15, s5
	s_mul_hi_i32 s15, s7, s15
	s_ashr_i32 s9, s8, 31
	s_mul_i32 s14, s7, s20
	s_lshl_b64 s[8:9], s[8:9], 2
	s_delay_alu instid0(SALU_CYCLE_1)
	s_add_u32 s8, s2, s8
	s_addc_u32 s2, s3, s9
	s_lshl_b32 s10, s5, 2
	s_and_b32 s9, s2, 0xffff
	s_lshl_b64 s[2:3], s[14:15], 1
	buffer_load_b32 v9, v2, s[8:11], 0 offen
	s_add_u32 s8, s12, s2
	s_addc_u32 s2, s13, s3
	s_lshl_b32 s10, s6, 1
	s_and_b32 s9, s2, 0xffff
	s_clause 0x1
	buffer_load_b128 v[5:8], v1, s[8:11], 0 offen
	buffer_load_b128 v[1:4], v1, s[8:11], 16 offen
	s_mov_b32 s3, 0
	s_cmp_lt_i32 s5, 1
	s_waitcnt vmcnt(0) expcnt(2) lgkmcnt(55)
	s_barrier
	buffer_gl0_inv
	s_cbranch_scc1 .LBB204_11
; %bb.1:
	s_clause 0x1
	s_load_b128 s[12:15], s[0:1], 0x0
	s_load_b64 s[22:23], s[0:1], 0x18
	s_add_i32 s1, s6, 15
	v_lshrrev_b32_e32 v10, 16, v5
	s_ashr_i32 s2, s1, 31
	v_lshrrev_b32_e32 v11, 16, v6
	s_lshr_b32 s2, s2, 28
	v_lshrrev_b32_e32 v12, 16, v7
	v_lshrrev_b32_e32 v13, 16, v8
	;; [unrolled: 1-line block ×7, first 2 shown]
	v_and_b32_e32 v22, 15, v0
	s_add_i32 s7, s6, 3
	s_add_i32 s1, s1, s2
	s_ashr_i32 s2, s7, 31
	s_ashr_i32 s1, s1, 4
	s_lshr_b32 s2, s2, 30
	v_cvt_f32_f16_e32 v5, v5
	v_cvt_f32_f16_e32 v10, v10
	v_cvt_f32_f16_e32 v6, v6
	v_cvt_f32_f16_e32 v11, v11
	v_cvt_f32_f16_e32 v7, v7
	v_cvt_f32_f16_e32 v12, v12
	v_cvt_f32_f16_e32 v8, v8
	v_cvt_f32_f16_e32 v13, v13
	v_cvt_f32_f16_e32 v1, v1
	v_cvt_f32_f16_e32 v14, v14
	v_cvt_f32_f16_e32 v2, v2
	v_cvt_f32_f16_e32 v15, v15
	v_cvt_f32_f16_e32 v3, v3
	v_cvt_f32_f16_e32 v16, v16
	v_cvt_f32_f16_e32 v4, v4
	v_cvt_f32_f16_e32 v17, v17
	v_lshlrev_b32_e32 v18, 4, v0
	v_lshlrev_b32_e32 v19, 6, v0
	v_cmp_eq_u32_e32 vcc_lo, 31, v20
	v_and_b32_e32 v20, 0x7c, v21
	v_lshlrev_b32_e32 v21, 2, v22
	v_cmp_eq_u32_e64 s0, 0, v0
	v_cmp_gt_u32_e64 s1, s1, v0
	v_mov_b32_e32 v0, 0
	s_add_i32 s7, s7, s2
	s_lshl_b32 s10, s6, 2
	s_and_b32 s18, s7, -4
	s_mov_b32 s7, 0x76543210
	s_branch .LBB204_4
.LBB204_2:                              ;   in Loop: Header=BB204_4 Depth=1
	s_or_b32 exec_lo, exec_lo, s2
.LBB204_3:                              ;   in Loop: Header=BB204_4 Depth=1
	s_add_i32 s3, s3, 1
	s_add_i32 s20, s20, s4
	s_cmp_eq_u32 s5, s3
	s_cbranch_scc1 .LBB204_11
.LBB204_4:                              ; =>This Inner Loop Header: Depth=1
	v_readlane_b32 s2, v9, s3
	s_delay_alu instid0(VALU_DEP_1)
	s_cmp_lt_i32 s2, 0
	s_cbranch_scc1 .LBB204_3
; %bb.5:                                ;   in Loop: Header=BB204_4 Depth=1
	s_mul_i32 s8, s2, s6
	s_delay_alu instid0(SALU_CYCLE_1) | instskip(NEXT) | instid1(SALU_CYCLE_1)
	s_ashr_i32 s9, s8, 31
	s_lshl_b64 s[8:9], s[8:9], 2
	s_waitcnt lgkmcnt(0)
	s_add_u32 s8, s22, s8
	s_addc_u32 s2, s23, s9
	s_delay_alu instid0(SALU_CYCLE_1)
	s_and_b32 s9, s2, 0xffff
	s_clause 0x3
	buffer_load_b128 v[22:25], v19, s[8:11], 0 offen
	buffer_load_b128 v[26:29], v19, s[8:11], 16 offen
	;; [unrolled: 1-line block ×4, first 2 shown]
	s_waitcnt vmcnt(3)
	v_dual_mul_f32 v36, v22, v5 :: v_dual_mul_f32 v37, v23, v10
	v_dual_mul_f32 v30, v24, v6 :: v_dual_mul_f32 v31, v25, v11
	s_waitcnt vmcnt(2)
	v_dual_mul_f32 v32, v26, v7 :: v_dual_mul_f32 v33, v27, v12
	s_delay_alu instid0(VALU_DEP_3) | instskip(SKIP_3) | instid1(VALU_DEP_3)
	v_max3_f32 v22, |v36|, 0x2edbe6ff, |v37|
	v_dual_mul_f32 v34, v28, v8 :: v_dual_mul_f32 v35, v29, v13
	s_waitcnt vmcnt(1)
	v_dual_mul_f32 v27, v38, v1 :: v_dual_mul_f32 v28, v39, v14
	v_max3_f32 v22, v22, |v30|, |v31|
	s_waitcnt vmcnt(0)
	v_mul_f32_e32 v25, v42, v3
	v_dual_mul_f32 v29, v43, v16 :: v_dual_mul_f32 v26, v45, v17
	v_mul_f32_e32 v23, v41, v15
	v_max3_f32 v22, v22, |v32|, |v33|
	s_delay_alu instid0(VALU_DEP_1) | instskip(SKIP_1) | instid1(VALU_DEP_2)
	v_max3_f32 v24, v22, |v34|, |v35|
	v_mul_f32_e32 v22, v40, v2
	v_max3_f32 v24, v24, |v27|, |v28|
	s_delay_alu instid0(VALU_DEP_1) | instskip(SKIP_1) | instid1(VALU_DEP_2)
	v_max3_f32 v38, v24, |v22|, |v23|
	v_mul_f32_e32 v24, v44, v4
	v_max3_f32 v38, v38, |v25|, |v29|
	s_delay_alu instid0(VALU_DEP_1) | instskip(NEXT) | instid1(VALU_DEP_1)
	v_max3_f32 v38, v38, |v24|, |v26|
	v_mov_b32_dpp v39, v38 quad_perm:[1,0,3,2] row_mask:0xf bank_mask:0xf
	s_delay_alu instid0(VALU_DEP_1) | instskip(NEXT) | instid1(VALU_DEP_1)
	v_cmp_gt_f32_e64 s2, v38, v39
	v_cndmask_b32_e64 v38, v39, v38, s2
	s_delay_alu instid0(VALU_DEP_1) | instskip(NEXT) | instid1(VALU_DEP_1)
	v_mov_b32_dpp v39, v38 quad_perm:[2,3,0,1] row_mask:0xf bank_mask:0xf
	v_cmp_gt_f32_e64 s2, v38, v39
	s_delay_alu instid0(VALU_DEP_1) | instskip(NEXT) | instid1(VALU_DEP_1)
	v_cndmask_b32_e64 v38, v39, v38, s2
	v_mov_b32_dpp v39, v38 row_xmask:7 row_mask:0xf bank_mask:0xf
	s_delay_alu instid0(VALU_DEP_1) | instskip(NEXT) | instid1(VALU_DEP_1)
	v_cmp_gt_f32_e64 s2, v38, v39
	v_cndmask_b32_e64 v38, v39, v38, s2
	s_delay_alu instid0(VALU_DEP_1) | instskip(NEXT) | instid1(VALU_DEP_1)
	v_mov_b32_dpp v39, v38 row_xmask:15 row_mask:0xf bank_mask:0xf
	v_cmp_gt_f32_e64 s2, v38, v39
	s_and_saveexec_b32 s8, vcc_lo
	s_cbranch_execz .LBB204_7
; %bb.6:                                ;   in Loop: Header=BB204_4 Depth=1
	s_delay_alu instid0(VALU_DEP_1) | instskip(NEXT) | instid1(VALU_DEP_1)
	v_cndmask_b32_e64 v38, v39, v38, s2
	v_permlanex16_b32 v39, v38, s7, 0xfedcba98 op_sel:[1,1]
	s_delay_alu instid0(VALU_DEP_1) | instskip(NEXT) | instid1(VALU_DEP_1)
	v_cmp_gt_f32_e64 s2, v38, v39
	v_cndmask_b32_e64 v38, v39, v38, s2
	ds_store_b32 v20, v38
.LBB204_7:                              ;   in Loop: Header=BB204_4 Depth=1
	s_or_b32 exec_lo, exec_lo, s8
	s_waitcnt lgkmcnt(0)
	s_waitcnt_vscnt null, 0x0
	s_barrier
	buffer_gl0_inv
	ds_load_b32 v38, v21
	s_waitcnt lgkmcnt(0)
	v_mov_b32_dpp v39, v38 quad_perm:[1,0,3,2] row_mask:0xf bank_mask:0xf
	s_delay_alu instid0(VALU_DEP_1) | instskip(NEXT) | instid1(VALU_DEP_1)
	v_cmp_gt_f32_e64 s2, v38, v39
	v_cndmask_b32_e64 v38, v39, v38, s2
	s_delay_alu instid0(VALU_DEP_1) | instskip(NEXT) | instid1(VALU_DEP_1)
	v_mov_b32_dpp v39, v38 quad_perm:[2,3,0,1] row_mask:0xf bank_mask:0xf
	v_cmp_gt_f32_e64 s2, v38, v39
	s_delay_alu instid0(VALU_DEP_1) | instskip(NEXT) | instid1(VALU_DEP_1)
	v_cndmask_b32_e64 v38, v39, v38, s2
	v_mov_b32_dpp v39, v38 row_xmask:7 row_mask:0xf bank_mask:0xf
	s_delay_alu instid0(VALU_DEP_1) | instskip(NEXT) | instid1(VALU_DEP_1)
	v_cmp_gt_f32_e64 s2, v38, v39
	v_cndmask_b32_e64 v38, v39, v38, s2
	s_delay_alu instid0(VALU_DEP_1) | instskip(NEXT) | instid1(VALU_DEP_1)
	v_mov_b32_dpp v39, v38 row_xmask:15 row_mask:0xf bank_mask:0xf
	v_cmp_gt_f32_e64 s2, v38, v39
	s_delay_alu instid0(VALU_DEP_1) | instskip(NEXT) | instid1(VALU_DEP_1)
	v_cndmask_b32_e64 v38, v39, v38, s2
	v_mul_f32_e32 v38, 0x3c010204, v38
	s_and_saveexec_b32 s2, s0
	s_cbranch_execz .LBB204_9
; %bb.8:                                ;   in Loop: Header=BB204_4 Depth=1
	s_ashr_i32 s21, s20, 31
	s_delay_alu instid0(SALU_CYCLE_1) | instskip(NEXT) | instid1(SALU_CYCLE_1)
	s_lshl_b64 s[8:9], s[20:21], 2
	s_add_u32 s8, s14, s8
	s_addc_u32 s9, s15, s9
	global_store_b32 v0, v38, s[8:9]
.LBB204_9:                              ;   in Loop: Header=BB204_4 Depth=1
	s_or_b32 exec_lo, exec_lo, s2
	s_and_saveexec_b32 s2, s1
	s_cbranch_execz .LBB204_2
; %bb.10:                               ;   in Loop: Header=BB204_4 Depth=1
	v_rcp_f32_e32 v38, v38
	s_mul_i32 s8, s20, s6
	s_mul_hi_i32 s9, s20, s6
	s_add_u32 s16, s12, s8
	s_addc_u32 s8, s13, s9
	s_mov_b32 s19, s11
	s_and_b32 s17, s8, 0xffff
	s_waitcnt_depctr 0xfff
	v_mul_f32_e32 v29, v29, v38
	v_mul_f32_e32 v25, v25, v38
	;; [unrolled: 1-line block ×5, first 2 shown]
	v_cvt_i32_f32_e32 v29, v29
	v_cvt_i32_f32_e32 v25, v25
	v_mul_f32_e32 v36, v36, v38
	v_mul_f32_e32 v24, v24, v38
	v_cvt_i32_f32_e32 v27, v27
	v_lshlrev_b16 v29, 8, v29
	v_and_b32_e32 v25, 0xff, v25
	v_cvt_i32_f32_e32 v26, v26
	v_cvt_i32_f32_e32 v24, v24
	v_cvt_i32_f32_e32 v28, v28
	v_mul_f32_e32 v37, v37, v38
	v_or_b32_e32 v25, v25, v29
	v_mul_f32_e32 v32, v32, v38
	v_dual_mul_f32 v30, v30, v38 :: v_dual_and_b32 v27, 0xff, v27
	v_lshlrev_b16 v26, 8, v26
	v_and_b32_e32 v24, 0xff, v24
	v_lshlrev_b16 v28, 8, v28
	v_mul_f32_e32 v23, v23, v38
	v_dual_mul_f32 v22, v22, v38 :: v_dual_and_b32 v25, 0xffff, v25
	v_cvt_i32_f32_e32 v32, v32
	v_mul_f32_e32 v33, v33, v38
	v_or_b32_e32 v24, v24, v26
	v_or_b32_e32 v26, v27, v28
	v_cvt_i32_f32_e32 v23, v23
	v_and_b32_e32 v28, 0xff, v32
	v_cvt_i32_f32_e32 v33, v33
	v_cvt_i32_f32_e32 v22, v22
	v_dual_mul_f32 v31, v31, v38 :: v_dual_lshlrev_b32 v24, 16, v24
	v_lshlrev_b16 v23, 8, v23
	s_delay_alu instid0(VALU_DEP_4) | instskip(NEXT) | instid1(VALU_DEP_4)
	v_lshlrev_b16 v27, 8, v33
	v_and_b32_e32 v22, 0xff, v22
	v_cvt_i32_f32_e32 v36, v36
	v_mul_f32_e32 v35, v35, v38
	v_cvt_i32_f32_e32 v37, v37
	v_cvt_i32_f32_e32 v30, v30
	v_or_b32_e32 v22, v22, v23
	v_or_b32_e32 v23, v28, v27
	v_mul_f32_e32 v34, v34, v38
	v_cvt_i32_f32_e32 v31, v31
	v_lshlrev_b16 v33, 8, v37
	v_and_b32_e32 v30, 0xff, v30
	v_and_b32_e32 v23, 0xffff, v23
	v_cvt_i32_f32_e32 v34, v34
	v_lshlrev_b16 v31, 8, v31
	v_and_b32_e32 v26, 0xffff, v26
	v_lshlrev_b32_e32 v22, 16, v22
	v_or_b32_e32 v25, v25, v24
	v_and_b32_e32 v32, 0xff, v34
	v_and_b32_e32 v34, 0xff, v36
	v_cvt_i32_f32_e32 v35, v35
	v_or_b32_e32 v24, v26, v22
	s_delay_alu instid0(VALU_DEP_3) | instskip(NEXT) | instid1(VALU_DEP_3)
	v_or_b32_e32 v28, v34, v33
	v_lshlrev_b16 v29, 8, v35
	s_delay_alu instid0(VALU_DEP_2) | instskip(NEXT) | instid1(VALU_DEP_2)
	v_and_b32_e32 v28, 0xffff, v28
	v_or_b32_e32 v27, v32, v29
	v_or_b32_e32 v29, v30, v31
	s_delay_alu instid0(VALU_DEP_2) | instskip(NEXT) | instid1(VALU_DEP_2)
	v_lshlrev_b32_e32 v27, 16, v27
	v_lshlrev_b32_e32 v29, 16, v29
	s_delay_alu instid0(VALU_DEP_2) | instskip(NEXT) | instid1(VALU_DEP_2)
	v_or_b32_e32 v23, v23, v27
	v_or_b32_e32 v22, v28, v29
	buffer_store_b128 v[22:25], v18, s[16:19], 0 offen
	;;#ASMSTART
	s_nop 0
	;;#ASMEND
	s_branch .LBB204_2
.LBB204_11:
	s_nop 0
	s_sendmsg sendmsg(MSG_DEALLOC_VGPRS)
	s_endpgm
	.section	.rodata,"a",@progbits
	.p2align	6, 0x0
	.amdhsa_kernel _ZN5aiter43moe_smooth_per_token_scaled_quant_kernel_v1IDF16_aLi512ELi16ELb1ELb0ELi1024EEEvPT0_PfPT_S3_PiS6_iiiii
		.amdhsa_group_segment_fixed_size 64
		.amdhsa_private_segment_fixed_size 0
		.amdhsa_kernarg_size 68
		.amdhsa_user_sgpr_count 15
		.amdhsa_user_sgpr_dispatch_ptr 0
		.amdhsa_user_sgpr_queue_ptr 0
		.amdhsa_user_sgpr_kernarg_segment_ptr 1
		.amdhsa_user_sgpr_dispatch_id 0
		.amdhsa_user_sgpr_private_segment_size 0
		.amdhsa_wavefront_size32 1
		.amdhsa_uses_dynamic_stack 0
		.amdhsa_enable_private_segment 0
		.amdhsa_system_sgpr_workgroup_id_x 1
		.amdhsa_system_sgpr_workgroup_id_y 0
		.amdhsa_system_sgpr_workgroup_id_z 0
		.amdhsa_system_sgpr_workgroup_info 0
		.amdhsa_system_vgpr_workitem_id 0
		.amdhsa_next_free_vgpr 46
		.amdhsa_next_free_sgpr 24
		.amdhsa_reserve_vcc 1
		.amdhsa_float_round_mode_32 0
		.amdhsa_float_round_mode_16_64 0
		.amdhsa_float_denorm_mode_32 3
		.amdhsa_float_denorm_mode_16_64 3
		.amdhsa_dx10_clamp 1
		.amdhsa_ieee_mode 1
		.amdhsa_fp16_overflow 0
		.amdhsa_workgroup_processor_mode 1
		.amdhsa_memory_ordered 1
		.amdhsa_forward_progress 0
		.amdhsa_shared_vgpr_count 0
		.amdhsa_exception_fp_ieee_invalid_op 0
		.amdhsa_exception_fp_denorm_src 0
		.amdhsa_exception_fp_ieee_div_zero 0
		.amdhsa_exception_fp_ieee_overflow 0
		.amdhsa_exception_fp_ieee_underflow 0
		.amdhsa_exception_fp_ieee_inexact 0
		.amdhsa_exception_int_div_zero 0
	.end_amdhsa_kernel
	.section	.text._ZN5aiter43moe_smooth_per_token_scaled_quant_kernel_v1IDF16_aLi512ELi16ELb1ELb0ELi1024EEEvPT0_PfPT_S3_PiS6_iiiii,"axG",@progbits,_ZN5aiter43moe_smooth_per_token_scaled_quant_kernel_v1IDF16_aLi512ELi16ELb1ELb0ELi1024EEEvPT0_PfPT_S3_PiS6_iiiii,comdat
.Lfunc_end204:
	.size	_ZN5aiter43moe_smooth_per_token_scaled_quant_kernel_v1IDF16_aLi512ELi16ELb1ELb0ELi1024EEEvPT0_PfPT_S3_PiS6_iiiii, .Lfunc_end204-_ZN5aiter43moe_smooth_per_token_scaled_quant_kernel_v1IDF16_aLi512ELi16ELb1ELb0ELi1024EEEvPT0_PfPT_S3_PiS6_iiiii
                                        ; -- End function
	.section	.AMDGPU.csdata,"",@progbits
; Kernel info:
; codeLenInByte = 1516
; NumSgprs: 26
; NumVgprs: 46
; ScratchSize: 0
; MemoryBound: 0
; FloatMode: 240
; IeeeMode: 1
; LDSByteSize: 64 bytes/workgroup (compile time only)
; SGPRBlocks: 3
; VGPRBlocks: 5
; NumSGPRsForWavesPerEU: 26
; NumVGPRsForWavesPerEU: 46
; Occupancy: 16
; WaveLimiterHint : 0
; COMPUTE_PGM_RSRC2:SCRATCH_EN: 0
; COMPUTE_PGM_RSRC2:USER_SGPR: 15
; COMPUTE_PGM_RSRC2:TRAP_HANDLER: 0
; COMPUTE_PGM_RSRC2:TGID_X_EN: 1
; COMPUTE_PGM_RSRC2:TGID_Y_EN: 0
; COMPUTE_PGM_RSRC2:TGID_Z_EN: 0
; COMPUTE_PGM_RSRC2:TIDIG_COMP_CNT: 0
	.section	.text._ZN5aiter43moe_smooth_per_token_scaled_quant_kernel_v1ItaLi512ELi16ELb1ELb0ELi1024EEEvPT0_PfPT_S3_PiS6_iiiii,"axG",@progbits,_ZN5aiter43moe_smooth_per_token_scaled_quant_kernel_v1ItaLi512ELi16ELb1ELb0ELi1024EEEvPT0_PfPT_S3_PiS6_iiiii,comdat
	.protected	_ZN5aiter43moe_smooth_per_token_scaled_quant_kernel_v1ItaLi512ELi16ELb1ELb0ELi1024EEEvPT0_PfPT_S3_PiS6_iiiii ; -- Begin function _ZN5aiter43moe_smooth_per_token_scaled_quant_kernel_v1ItaLi512ELi16ELb1ELb0ELi1024EEEvPT0_PfPT_S3_PiS6_iiiii
	.globl	_ZN5aiter43moe_smooth_per_token_scaled_quant_kernel_v1ItaLi512ELi16ELb1ELb0ELi1024EEEvPT0_PfPT_S3_PiS6_iiiii
	.p2align	8
	.type	_ZN5aiter43moe_smooth_per_token_scaled_quant_kernel_v1ItaLi512ELi16ELb1ELb0ELi1024EEEvPT0_PfPT_S3_PiS6_iiiii,@function
_ZN5aiter43moe_smooth_per_token_scaled_quant_kernel_v1ItaLi512ELi16ELb1ELb0ELi1024EEEvPT0_PfPT_S3_PiS6_iiiii: ; @_ZN5aiter43moe_smooth_per_token_scaled_quant_kernel_v1ItaLi512ELi16ELb1ELb0ELi1024EEEvPT0_PfPT_S3_PiS6_iiiii
; %bb.0:
	s_clause 0x2
	s_load_b128 s[4:7], s[0:1], 0x30
	s_load_b64 s[2:3], s[0:1], 0x20
	s_load_b64 s[12:13], s[0:1], 0x10
	v_and_b32_e32 v20, 31, v0
	s_mov_b32 s20, s15
	s_mov_b32 s11, -1
	v_lshlrev_b32_e32 v1, 5, v0
	s_delay_alu instid0(VALU_DEP_2)
	v_lshlrev_b32_e32 v2, 2, v20
	s_waitcnt lgkmcnt(0)
	s_mul_i32 s8, s15, s5
	s_mul_hi_i32 s15, s7, s15
	s_ashr_i32 s9, s8, 31
	s_mul_i32 s14, s7, s20
	s_lshl_b64 s[8:9], s[8:9], 2
	s_delay_alu instid0(SALU_CYCLE_1)
	s_add_u32 s8, s2, s8
	s_addc_u32 s2, s3, s9
	s_lshl_b32 s10, s5, 2
	s_and_b32 s9, s2, 0xffff
	s_lshl_b64 s[2:3], s[14:15], 1
	buffer_load_b32 v9, v2, s[8:11], 0 offen
	s_add_u32 s8, s12, s2
	s_addc_u32 s2, s13, s3
	s_lshl_b32 s10, s6, 1
	s_and_b32 s9, s2, 0xffff
	s_clause 0x1
	buffer_load_b128 v[5:8], v1, s[8:11], 0 offen
	buffer_load_b128 v[1:4], v1, s[8:11], 16 offen
	s_mov_b32 s3, 0
	s_cmp_lt_i32 s5, 1
	s_waitcnt vmcnt(0) expcnt(2) lgkmcnt(55)
	s_barrier
	buffer_gl0_inv
	s_cbranch_scc1 .LBB205_11
; %bb.1:
	v_and_b32_e32 v10, 0xffff, v5
	s_clause 0x1
	s_load_b128 s[12:15], s[0:1], 0x0
	s_load_b64 s[22:23], s[0:1], 0x18
	v_lshrrev_b32_e32 v11, 16, v5
	v_and_b32_e32 v12, 0xffff, v6
	v_and_b32_e32 v13, 0xffff, v7
	v_lshrrev_b32_e32 v14, 16, v7
	v_cvt_f32_u32_e32 v5, v10
	v_lshrrev_b32_e32 v10, 16, v6
	v_cvt_f32_u32_e32 v6, v11
	v_cvt_f32_u32_e32 v7, v12
	;; [unrolled: 1-line block ×4, first 2 shown]
	v_and_b32_e32 v13, 0xffff, v8
	v_and_b32_e32 v14, 0xffff, v1
	v_lshrrev_b32_e32 v15, 16, v1
	v_and_b32_e32 v16, 0xffff, v2
	s_add_i32 s1, s6, 15
	v_lshrrev_b32_e32 v8, 16, v8
	s_ashr_i32 s2, s1, 31
	v_cvt_f32_u32_e32 v1, v13
	s_lshr_b32 s2, s2, 28
	v_cvt_f32_u32_e32 v13, v14
	v_cvt_f32_u32_e32 v14, v15
	;; [unrolled: 1-line block ×3, first 2 shown]
	v_lshrrev_b32_e32 v2, 16, v2
	v_and_b32_e32 v16, 0xffff, v3
	v_lshrrev_b32_e32 v17, 16, v3
	v_and_b32_e32 v18, 0xffff, v4
	v_lshrrev_b32_e32 v19, 16, v4
	v_lshrrev_b32_e32 v21, 3, v0
	v_and_b32_e32 v22, 15, v0
	s_add_i32 s7, s6, 3
	s_add_i32 s1, s1, s2
	s_ashr_i32 s2, s7, 31
	s_ashr_i32 s1, s1, 4
	s_lshr_b32 s2, s2, 30
	v_cvt_f32_u32_e32 v10, v10
	v_cvt_f32_u32_e32 v8, v8
	;; [unrolled: 1-line block ×7, first 2 shown]
	v_lshlrev_b32_e32 v18, 4, v0
	v_lshlrev_b32_e32 v19, 6, v0
	v_cmp_eq_u32_e32 vcc_lo, 31, v20
	v_and_b32_e32 v20, 0x7c, v21
	v_lshlrev_b32_e32 v21, 2, v22
	v_cmp_eq_u32_e64 s0, 0, v0
	v_cmp_gt_u32_e64 s1, s1, v0
	v_mov_b32_e32 v0, 0
	s_add_i32 s7, s7, s2
	s_lshl_b32 s10, s6, 2
	s_and_b32 s18, s7, -4
	s_mov_b32 s7, 0x76543210
	s_branch .LBB205_4
.LBB205_2:                              ;   in Loop: Header=BB205_4 Depth=1
	s_or_b32 exec_lo, exec_lo, s2
.LBB205_3:                              ;   in Loop: Header=BB205_4 Depth=1
	s_add_i32 s3, s3, 1
	s_add_i32 s20, s20, s4
	s_cmp_eq_u32 s5, s3
	s_cbranch_scc1 .LBB205_11
.LBB205_4:                              ; =>This Inner Loop Header: Depth=1
	v_readlane_b32 s2, v9, s3
	s_delay_alu instid0(VALU_DEP_1)
	s_cmp_lt_i32 s2, 0
	s_cbranch_scc1 .LBB205_3
; %bb.5:                                ;   in Loop: Header=BB205_4 Depth=1
	s_mul_i32 s8, s2, s6
	s_delay_alu instid0(SALU_CYCLE_1) | instskip(NEXT) | instid1(SALU_CYCLE_1)
	s_ashr_i32 s9, s8, 31
	s_lshl_b64 s[8:9], s[8:9], 2
	s_waitcnt lgkmcnt(0)
	s_add_u32 s8, s22, s8
	s_addc_u32 s2, s23, s9
	s_delay_alu instid0(SALU_CYCLE_1)
	s_and_b32 s9, s2, 0xffff
	s_clause 0x3
	buffer_load_b128 v[22:25], v19, s[8:11], 0 offen
	buffer_load_b128 v[26:29], v19, s[8:11], 16 offen
	;; [unrolled: 1-line block ×4, first 2 shown]
	s_waitcnt vmcnt(3)
	v_dual_mul_f32 v36, v22, v5 :: v_dual_mul_f32 v37, v23, v6
	v_dual_mul_f32 v30, v24, v7 :: v_dual_mul_f32 v31, v25, v10
	s_waitcnt vmcnt(2)
	v_dual_mul_f32 v32, v26, v11 :: v_dual_mul_f32 v33, v27, v12
	s_delay_alu instid0(VALU_DEP_3) | instskip(SKIP_3) | instid1(VALU_DEP_3)
	v_max3_f32 v22, |v36|, 0x2edbe6ff, |v37|
	v_dual_mul_f32 v34, v28, v1 :: v_dual_mul_f32 v35, v29, v8
	s_waitcnt vmcnt(1)
	v_dual_mul_f32 v27, v38, v13 :: v_dual_mul_f32 v28, v39, v14
	v_max3_f32 v22, v22, |v30|, |v31|
	s_waitcnt vmcnt(0)
	v_mul_f32_e32 v25, v42, v3
	v_dual_mul_f32 v29, v43, v4 :: v_dual_mul_f32 v26, v45, v17
	v_mul_f32_e32 v23, v41, v2
	v_max3_f32 v22, v22, |v32|, |v33|
	s_delay_alu instid0(VALU_DEP_1) | instskip(SKIP_1) | instid1(VALU_DEP_2)
	v_max3_f32 v24, v22, |v34|, |v35|
	v_mul_f32_e32 v22, v40, v15
	v_max3_f32 v24, v24, |v27|, |v28|
	s_delay_alu instid0(VALU_DEP_1) | instskip(SKIP_1) | instid1(VALU_DEP_2)
	v_max3_f32 v38, v24, |v22|, |v23|
	v_mul_f32_e32 v24, v44, v16
	v_max3_f32 v38, v38, |v25|, |v29|
	s_delay_alu instid0(VALU_DEP_1) | instskip(NEXT) | instid1(VALU_DEP_1)
	v_max3_f32 v38, v38, |v24|, |v26|
	v_mov_b32_dpp v39, v38 quad_perm:[1,0,3,2] row_mask:0xf bank_mask:0xf
	s_delay_alu instid0(VALU_DEP_1) | instskip(NEXT) | instid1(VALU_DEP_1)
	v_cmp_gt_f32_e64 s2, v38, v39
	v_cndmask_b32_e64 v38, v39, v38, s2
	s_delay_alu instid0(VALU_DEP_1) | instskip(NEXT) | instid1(VALU_DEP_1)
	v_mov_b32_dpp v39, v38 quad_perm:[2,3,0,1] row_mask:0xf bank_mask:0xf
	v_cmp_gt_f32_e64 s2, v38, v39
	s_delay_alu instid0(VALU_DEP_1) | instskip(NEXT) | instid1(VALU_DEP_1)
	v_cndmask_b32_e64 v38, v39, v38, s2
	v_mov_b32_dpp v39, v38 row_xmask:7 row_mask:0xf bank_mask:0xf
	s_delay_alu instid0(VALU_DEP_1) | instskip(NEXT) | instid1(VALU_DEP_1)
	v_cmp_gt_f32_e64 s2, v38, v39
	v_cndmask_b32_e64 v38, v39, v38, s2
	s_delay_alu instid0(VALU_DEP_1) | instskip(NEXT) | instid1(VALU_DEP_1)
	v_mov_b32_dpp v39, v38 row_xmask:15 row_mask:0xf bank_mask:0xf
	v_cmp_gt_f32_e64 s2, v38, v39
	s_and_saveexec_b32 s8, vcc_lo
	s_cbranch_execz .LBB205_7
; %bb.6:                                ;   in Loop: Header=BB205_4 Depth=1
	s_delay_alu instid0(VALU_DEP_1) | instskip(NEXT) | instid1(VALU_DEP_1)
	v_cndmask_b32_e64 v38, v39, v38, s2
	v_permlanex16_b32 v39, v38, s7, 0xfedcba98 op_sel:[1,1]
	s_delay_alu instid0(VALU_DEP_1) | instskip(NEXT) | instid1(VALU_DEP_1)
	v_cmp_gt_f32_e64 s2, v38, v39
	v_cndmask_b32_e64 v38, v39, v38, s2
	ds_store_b32 v20, v38
.LBB205_7:                              ;   in Loop: Header=BB205_4 Depth=1
	s_or_b32 exec_lo, exec_lo, s8
	s_waitcnt lgkmcnt(0)
	s_waitcnt_vscnt null, 0x0
	s_barrier
	buffer_gl0_inv
	ds_load_b32 v38, v21
	s_waitcnt lgkmcnt(0)
	v_mov_b32_dpp v39, v38 quad_perm:[1,0,3,2] row_mask:0xf bank_mask:0xf
	s_delay_alu instid0(VALU_DEP_1) | instskip(NEXT) | instid1(VALU_DEP_1)
	v_cmp_gt_f32_e64 s2, v38, v39
	v_cndmask_b32_e64 v38, v39, v38, s2
	s_delay_alu instid0(VALU_DEP_1) | instskip(NEXT) | instid1(VALU_DEP_1)
	v_mov_b32_dpp v39, v38 quad_perm:[2,3,0,1] row_mask:0xf bank_mask:0xf
	v_cmp_gt_f32_e64 s2, v38, v39
	s_delay_alu instid0(VALU_DEP_1) | instskip(NEXT) | instid1(VALU_DEP_1)
	v_cndmask_b32_e64 v38, v39, v38, s2
	v_mov_b32_dpp v39, v38 row_xmask:7 row_mask:0xf bank_mask:0xf
	s_delay_alu instid0(VALU_DEP_1) | instskip(NEXT) | instid1(VALU_DEP_1)
	v_cmp_gt_f32_e64 s2, v38, v39
	v_cndmask_b32_e64 v38, v39, v38, s2
	s_delay_alu instid0(VALU_DEP_1) | instskip(NEXT) | instid1(VALU_DEP_1)
	v_mov_b32_dpp v39, v38 row_xmask:15 row_mask:0xf bank_mask:0xf
	v_cmp_gt_f32_e64 s2, v38, v39
	s_delay_alu instid0(VALU_DEP_1) | instskip(NEXT) | instid1(VALU_DEP_1)
	v_cndmask_b32_e64 v38, v39, v38, s2
	v_mul_f32_e32 v38, 0x3c010204, v38
	s_and_saveexec_b32 s2, s0
	s_cbranch_execz .LBB205_9
; %bb.8:                                ;   in Loop: Header=BB205_4 Depth=1
	s_ashr_i32 s21, s20, 31
	s_delay_alu instid0(SALU_CYCLE_1) | instskip(NEXT) | instid1(SALU_CYCLE_1)
	s_lshl_b64 s[8:9], s[20:21], 2
	s_add_u32 s8, s14, s8
	s_addc_u32 s9, s15, s9
	global_store_b32 v0, v38, s[8:9]
.LBB205_9:                              ;   in Loop: Header=BB205_4 Depth=1
	s_or_b32 exec_lo, exec_lo, s2
	s_and_saveexec_b32 s2, s1
	s_cbranch_execz .LBB205_2
; %bb.10:                               ;   in Loop: Header=BB205_4 Depth=1
	v_rcp_f32_e32 v38, v38
	s_mul_i32 s8, s20, s6
	s_mul_hi_i32 s9, s20, s6
	s_add_u32 s16, s12, s8
	s_addc_u32 s8, s13, s9
	s_mov_b32 s19, s11
	s_and_b32 s17, s8, 0xffff
	s_waitcnt_depctr 0xfff
	v_mul_f32_e32 v29, v29, v38
	v_mul_f32_e32 v25, v25, v38
	;; [unrolled: 1-line block ×5, first 2 shown]
	v_cvt_i32_f32_e32 v29, v29
	v_cvt_i32_f32_e32 v25, v25
	v_mul_f32_e32 v36, v36, v38
	v_mul_f32_e32 v24, v24, v38
	v_cvt_i32_f32_e32 v27, v27
	v_lshlrev_b16 v29, 8, v29
	v_and_b32_e32 v25, 0xff, v25
	v_cvt_i32_f32_e32 v26, v26
	v_cvt_i32_f32_e32 v24, v24
	v_cvt_i32_f32_e32 v28, v28
	v_mul_f32_e32 v37, v37, v38
	v_or_b32_e32 v25, v25, v29
	v_mul_f32_e32 v32, v32, v38
	v_dual_mul_f32 v30, v30, v38 :: v_dual_and_b32 v27, 0xff, v27
	v_lshlrev_b16 v26, 8, v26
	v_and_b32_e32 v24, 0xff, v24
	v_lshlrev_b16 v28, 8, v28
	v_mul_f32_e32 v23, v23, v38
	v_dual_mul_f32 v22, v22, v38 :: v_dual_and_b32 v25, 0xffff, v25
	v_cvt_i32_f32_e32 v32, v32
	v_mul_f32_e32 v33, v33, v38
	v_or_b32_e32 v24, v24, v26
	v_or_b32_e32 v26, v27, v28
	v_cvt_i32_f32_e32 v23, v23
	v_and_b32_e32 v28, 0xff, v32
	v_cvt_i32_f32_e32 v33, v33
	v_cvt_i32_f32_e32 v22, v22
	v_dual_mul_f32 v31, v31, v38 :: v_dual_lshlrev_b32 v24, 16, v24
	v_lshlrev_b16 v23, 8, v23
	s_delay_alu instid0(VALU_DEP_4) | instskip(NEXT) | instid1(VALU_DEP_4)
	v_lshlrev_b16 v27, 8, v33
	v_and_b32_e32 v22, 0xff, v22
	v_cvt_i32_f32_e32 v36, v36
	v_mul_f32_e32 v35, v35, v38
	v_cvt_i32_f32_e32 v37, v37
	v_cvt_i32_f32_e32 v30, v30
	v_or_b32_e32 v22, v22, v23
	v_or_b32_e32 v23, v28, v27
	v_mul_f32_e32 v34, v34, v38
	v_cvt_i32_f32_e32 v31, v31
	v_lshlrev_b16 v33, 8, v37
	v_and_b32_e32 v30, 0xff, v30
	v_and_b32_e32 v23, 0xffff, v23
	v_cvt_i32_f32_e32 v34, v34
	v_lshlrev_b16 v31, 8, v31
	v_and_b32_e32 v26, 0xffff, v26
	v_lshlrev_b32_e32 v22, 16, v22
	v_or_b32_e32 v25, v25, v24
	v_and_b32_e32 v32, 0xff, v34
	v_and_b32_e32 v34, 0xff, v36
	v_cvt_i32_f32_e32 v35, v35
	v_or_b32_e32 v24, v26, v22
	s_delay_alu instid0(VALU_DEP_3) | instskip(NEXT) | instid1(VALU_DEP_3)
	v_or_b32_e32 v28, v34, v33
	v_lshlrev_b16 v29, 8, v35
	s_delay_alu instid0(VALU_DEP_2) | instskip(NEXT) | instid1(VALU_DEP_2)
	v_and_b32_e32 v28, 0xffff, v28
	v_or_b32_e32 v27, v32, v29
	v_or_b32_e32 v29, v30, v31
	s_delay_alu instid0(VALU_DEP_2) | instskip(NEXT) | instid1(VALU_DEP_2)
	v_lshlrev_b32_e32 v27, 16, v27
	v_lshlrev_b32_e32 v29, 16, v29
	s_delay_alu instid0(VALU_DEP_2) | instskip(NEXT) | instid1(VALU_DEP_2)
	v_or_b32_e32 v23, v23, v27
	v_or_b32_e32 v22, v28, v29
	buffer_store_b128 v[22:25], v18, s[16:19], 0 offen
	;;#ASMSTART
	s_nop 0
	;;#ASMEND
	s_branch .LBB205_2
.LBB205_11:
	s_nop 0
	s_sendmsg sendmsg(MSG_DEALLOC_VGPRS)
	s_endpgm
	.section	.rodata,"a",@progbits
	.p2align	6, 0x0
	.amdhsa_kernel _ZN5aiter43moe_smooth_per_token_scaled_quant_kernel_v1ItaLi512ELi16ELb1ELb0ELi1024EEEvPT0_PfPT_S3_PiS6_iiiii
		.amdhsa_group_segment_fixed_size 64
		.amdhsa_private_segment_fixed_size 0
		.amdhsa_kernarg_size 68
		.amdhsa_user_sgpr_count 15
		.amdhsa_user_sgpr_dispatch_ptr 0
		.amdhsa_user_sgpr_queue_ptr 0
		.amdhsa_user_sgpr_kernarg_segment_ptr 1
		.amdhsa_user_sgpr_dispatch_id 0
		.amdhsa_user_sgpr_private_segment_size 0
		.amdhsa_wavefront_size32 1
		.amdhsa_uses_dynamic_stack 0
		.amdhsa_enable_private_segment 0
		.amdhsa_system_sgpr_workgroup_id_x 1
		.amdhsa_system_sgpr_workgroup_id_y 0
		.amdhsa_system_sgpr_workgroup_id_z 0
		.amdhsa_system_sgpr_workgroup_info 0
		.amdhsa_system_vgpr_workitem_id 0
		.amdhsa_next_free_vgpr 46
		.amdhsa_next_free_sgpr 24
		.amdhsa_reserve_vcc 1
		.amdhsa_float_round_mode_32 0
		.amdhsa_float_round_mode_16_64 0
		.amdhsa_float_denorm_mode_32 3
		.amdhsa_float_denorm_mode_16_64 3
		.amdhsa_dx10_clamp 1
		.amdhsa_ieee_mode 1
		.amdhsa_fp16_overflow 0
		.amdhsa_workgroup_processor_mode 1
		.amdhsa_memory_ordered 1
		.amdhsa_forward_progress 0
		.amdhsa_shared_vgpr_count 0
		.amdhsa_exception_fp_ieee_invalid_op 0
		.amdhsa_exception_fp_denorm_src 0
		.amdhsa_exception_fp_ieee_div_zero 0
		.amdhsa_exception_fp_ieee_overflow 0
		.amdhsa_exception_fp_ieee_underflow 0
		.amdhsa_exception_fp_ieee_inexact 0
		.amdhsa_exception_int_div_zero 0
	.end_amdhsa_kernel
	.section	.text._ZN5aiter43moe_smooth_per_token_scaled_quant_kernel_v1ItaLi512ELi16ELb1ELb0ELi1024EEEvPT0_PfPT_S3_PiS6_iiiii,"axG",@progbits,_ZN5aiter43moe_smooth_per_token_scaled_quant_kernel_v1ItaLi512ELi16ELb1ELb0ELi1024EEEvPT0_PfPT_S3_PiS6_iiiii,comdat
.Lfunc_end205:
	.size	_ZN5aiter43moe_smooth_per_token_scaled_quant_kernel_v1ItaLi512ELi16ELb1ELb0ELi1024EEEvPT0_PfPT_S3_PiS6_iiiii, .Lfunc_end205-_ZN5aiter43moe_smooth_per_token_scaled_quant_kernel_v1ItaLi512ELi16ELb1ELb0ELi1024EEEvPT0_PfPT_S3_PiS6_iiiii
                                        ; -- End function
	.section	.AMDGPU.csdata,"",@progbits
; Kernel info:
; codeLenInByte = 1580
; NumSgprs: 26
; NumVgprs: 46
; ScratchSize: 0
; MemoryBound: 0
; FloatMode: 240
; IeeeMode: 1
; LDSByteSize: 64 bytes/workgroup (compile time only)
; SGPRBlocks: 3
; VGPRBlocks: 5
; NumSGPRsForWavesPerEU: 26
; NumVGPRsForWavesPerEU: 46
; Occupancy: 16
; WaveLimiterHint : 0
; COMPUTE_PGM_RSRC2:SCRATCH_EN: 0
; COMPUTE_PGM_RSRC2:USER_SGPR: 15
; COMPUTE_PGM_RSRC2:TRAP_HANDLER: 0
; COMPUTE_PGM_RSRC2:TGID_X_EN: 1
; COMPUTE_PGM_RSRC2:TGID_Y_EN: 0
; COMPUTE_PGM_RSRC2:TGID_Z_EN: 0
; COMPUTE_PGM_RSRC2:TIDIG_COMP_CNT: 0
	.section	.text._ZN5aiter43moe_smooth_per_token_scaled_quant_kernel_v1IDF16_aLi512ELi16ELb0ELb1ELi1024EEEvPT0_PfPT_S3_PiS6_iiiii,"axG",@progbits,_ZN5aiter43moe_smooth_per_token_scaled_quant_kernel_v1IDF16_aLi512ELi16ELb0ELb1ELi1024EEEvPT0_PfPT_S3_PiS6_iiiii,comdat
	.protected	_ZN5aiter43moe_smooth_per_token_scaled_quant_kernel_v1IDF16_aLi512ELi16ELb0ELb1ELi1024EEEvPT0_PfPT_S3_PiS6_iiiii ; -- Begin function _ZN5aiter43moe_smooth_per_token_scaled_quant_kernel_v1IDF16_aLi512ELi16ELb0ELb1ELi1024EEEvPT0_PfPT_S3_PiS6_iiiii
	.globl	_ZN5aiter43moe_smooth_per_token_scaled_quant_kernel_v1IDF16_aLi512ELi16ELb0ELb1ELi1024EEEvPT0_PfPT_S3_PiS6_iiiii
	.p2align	8
	.type	_ZN5aiter43moe_smooth_per_token_scaled_quant_kernel_v1IDF16_aLi512ELi16ELb0ELb1ELi1024EEEvPT0_PfPT_S3_PiS6_iiiii,@function
_ZN5aiter43moe_smooth_per_token_scaled_quant_kernel_v1IDF16_aLi512ELi16ELb0ELb1ELi1024EEEvPT0_PfPT_S3_PiS6_iiiii: ; @_ZN5aiter43moe_smooth_per_token_scaled_quant_kernel_v1IDF16_aLi512ELi16ELb0ELb1ELi1024EEEvPT0_PfPT_S3_PiS6_iiiii
; %bb.0:
	s_clause 0x2
	s_load_b128 s[4:7], s[0:1], 0x34
	s_load_b128 s[8:11], s[0:1], 0x20
	s_load_b64 s[2:3], s[0:1], 0x10
	v_and_b32_e32 v20, 31, v0
	v_lshlrev_b32_e32 v10, 2, v0
	s_mov_b32 s19, -1
	s_delay_alu instid0(VALU_DEP_2)
	v_lshlrev_b32_e32 v1, 2, v20
	s_waitcnt lgkmcnt(0)
	s_mul_i32 s20, s15, s4
	s_lshl_b32 s18, s7, 2
	s_ashr_i32 s21, s20, 31
	s_and_b32 s17, s11, 0xffff
	s_mov_b32 s16, s10
	s_lshl_b64 s[12:13], s[20:21], 2
	s_clause 0x1
	buffer_load_b32 v11, v10, s[16:19], 0 offen
	buffer_load_b32 v12, v10, s[16:19], 0 offen offset:2048
	s_add_u32 s16, s8, s12
	s_addc_u32 s8, s9, s13
	s_lshl_b32 s18, s4, 2
	s_and_b32 s17, s8, 0xffff
	s_mul_hi_i32 s11, s6, s15
	s_mul_i32 s10, s6, s15
	buffer_load_b32 v9, v1, s[16:19], 0 offen
	s_lshl_b64 s[8:9], s[10:11], 1
	v_lshlrev_b32_e32 v1, 5, v0
	s_add_u32 s16, s2, s8
	s_addc_u32 s2, s3, s9
	s_lshl_b32 s18, s5, 1
	s_and_b32 s17, s2, 0xffff
	s_clause 0x1
	buffer_load_b128 v[5:8], v1, s[16:19], 0 offen
	buffer_load_b128 v[1:4], v1, s[16:19], 16 offen
	v_cmp_gt_i32_e32 vcc_lo, s4, v20
	s_waitcnt vmcnt(3)
	ds_store_2addr_stride64_b32 v10, v11, v12 offset1:8
	s_waitcnt vmcnt(0) expcnt(2) lgkmcnt(0)
	s_barrier
	buffer_gl0_inv
	v_cmp_gt_i32_e64 s2, s7, v9
	v_cmp_lt_i32_e64 s3, -1, v9
	s_delay_alu instid0(VALU_DEP_2)
	s_and_b32 s2, vcc_lo, s2
	s_delay_alu instid0(VALU_DEP_1) | instid1(SALU_CYCLE_1)
	s_and_b32 s3, s2, s3
	s_delay_alu instid0(SALU_CYCLE_1)
	s_and_saveexec_b32 s2, s3
	s_cbranch_execz .LBB206_2
; %bb.1:
	v_lshlrev_b32_e32 v9, 2, v9
	ds_load_b32 v9, v9
.LBB206_2:
	s_or_b32 exec_lo, exec_lo, s2
	s_cmp_lt_i32 s4, 1
	s_cbranch_scc1 .LBB206_13
; %bb.3:
	s_clause 0x1
	s_load_b128 s[8:11], s[0:1], 0x0
	s_load_b64 s[6:7], s[0:1], 0x18
	s_add_i32 s1, s5, 15
	v_lshrrev_b32_e32 v10, 16, v5
	s_ashr_i32 s2, s1, 31
	v_lshrrev_b32_e32 v11, 16, v6
	s_lshr_b32 s2, s2, 28
	v_lshrrev_b32_e32 v12, 16, v7
	v_lshrrev_b32_e32 v13, 16, v8
	;; [unrolled: 1-line block ×7, first 2 shown]
	v_and_b32_e32 v22, 15, v0
	s_add_i32 s3, s5, 3
	s_add_i32 s1, s1, s2
	s_ashr_i32 s2, s3, 31
	s_movk_i32 s0, 0x7c
	s_ashr_i32 s1, s1, 4
	s_lshr_b32 s2, s2, 30
	v_cvt_f32_f16_e32 v5, v5
	v_cvt_f32_f16_e32 v10, v10
	;; [unrolled: 1-line block ×16, first 2 shown]
	v_lshlrev_b32_e32 v18, 4, v0
	v_lshlrev_b32_e32 v19, 6, v0
	v_cmp_eq_u32_e32 vcc_lo, 31, v20
	v_and_or_b32 v20, v21, s0, 0x1000
	v_lshl_or_b32 v21, v22, 2, 0x1000
	v_cmp_eq_u32_e64 s0, 0, v0
	v_cmp_gt_u32_e64 s1, s1, v0
	v_mov_b32_e32 v0, 0
	s_add_i32 s3, s3, s2
	s_mov_b32 s21, s5
	s_lshl_b32 s14, s5, 2
	s_mov_b32 s22, 0
	s_and_b32 s18, s3, -4
	s_mov_b32 s15, -1
	s_mov_b32 s5, 0x76543210
	s_branch .LBB206_6
.LBB206_4:                              ;   in Loop: Header=BB206_6 Depth=1
	s_or_b32 exec_lo, exec_lo, s3
.LBB206_5:                              ;   in Loop: Header=BB206_6 Depth=1
	s_add_i32 s22, s22, 1
	s_delay_alu instid0(SALU_CYCLE_1)
	s_cmp_eq_u32 s4, s22
	s_cbranch_scc1 .LBB206_13
.LBB206_6:                              ; =>This Inner Loop Header: Depth=1
	s_waitcnt lgkmcnt(0)
	v_readlane_b32 s2, v9, s22
	s_delay_alu instid0(VALU_DEP_1)
	s_cmp_lt_i32 s2, 0
	s_cbranch_scc1 .LBB206_5
; %bb.7:                                ;   in Loop: Header=BB206_6 Depth=1
	s_mul_i32 s2, s2, s21
	s_delay_alu instid0(SALU_CYCLE_1) | instskip(NEXT) | instid1(SALU_CYCLE_1)
	s_ashr_i32 s3, s2, 31
	s_lshl_b64 s[2:3], s[2:3], 2
	s_delay_alu instid0(SALU_CYCLE_1) | instskip(SKIP_1) | instid1(SALU_CYCLE_1)
	s_add_u32 s12, s6, s2
	s_addc_u32 s2, s7, s3
	s_and_b32 s13, s2, 0xffff
	s_clause 0x3
	buffer_load_b128 v[22:25], v19, s[12:15], 0 offen
	buffer_load_b128 v[26:29], v19, s[12:15], 16 offen
	;; [unrolled: 1-line block ×4, first 2 shown]
	s_waitcnt vmcnt(3)
	v_dual_mul_f32 v36, v22, v5 :: v_dual_mul_f32 v37, v23, v10
	v_dual_mul_f32 v30, v24, v6 :: v_dual_mul_f32 v31, v25, v11
	s_waitcnt vmcnt(2)
	v_dual_mul_f32 v32, v26, v7 :: v_dual_mul_f32 v33, v27, v12
	s_delay_alu instid0(VALU_DEP_3) | instskip(SKIP_3) | instid1(VALU_DEP_3)
	v_max3_f32 v22, |v36|, 0x2edbe6ff, |v37|
	v_dual_mul_f32 v34, v28, v8 :: v_dual_mul_f32 v35, v29, v13
	s_waitcnt vmcnt(1)
	v_dual_mul_f32 v27, v38, v1 :: v_dual_mul_f32 v28, v39, v14
	v_max3_f32 v22, v22, |v30|, |v31|
	s_waitcnt vmcnt(0)
	v_mul_f32_e32 v25, v42, v3
	v_dual_mul_f32 v29, v43, v16 :: v_dual_mul_f32 v26, v45, v17
	v_mul_f32_e32 v23, v41, v15
	v_max3_f32 v22, v22, |v32|, |v33|
	s_delay_alu instid0(VALU_DEP_1) | instskip(SKIP_1) | instid1(VALU_DEP_2)
	v_max3_f32 v24, v22, |v34|, |v35|
	v_mul_f32_e32 v22, v40, v2
	v_max3_f32 v24, v24, |v27|, |v28|
	s_delay_alu instid0(VALU_DEP_1) | instskip(SKIP_1) | instid1(VALU_DEP_2)
	v_max3_f32 v38, v24, |v22|, |v23|
	v_mul_f32_e32 v24, v44, v4
	v_max3_f32 v38, v38, |v25|, |v29|
	s_delay_alu instid0(VALU_DEP_1) | instskip(NEXT) | instid1(VALU_DEP_1)
	v_max3_f32 v38, v38, |v24|, |v26|
	v_mov_b32_dpp v39, v38 quad_perm:[1,0,3,2] row_mask:0xf bank_mask:0xf
	s_delay_alu instid0(VALU_DEP_1) | instskip(NEXT) | instid1(VALU_DEP_1)
	v_cmp_gt_f32_e64 s2, v38, v39
	v_cndmask_b32_e64 v38, v39, v38, s2
	s_delay_alu instid0(VALU_DEP_1) | instskip(NEXT) | instid1(VALU_DEP_1)
	v_mov_b32_dpp v39, v38 quad_perm:[2,3,0,1] row_mask:0xf bank_mask:0xf
	v_cmp_gt_f32_e64 s2, v38, v39
	s_delay_alu instid0(VALU_DEP_1) | instskip(NEXT) | instid1(VALU_DEP_1)
	v_cndmask_b32_e64 v38, v39, v38, s2
	v_mov_b32_dpp v39, v38 row_xmask:7 row_mask:0xf bank_mask:0xf
	s_delay_alu instid0(VALU_DEP_1) | instskip(NEXT) | instid1(VALU_DEP_1)
	v_cmp_gt_f32_e64 s2, v38, v39
	v_cndmask_b32_e64 v38, v39, v38, s2
	s_delay_alu instid0(VALU_DEP_1) | instskip(NEXT) | instid1(VALU_DEP_1)
	v_mov_b32_dpp v39, v38 row_xmask:15 row_mask:0xf bank_mask:0xf
	v_cmp_gt_f32_e64 s2, v38, v39
	s_and_saveexec_b32 s3, vcc_lo
	s_cbranch_execz .LBB206_9
; %bb.8:                                ;   in Loop: Header=BB206_6 Depth=1
	s_delay_alu instid0(VALU_DEP_1) | instskip(NEXT) | instid1(VALU_DEP_1)
	v_cndmask_b32_e64 v38, v39, v38, s2
	v_permlanex16_b32 v39, v38, s5, 0xfedcba98 op_sel:[1,1]
	s_delay_alu instid0(VALU_DEP_1) | instskip(NEXT) | instid1(VALU_DEP_1)
	v_cmp_gt_f32_e64 s2, v38, v39
	v_cndmask_b32_e64 v38, v39, v38, s2
	ds_store_b32 v20, v38
.LBB206_9:                              ;   in Loop: Header=BB206_6 Depth=1
	s_or_b32 exec_lo, exec_lo, s3
	s_waitcnt lgkmcnt(0)
	s_waitcnt_vscnt null, 0x0
	s_barrier
	buffer_gl0_inv
	ds_load_b32 v38, v21
	s_waitcnt lgkmcnt(0)
	v_mov_b32_dpp v39, v38 quad_perm:[1,0,3,2] row_mask:0xf bank_mask:0xf
	s_delay_alu instid0(VALU_DEP_1) | instskip(NEXT) | instid1(VALU_DEP_1)
	v_cmp_gt_f32_e64 s2, v38, v39
	v_cndmask_b32_e64 v38, v39, v38, s2
	s_delay_alu instid0(VALU_DEP_1) | instskip(NEXT) | instid1(VALU_DEP_1)
	v_mov_b32_dpp v39, v38 quad_perm:[2,3,0,1] row_mask:0xf bank_mask:0xf
	v_cmp_gt_f32_e64 s2, v38, v39
	s_delay_alu instid0(VALU_DEP_1) | instskip(NEXT) | instid1(VALU_DEP_1)
	v_cndmask_b32_e64 v38, v39, v38, s2
	v_mov_b32_dpp v39, v38 row_xmask:7 row_mask:0xf bank_mask:0xf
	s_delay_alu instid0(VALU_DEP_1) | instskip(NEXT) | instid1(VALU_DEP_1)
	v_cmp_gt_f32_e64 s2, v38, v39
	v_cndmask_b32_e64 v38, v39, v38, s2
	s_delay_alu instid0(VALU_DEP_1) | instskip(NEXT) | instid1(VALU_DEP_1)
	v_mov_b32_dpp v39, v38 row_xmask:15 row_mask:0xf bank_mask:0xf
	v_cmp_gt_f32_e64 s2, v38, v39
	s_delay_alu instid0(VALU_DEP_1) | instskip(SKIP_1) | instid1(VALU_DEP_1)
	v_cndmask_b32_e64 v38, v39, v38, s2
	s_add_i32 s2, s20, s22
	v_mul_f32_e32 v38, 0x3c010204, v38
	s_and_saveexec_b32 s12, s0
	s_cbranch_execz .LBB206_11
; %bb.10:                               ;   in Loop: Header=BB206_6 Depth=1
	s_ashr_i32 s3, s2, 31
	s_delay_alu instid0(SALU_CYCLE_1) | instskip(NEXT) | instid1(SALU_CYCLE_1)
	s_lshl_b64 s[16:17], s[2:3], 2
	s_add_u32 s16, s10, s16
	s_addc_u32 s17, s11, s17
	global_store_b32 v0, v38, s[16:17]
.LBB206_11:                             ;   in Loop: Header=BB206_6 Depth=1
	s_or_b32 exec_lo, exec_lo, s12
	s_and_saveexec_b32 s3, s1
	s_cbranch_execz .LBB206_4
; %bb.12:                               ;   in Loop: Header=BB206_6 Depth=1
	v_rcp_f32_e32 v38, v38
	s_mul_i32 s12, s2, s21
	s_mul_hi_i32 s2, s2, s21
	s_add_u32 s16, s8, s12
	s_addc_u32 s2, s9, s2
	s_mov_b32 s19, s15
	s_and_b32 s17, s2, 0xffff
	s_waitcnt_depctr 0xfff
	v_mul_f32_e32 v29, v29, v38
	v_mul_f32_e32 v25, v25, v38
	;; [unrolled: 1-line block ×5, first 2 shown]
	v_cvt_i32_f32_e32 v29, v29
	v_cvt_i32_f32_e32 v25, v25
	v_mul_f32_e32 v36, v36, v38
	v_mul_f32_e32 v24, v24, v38
	v_cvt_i32_f32_e32 v27, v27
	v_lshlrev_b16 v29, 8, v29
	v_and_b32_e32 v25, 0xff, v25
	v_cvt_i32_f32_e32 v26, v26
	v_cvt_i32_f32_e32 v24, v24
	;; [unrolled: 1-line block ×3, first 2 shown]
	v_mul_f32_e32 v37, v37, v38
	v_or_b32_e32 v25, v25, v29
	v_mul_f32_e32 v32, v32, v38
	v_dual_mul_f32 v30, v30, v38 :: v_dual_and_b32 v27, 0xff, v27
	v_lshlrev_b16 v26, 8, v26
	v_and_b32_e32 v24, 0xff, v24
	v_lshlrev_b16 v28, 8, v28
	v_mul_f32_e32 v23, v23, v38
	v_dual_mul_f32 v22, v22, v38 :: v_dual_and_b32 v25, 0xffff, v25
	v_cvt_i32_f32_e32 v32, v32
	v_mul_f32_e32 v33, v33, v38
	v_or_b32_e32 v24, v24, v26
	v_or_b32_e32 v26, v27, v28
	v_cvt_i32_f32_e32 v23, v23
	v_and_b32_e32 v28, 0xff, v32
	v_cvt_i32_f32_e32 v33, v33
	v_cvt_i32_f32_e32 v22, v22
	v_dual_mul_f32 v31, v31, v38 :: v_dual_lshlrev_b32 v24, 16, v24
	v_lshlrev_b16 v23, 8, v23
	s_delay_alu instid0(VALU_DEP_4) | instskip(NEXT) | instid1(VALU_DEP_4)
	v_lshlrev_b16 v27, 8, v33
	v_and_b32_e32 v22, 0xff, v22
	v_cvt_i32_f32_e32 v36, v36
	v_mul_f32_e32 v35, v35, v38
	v_cvt_i32_f32_e32 v37, v37
	v_cvt_i32_f32_e32 v30, v30
	v_or_b32_e32 v22, v22, v23
	v_or_b32_e32 v23, v28, v27
	v_mul_f32_e32 v34, v34, v38
	v_cvt_i32_f32_e32 v31, v31
	v_lshlrev_b16 v33, 8, v37
	v_and_b32_e32 v30, 0xff, v30
	v_and_b32_e32 v23, 0xffff, v23
	v_cvt_i32_f32_e32 v34, v34
	v_lshlrev_b16 v31, 8, v31
	v_and_b32_e32 v26, 0xffff, v26
	v_lshlrev_b32_e32 v22, 16, v22
	v_or_b32_e32 v25, v25, v24
	v_and_b32_e32 v32, 0xff, v34
	v_and_b32_e32 v34, 0xff, v36
	v_cvt_i32_f32_e32 v35, v35
	v_or_b32_e32 v24, v26, v22
	s_delay_alu instid0(VALU_DEP_3) | instskip(NEXT) | instid1(VALU_DEP_3)
	v_or_b32_e32 v28, v34, v33
	v_lshlrev_b16 v29, 8, v35
	s_delay_alu instid0(VALU_DEP_2) | instskip(NEXT) | instid1(VALU_DEP_2)
	v_and_b32_e32 v28, 0xffff, v28
	v_or_b32_e32 v27, v32, v29
	v_or_b32_e32 v29, v30, v31
	s_delay_alu instid0(VALU_DEP_2) | instskip(NEXT) | instid1(VALU_DEP_2)
	v_lshlrev_b32_e32 v27, 16, v27
	v_lshlrev_b32_e32 v29, 16, v29
	s_delay_alu instid0(VALU_DEP_2) | instskip(NEXT) | instid1(VALU_DEP_2)
	v_or_b32_e32 v23, v23, v27
	v_or_b32_e32 v22, v28, v29
	buffer_store_b128 v[22:25], v18, s[16:19], 0 offen
	;;#ASMSTART
	s_nop 0
	;;#ASMEND
	s_branch .LBB206_4
.LBB206_13:
	s_nop 0
	s_sendmsg sendmsg(MSG_DEALLOC_VGPRS)
	s_endpgm
	.section	.rodata,"a",@progbits
	.p2align	6, 0x0
	.amdhsa_kernel _ZN5aiter43moe_smooth_per_token_scaled_quant_kernel_v1IDF16_aLi512ELi16ELb0ELb1ELi1024EEEvPT0_PfPT_S3_PiS6_iiiii
		.amdhsa_group_segment_fixed_size 4160
		.amdhsa_private_segment_fixed_size 0
		.amdhsa_kernarg_size 68
		.amdhsa_user_sgpr_count 15
		.amdhsa_user_sgpr_dispatch_ptr 0
		.amdhsa_user_sgpr_queue_ptr 0
		.amdhsa_user_sgpr_kernarg_segment_ptr 1
		.amdhsa_user_sgpr_dispatch_id 0
		.amdhsa_user_sgpr_private_segment_size 0
		.amdhsa_wavefront_size32 1
		.amdhsa_uses_dynamic_stack 0
		.amdhsa_enable_private_segment 0
		.amdhsa_system_sgpr_workgroup_id_x 1
		.amdhsa_system_sgpr_workgroup_id_y 0
		.amdhsa_system_sgpr_workgroup_id_z 0
		.amdhsa_system_sgpr_workgroup_info 0
		.amdhsa_system_vgpr_workitem_id 0
		.amdhsa_next_free_vgpr 46
		.amdhsa_next_free_sgpr 23
		.amdhsa_reserve_vcc 1
		.amdhsa_float_round_mode_32 0
		.amdhsa_float_round_mode_16_64 0
		.amdhsa_float_denorm_mode_32 3
		.amdhsa_float_denorm_mode_16_64 3
		.amdhsa_dx10_clamp 1
		.amdhsa_ieee_mode 1
		.amdhsa_fp16_overflow 0
		.amdhsa_workgroup_processor_mode 1
		.amdhsa_memory_ordered 1
		.amdhsa_forward_progress 0
		.amdhsa_shared_vgpr_count 0
		.amdhsa_exception_fp_ieee_invalid_op 0
		.amdhsa_exception_fp_denorm_src 0
		.amdhsa_exception_fp_ieee_div_zero 0
		.amdhsa_exception_fp_ieee_overflow 0
		.amdhsa_exception_fp_ieee_underflow 0
		.amdhsa_exception_fp_ieee_inexact 0
		.amdhsa_exception_int_div_zero 0
	.end_amdhsa_kernel
	.section	.text._ZN5aiter43moe_smooth_per_token_scaled_quant_kernel_v1IDF16_aLi512ELi16ELb0ELb1ELi1024EEEvPT0_PfPT_S3_PiS6_iiiii,"axG",@progbits,_ZN5aiter43moe_smooth_per_token_scaled_quant_kernel_v1IDF16_aLi512ELi16ELb0ELb1ELi1024EEEvPT0_PfPT_S3_PiS6_iiiii,comdat
.Lfunc_end206:
	.size	_ZN5aiter43moe_smooth_per_token_scaled_quant_kernel_v1IDF16_aLi512ELi16ELb0ELb1ELi1024EEEvPT0_PfPT_S3_PiS6_iiiii, .Lfunc_end206-_ZN5aiter43moe_smooth_per_token_scaled_quant_kernel_v1IDF16_aLi512ELi16ELb0ELb1ELi1024EEEvPT0_PfPT_S3_PiS6_iiiii
                                        ; -- End function
	.section	.AMDGPU.csdata,"",@progbits
; Kernel info:
; codeLenInByte = 1652
; NumSgprs: 25
; NumVgprs: 46
; ScratchSize: 0
; MemoryBound: 0
; FloatMode: 240
; IeeeMode: 1
; LDSByteSize: 4160 bytes/workgroup (compile time only)
; SGPRBlocks: 3
; VGPRBlocks: 5
; NumSGPRsForWavesPerEU: 25
; NumVGPRsForWavesPerEU: 46
; Occupancy: 16
; WaveLimiterHint : 0
; COMPUTE_PGM_RSRC2:SCRATCH_EN: 0
; COMPUTE_PGM_RSRC2:USER_SGPR: 15
; COMPUTE_PGM_RSRC2:TRAP_HANDLER: 0
; COMPUTE_PGM_RSRC2:TGID_X_EN: 1
; COMPUTE_PGM_RSRC2:TGID_Y_EN: 0
; COMPUTE_PGM_RSRC2:TGID_Z_EN: 0
; COMPUTE_PGM_RSRC2:TIDIG_COMP_CNT: 0
	.section	.text._ZN5aiter43moe_smooth_per_token_scaled_quant_kernel_v1ItaLi512ELi16ELb0ELb1ELi1024EEEvPT0_PfPT_S3_PiS6_iiiii,"axG",@progbits,_ZN5aiter43moe_smooth_per_token_scaled_quant_kernel_v1ItaLi512ELi16ELb0ELb1ELi1024EEEvPT0_PfPT_S3_PiS6_iiiii,comdat
	.protected	_ZN5aiter43moe_smooth_per_token_scaled_quant_kernel_v1ItaLi512ELi16ELb0ELb1ELi1024EEEvPT0_PfPT_S3_PiS6_iiiii ; -- Begin function _ZN5aiter43moe_smooth_per_token_scaled_quant_kernel_v1ItaLi512ELi16ELb0ELb1ELi1024EEEvPT0_PfPT_S3_PiS6_iiiii
	.globl	_ZN5aiter43moe_smooth_per_token_scaled_quant_kernel_v1ItaLi512ELi16ELb0ELb1ELi1024EEEvPT0_PfPT_S3_PiS6_iiiii
	.p2align	8
	.type	_ZN5aiter43moe_smooth_per_token_scaled_quant_kernel_v1ItaLi512ELi16ELb0ELb1ELi1024EEEvPT0_PfPT_S3_PiS6_iiiii,@function
_ZN5aiter43moe_smooth_per_token_scaled_quant_kernel_v1ItaLi512ELi16ELb0ELb1ELi1024EEEvPT0_PfPT_S3_PiS6_iiiii: ; @_ZN5aiter43moe_smooth_per_token_scaled_quant_kernel_v1ItaLi512ELi16ELb0ELb1ELi1024EEEvPT0_PfPT_S3_PiS6_iiiii
; %bb.0:
	s_clause 0x2
	s_load_b128 s[4:7], s[0:1], 0x34
	s_load_b128 s[8:11], s[0:1], 0x20
	s_load_b64 s[2:3], s[0:1], 0x10
	v_and_b32_e32 v20, 31, v0
	v_lshlrev_b32_e32 v10, 2, v0
	s_mov_b32 s19, -1
	s_delay_alu instid0(VALU_DEP_2)
	v_lshlrev_b32_e32 v1, 2, v20
	s_waitcnt lgkmcnt(0)
	s_mul_i32 s20, s15, s4
	s_lshl_b32 s18, s7, 2
	s_ashr_i32 s21, s20, 31
	s_and_b32 s17, s11, 0xffff
	s_mov_b32 s16, s10
	s_lshl_b64 s[12:13], s[20:21], 2
	s_clause 0x1
	buffer_load_b32 v11, v10, s[16:19], 0 offen
	buffer_load_b32 v12, v10, s[16:19], 0 offen offset:2048
	s_add_u32 s16, s8, s12
	s_addc_u32 s8, s9, s13
	s_lshl_b32 s18, s4, 2
	s_and_b32 s17, s8, 0xffff
	s_mul_hi_i32 s11, s6, s15
	s_mul_i32 s10, s6, s15
	buffer_load_b32 v9, v1, s[16:19], 0 offen
	s_lshl_b64 s[8:9], s[10:11], 1
	v_lshlrev_b32_e32 v1, 5, v0
	s_add_u32 s16, s2, s8
	s_addc_u32 s2, s3, s9
	s_lshl_b32 s18, s5, 1
	s_and_b32 s17, s2, 0xffff
	s_clause 0x1
	buffer_load_b128 v[5:8], v1, s[16:19], 0 offen
	buffer_load_b128 v[1:4], v1, s[16:19], 16 offen
	v_cmp_gt_i32_e32 vcc_lo, s4, v20
	s_waitcnt vmcnt(3)
	ds_store_2addr_stride64_b32 v10, v11, v12 offset1:8
	s_waitcnt vmcnt(0) expcnt(2) lgkmcnt(0)
	s_barrier
	buffer_gl0_inv
	v_cmp_gt_i32_e64 s2, s7, v9
	v_cmp_lt_i32_e64 s3, -1, v9
	s_delay_alu instid0(VALU_DEP_2)
	s_and_b32 s2, vcc_lo, s2
	s_delay_alu instid0(VALU_DEP_1) | instid1(SALU_CYCLE_1)
	s_and_b32 s3, s2, s3
	s_delay_alu instid0(SALU_CYCLE_1)
	s_and_saveexec_b32 s2, s3
	s_cbranch_execz .LBB207_2
; %bb.1:
	v_lshlrev_b32_e32 v9, 2, v9
	ds_load_b32 v9, v9
.LBB207_2:
	s_or_b32 exec_lo, exec_lo, s2
	s_cmp_lt_i32 s4, 1
	s_cbranch_scc1 .LBB207_13
; %bb.3:
	v_and_b32_e32 v10, 0xffff, v5
	s_clause 0x1
	s_load_b128 s[8:11], s[0:1], 0x0
	s_load_b64 s[6:7], s[0:1], 0x18
	v_lshrrev_b32_e32 v11, 16, v5
	v_and_b32_e32 v12, 0xffff, v6
	v_and_b32_e32 v13, 0xffff, v7
	v_lshrrev_b32_e32 v14, 16, v7
	v_cvt_f32_u32_e32 v5, v10
	v_lshrrev_b32_e32 v10, 16, v6
	v_cvt_f32_u32_e32 v6, v11
	v_cvt_f32_u32_e32 v7, v12
	;; [unrolled: 1-line block ×4, first 2 shown]
	v_and_b32_e32 v13, 0xffff, v8
	v_and_b32_e32 v14, 0xffff, v1
	v_lshrrev_b32_e32 v15, 16, v1
	v_and_b32_e32 v16, 0xffff, v2
	s_add_i32 s1, s5, 15
	v_lshrrev_b32_e32 v8, 16, v8
	s_ashr_i32 s2, s1, 31
	v_cvt_f32_u32_e32 v1, v13
	s_lshr_b32 s2, s2, 28
	v_cvt_f32_u32_e32 v13, v14
	v_cvt_f32_u32_e32 v14, v15
	;; [unrolled: 1-line block ×3, first 2 shown]
	v_lshrrev_b32_e32 v2, 16, v2
	v_and_b32_e32 v16, 0xffff, v3
	v_lshrrev_b32_e32 v17, 16, v3
	v_and_b32_e32 v18, 0xffff, v4
	v_lshrrev_b32_e32 v19, 16, v4
	v_lshrrev_b32_e32 v21, 3, v0
	v_and_b32_e32 v22, 15, v0
	s_add_i32 s3, s5, 3
	s_add_i32 s1, s1, s2
	s_ashr_i32 s2, s3, 31
	s_movk_i32 s0, 0x7c
	s_ashr_i32 s1, s1, 4
	s_lshr_b32 s2, s2, 30
	v_cvt_f32_u32_e32 v10, v10
	v_cvt_f32_u32_e32 v8, v8
	;; [unrolled: 1-line block ×7, first 2 shown]
	v_lshlrev_b32_e32 v18, 4, v0
	v_lshlrev_b32_e32 v19, 6, v0
	v_cmp_eq_u32_e32 vcc_lo, 31, v20
	v_and_or_b32 v20, v21, s0, 0x1000
	v_lshl_or_b32 v21, v22, 2, 0x1000
	v_cmp_eq_u32_e64 s0, 0, v0
	v_cmp_gt_u32_e64 s1, s1, v0
	v_mov_b32_e32 v0, 0
	s_add_i32 s3, s3, s2
	s_mov_b32 s21, s5
	s_lshl_b32 s14, s5, 2
	s_mov_b32 s22, 0
	s_and_b32 s18, s3, -4
	s_mov_b32 s15, -1
	s_mov_b32 s5, 0x76543210
	s_branch .LBB207_6
.LBB207_4:                              ;   in Loop: Header=BB207_6 Depth=1
	s_or_b32 exec_lo, exec_lo, s3
.LBB207_5:                              ;   in Loop: Header=BB207_6 Depth=1
	s_add_i32 s22, s22, 1
	s_delay_alu instid0(SALU_CYCLE_1)
	s_cmp_eq_u32 s4, s22
	s_cbranch_scc1 .LBB207_13
.LBB207_6:                              ; =>This Inner Loop Header: Depth=1
	s_waitcnt lgkmcnt(0)
	v_readlane_b32 s2, v9, s22
	s_delay_alu instid0(VALU_DEP_1)
	s_cmp_lt_i32 s2, 0
	s_cbranch_scc1 .LBB207_5
; %bb.7:                                ;   in Loop: Header=BB207_6 Depth=1
	s_mul_i32 s2, s2, s21
	s_delay_alu instid0(SALU_CYCLE_1) | instskip(NEXT) | instid1(SALU_CYCLE_1)
	s_ashr_i32 s3, s2, 31
	s_lshl_b64 s[2:3], s[2:3], 2
	s_delay_alu instid0(SALU_CYCLE_1) | instskip(SKIP_1) | instid1(SALU_CYCLE_1)
	s_add_u32 s12, s6, s2
	s_addc_u32 s2, s7, s3
	s_and_b32 s13, s2, 0xffff
	s_clause 0x3
	buffer_load_b128 v[22:25], v19, s[12:15], 0 offen
	buffer_load_b128 v[26:29], v19, s[12:15], 16 offen
	;; [unrolled: 1-line block ×4, first 2 shown]
	s_waitcnt vmcnt(3)
	v_dual_mul_f32 v36, v22, v5 :: v_dual_mul_f32 v37, v23, v6
	v_dual_mul_f32 v30, v24, v7 :: v_dual_mul_f32 v31, v25, v10
	s_waitcnt vmcnt(2)
	v_dual_mul_f32 v32, v26, v11 :: v_dual_mul_f32 v33, v27, v12
	s_delay_alu instid0(VALU_DEP_3) | instskip(SKIP_3) | instid1(VALU_DEP_3)
	v_max3_f32 v22, |v36|, 0x2edbe6ff, |v37|
	v_dual_mul_f32 v34, v28, v1 :: v_dual_mul_f32 v35, v29, v8
	s_waitcnt vmcnt(1)
	v_dual_mul_f32 v27, v38, v13 :: v_dual_mul_f32 v28, v39, v14
	v_max3_f32 v22, v22, |v30|, |v31|
	s_waitcnt vmcnt(0)
	v_mul_f32_e32 v25, v42, v3
	v_dual_mul_f32 v29, v43, v4 :: v_dual_mul_f32 v26, v45, v17
	v_mul_f32_e32 v23, v41, v2
	v_max3_f32 v22, v22, |v32|, |v33|
	s_delay_alu instid0(VALU_DEP_1) | instskip(SKIP_1) | instid1(VALU_DEP_2)
	v_max3_f32 v24, v22, |v34|, |v35|
	v_mul_f32_e32 v22, v40, v15
	v_max3_f32 v24, v24, |v27|, |v28|
	s_delay_alu instid0(VALU_DEP_1) | instskip(SKIP_1) | instid1(VALU_DEP_2)
	v_max3_f32 v38, v24, |v22|, |v23|
	v_mul_f32_e32 v24, v44, v16
	v_max3_f32 v38, v38, |v25|, |v29|
	s_delay_alu instid0(VALU_DEP_1) | instskip(NEXT) | instid1(VALU_DEP_1)
	v_max3_f32 v38, v38, |v24|, |v26|
	v_mov_b32_dpp v39, v38 quad_perm:[1,0,3,2] row_mask:0xf bank_mask:0xf
	s_delay_alu instid0(VALU_DEP_1) | instskip(NEXT) | instid1(VALU_DEP_1)
	v_cmp_gt_f32_e64 s2, v38, v39
	v_cndmask_b32_e64 v38, v39, v38, s2
	s_delay_alu instid0(VALU_DEP_1) | instskip(NEXT) | instid1(VALU_DEP_1)
	v_mov_b32_dpp v39, v38 quad_perm:[2,3,0,1] row_mask:0xf bank_mask:0xf
	v_cmp_gt_f32_e64 s2, v38, v39
	s_delay_alu instid0(VALU_DEP_1) | instskip(NEXT) | instid1(VALU_DEP_1)
	v_cndmask_b32_e64 v38, v39, v38, s2
	v_mov_b32_dpp v39, v38 row_xmask:7 row_mask:0xf bank_mask:0xf
	s_delay_alu instid0(VALU_DEP_1) | instskip(NEXT) | instid1(VALU_DEP_1)
	v_cmp_gt_f32_e64 s2, v38, v39
	v_cndmask_b32_e64 v38, v39, v38, s2
	s_delay_alu instid0(VALU_DEP_1) | instskip(NEXT) | instid1(VALU_DEP_1)
	v_mov_b32_dpp v39, v38 row_xmask:15 row_mask:0xf bank_mask:0xf
	v_cmp_gt_f32_e64 s2, v38, v39
	s_and_saveexec_b32 s3, vcc_lo
	s_cbranch_execz .LBB207_9
; %bb.8:                                ;   in Loop: Header=BB207_6 Depth=1
	s_delay_alu instid0(VALU_DEP_1) | instskip(NEXT) | instid1(VALU_DEP_1)
	v_cndmask_b32_e64 v38, v39, v38, s2
	v_permlanex16_b32 v39, v38, s5, 0xfedcba98 op_sel:[1,1]
	s_delay_alu instid0(VALU_DEP_1) | instskip(NEXT) | instid1(VALU_DEP_1)
	v_cmp_gt_f32_e64 s2, v38, v39
	v_cndmask_b32_e64 v38, v39, v38, s2
	ds_store_b32 v20, v38
.LBB207_9:                              ;   in Loop: Header=BB207_6 Depth=1
	s_or_b32 exec_lo, exec_lo, s3
	s_waitcnt lgkmcnt(0)
	s_waitcnt_vscnt null, 0x0
	s_barrier
	buffer_gl0_inv
	ds_load_b32 v38, v21
	s_waitcnt lgkmcnt(0)
	v_mov_b32_dpp v39, v38 quad_perm:[1,0,3,2] row_mask:0xf bank_mask:0xf
	s_delay_alu instid0(VALU_DEP_1) | instskip(NEXT) | instid1(VALU_DEP_1)
	v_cmp_gt_f32_e64 s2, v38, v39
	v_cndmask_b32_e64 v38, v39, v38, s2
	s_delay_alu instid0(VALU_DEP_1) | instskip(NEXT) | instid1(VALU_DEP_1)
	v_mov_b32_dpp v39, v38 quad_perm:[2,3,0,1] row_mask:0xf bank_mask:0xf
	v_cmp_gt_f32_e64 s2, v38, v39
	s_delay_alu instid0(VALU_DEP_1) | instskip(NEXT) | instid1(VALU_DEP_1)
	v_cndmask_b32_e64 v38, v39, v38, s2
	v_mov_b32_dpp v39, v38 row_xmask:7 row_mask:0xf bank_mask:0xf
	s_delay_alu instid0(VALU_DEP_1) | instskip(NEXT) | instid1(VALU_DEP_1)
	v_cmp_gt_f32_e64 s2, v38, v39
	v_cndmask_b32_e64 v38, v39, v38, s2
	s_delay_alu instid0(VALU_DEP_1) | instskip(NEXT) | instid1(VALU_DEP_1)
	v_mov_b32_dpp v39, v38 row_xmask:15 row_mask:0xf bank_mask:0xf
	v_cmp_gt_f32_e64 s2, v38, v39
	s_delay_alu instid0(VALU_DEP_1) | instskip(SKIP_1) | instid1(VALU_DEP_1)
	v_cndmask_b32_e64 v38, v39, v38, s2
	s_add_i32 s2, s20, s22
	v_mul_f32_e32 v38, 0x3c010204, v38
	s_and_saveexec_b32 s12, s0
	s_cbranch_execz .LBB207_11
; %bb.10:                               ;   in Loop: Header=BB207_6 Depth=1
	s_ashr_i32 s3, s2, 31
	s_delay_alu instid0(SALU_CYCLE_1) | instskip(NEXT) | instid1(SALU_CYCLE_1)
	s_lshl_b64 s[16:17], s[2:3], 2
	s_add_u32 s16, s10, s16
	s_addc_u32 s17, s11, s17
	global_store_b32 v0, v38, s[16:17]
.LBB207_11:                             ;   in Loop: Header=BB207_6 Depth=1
	s_or_b32 exec_lo, exec_lo, s12
	s_and_saveexec_b32 s3, s1
	s_cbranch_execz .LBB207_4
; %bb.12:                               ;   in Loop: Header=BB207_6 Depth=1
	v_rcp_f32_e32 v38, v38
	s_mul_i32 s12, s2, s21
	s_mul_hi_i32 s2, s2, s21
	s_add_u32 s16, s8, s12
	s_addc_u32 s2, s9, s2
	s_mov_b32 s19, s15
	s_and_b32 s17, s2, 0xffff
	s_waitcnt_depctr 0xfff
	v_mul_f32_e32 v29, v29, v38
	v_mul_f32_e32 v25, v25, v38
	;; [unrolled: 1-line block ×5, first 2 shown]
	v_cvt_i32_f32_e32 v29, v29
	v_cvt_i32_f32_e32 v25, v25
	v_mul_f32_e32 v36, v36, v38
	v_mul_f32_e32 v24, v24, v38
	v_cvt_i32_f32_e32 v27, v27
	v_lshlrev_b16 v29, 8, v29
	v_and_b32_e32 v25, 0xff, v25
	v_cvt_i32_f32_e32 v26, v26
	v_cvt_i32_f32_e32 v24, v24
	;; [unrolled: 1-line block ×3, first 2 shown]
	v_mul_f32_e32 v37, v37, v38
	v_or_b32_e32 v25, v25, v29
	v_mul_f32_e32 v32, v32, v38
	v_dual_mul_f32 v30, v30, v38 :: v_dual_and_b32 v27, 0xff, v27
	v_lshlrev_b16 v26, 8, v26
	v_and_b32_e32 v24, 0xff, v24
	v_lshlrev_b16 v28, 8, v28
	v_mul_f32_e32 v23, v23, v38
	v_dual_mul_f32 v22, v22, v38 :: v_dual_and_b32 v25, 0xffff, v25
	v_cvt_i32_f32_e32 v32, v32
	v_mul_f32_e32 v33, v33, v38
	v_or_b32_e32 v24, v24, v26
	v_or_b32_e32 v26, v27, v28
	v_cvt_i32_f32_e32 v23, v23
	v_and_b32_e32 v28, 0xff, v32
	v_cvt_i32_f32_e32 v33, v33
	v_cvt_i32_f32_e32 v22, v22
	v_dual_mul_f32 v31, v31, v38 :: v_dual_lshlrev_b32 v24, 16, v24
	v_lshlrev_b16 v23, 8, v23
	s_delay_alu instid0(VALU_DEP_4) | instskip(NEXT) | instid1(VALU_DEP_4)
	v_lshlrev_b16 v27, 8, v33
	v_and_b32_e32 v22, 0xff, v22
	v_cvt_i32_f32_e32 v36, v36
	v_mul_f32_e32 v35, v35, v38
	v_cvt_i32_f32_e32 v37, v37
	v_cvt_i32_f32_e32 v30, v30
	v_or_b32_e32 v22, v22, v23
	v_or_b32_e32 v23, v28, v27
	v_mul_f32_e32 v34, v34, v38
	v_cvt_i32_f32_e32 v31, v31
	v_lshlrev_b16 v33, 8, v37
	v_and_b32_e32 v30, 0xff, v30
	v_and_b32_e32 v23, 0xffff, v23
	v_cvt_i32_f32_e32 v34, v34
	v_lshlrev_b16 v31, 8, v31
	v_and_b32_e32 v26, 0xffff, v26
	v_lshlrev_b32_e32 v22, 16, v22
	v_or_b32_e32 v25, v25, v24
	v_and_b32_e32 v32, 0xff, v34
	v_and_b32_e32 v34, 0xff, v36
	v_cvt_i32_f32_e32 v35, v35
	v_or_b32_e32 v24, v26, v22
	s_delay_alu instid0(VALU_DEP_3) | instskip(NEXT) | instid1(VALU_DEP_3)
	v_or_b32_e32 v28, v34, v33
	v_lshlrev_b16 v29, 8, v35
	s_delay_alu instid0(VALU_DEP_2) | instskip(NEXT) | instid1(VALU_DEP_2)
	v_and_b32_e32 v28, 0xffff, v28
	v_or_b32_e32 v27, v32, v29
	v_or_b32_e32 v29, v30, v31
	s_delay_alu instid0(VALU_DEP_2) | instskip(NEXT) | instid1(VALU_DEP_2)
	v_lshlrev_b32_e32 v27, 16, v27
	v_lshlrev_b32_e32 v29, 16, v29
	s_delay_alu instid0(VALU_DEP_2) | instskip(NEXT) | instid1(VALU_DEP_2)
	v_or_b32_e32 v23, v23, v27
	v_or_b32_e32 v22, v28, v29
	buffer_store_b128 v[22:25], v18, s[16:19], 0 offen
	;;#ASMSTART
	s_nop 0
	;;#ASMEND
	s_branch .LBB207_4
.LBB207_13:
	s_nop 0
	s_sendmsg sendmsg(MSG_DEALLOC_VGPRS)
	s_endpgm
	.section	.rodata,"a",@progbits
	.p2align	6, 0x0
	.amdhsa_kernel _ZN5aiter43moe_smooth_per_token_scaled_quant_kernel_v1ItaLi512ELi16ELb0ELb1ELi1024EEEvPT0_PfPT_S3_PiS6_iiiii
		.amdhsa_group_segment_fixed_size 4160
		.amdhsa_private_segment_fixed_size 0
		.amdhsa_kernarg_size 68
		.amdhsa_user_sgpr_count 15
		.amdhsa_user_sgpr_dispatch_ptr 0
		.amdhsa_user_sgpr_queue_ptr 0
		.amdhsa_user_sgpr_kernarg_segment_ptr 1
		.amdhsa_user_sgpr_dispatch_id 0
		.amdhsa_user_sgpr_private_segment_size 0
		.amdhsa_wavefront_size32 1
		.amdhsa_uses_dynamic_stack 0
		.amdhsa_enable_private_segment 0
		.amdhsa_system_sgpr_workgroup_id_x 1
		.amdhsa_system_sgpr_workgroup_id_y 0
		.amdhsa_system_sgpr_workgroup_id_z 0
		.amdhsa_system_sgpr_workgroup_info 0
		.amdhsa_system_vgpr_workitem_id 0
		.amdhsa_next_free_vgpr 46
		.amdhsa_next_free_sgpr 23
		.amdhsa_reserve_vcc 1
		.amdhsa_float_round_mode_32 0
		.amdhsa_float_round_mode_16_64 0
		.amdhsa_float_denorm_mode_32 3
		.amdhsa_float_denorm_mode_16_64 3
		.amdhsa_dx10_clamp 1
		.amdhsa_ieee_mode 1
		.amdhsa_fp16_overflow 0
		.amdhsa_workgroup_processor_mode 1
		.amdhsa_memory_ordered 1
		.amdhsa_forward_progress 0
		.amdhsa_shared_vgpr_count 0
		.amdhsa_exception_fp_ieee_invalid_op 0
		.amdhsa_exception_fp_denorm_src 0
		.amdhsa_exception_fp_ieee_div_zero 0
		.amdhsa_exception_fp_ieee_overflow 0
		.amdhsa_exception_fp_ieee_underflow 0
		.amdhsa_exception_fp_ieee_inexact 0
		.amdhsa_exception_int_div_zero 0
	.end_amdhsa_kernel
	.section	.text._ZN5aiter43moe_smooth_per_token_scaled_quant_kernel_v1ItaLi512ELi16ELb0ELb1ELi1024EEEvPT0_PfPT_S3_PiS6_iiiii,"axG",@progbits,_ZN5aiter43moe_smooth_per_token_scaled_quant_kernel_v1ItaLi512ELi16ELb0ELb1ELi1024EEEvPT0_PfPT_S3_PiS6_iiiii,comdat
.Lfunc_end207:
	.size	_ZN5aiter43moe_smooth_per_token_scaled_quant_kernel_v1ItaLi512ELi16ELb0ELb1ELi1024EEEvPT0_PfPT_S3_PiS6_iiiii, .Lfunc_end207-_ZN5aiter43moe_smooth_per_token_scaled_quant_kernel_v1ItaLi512ELi16ELb0ELb1ELi1024EEEvPT0_PfPT_S3_PiS6_iiiii
                                        ; -- End function
	.section	.AMDGPU.csdata,"",@progbits
; Kernel info:
; codeLenInByte = 1716
; NumSgprs: 25
; NumVgprs: 46
; ScratchSize: 0
; MemoryBound: 0
; FloatMode: 240
; IeeeMode: 1
; LDSByteSize: 4160 bytes/workgroup (compile time only)
; SGPRBlocks: 3
; VGPRBlocks: 5
; NumSGPRsForWavesPerEU: 25
; NumVGPRsForWavesPerEU: 46
; Occupancy: 16
; WaveLimiterHint : 0
; COMPUTE_PGM_RSRC2:SCRATCH_EN: 0
; COMPUTE_PGM_RSRC2:USER_SGPR: 15
; COMPUTE_PGM_RSRC2:TRAP_HANDLER: 0
; COMPUTE_PGM_RSRC2:TGID_X_EN: 1
; COMPUTE_PGM_RSRC2:TGID_Y_EN: 0
; COMPUTE_PGM_RSRC2:TGID_Z_EN: 0
; COMPUTE_PGM_RSRC2:TIDIG_COMP_CNT: 0
	.section	.text._ZN5aiter43moe_smooth_per_token_scaled_quant_kernel_v1IDF16_aLi512ELi16ELb0ELb0ELi1024EEEvPT0_PfPT_S3_PiS6_iiiii,"axG",@progbits,_ZN5aiter43moe_smooth_per_token_scaled_quant_kernel_v1IDF16_aLi512ELi16ELb0ELb0ELi1024EEEvPT0_PfPT_S3_PiS6_iiiii,comdat
	.protected	_ZN5aiter43moe_smooth_per_token_scaled_quant_kernel_v1IDF16_aLi512ELi16ELb0ELb0ELi1024EEEvPT0_PfPT_S3_PiS6_iiiii ; -- Begin function _ZN5aiter43moe_smooth_per_token_scaled_quant_kernel_v1IDF16_aLi512ELi16ELb0ELb0ELi1024EEEvPT0_PfPT_S3_PiS6_iiiii
	.globl	_ZN5aiter43moe_smooth_per_token_scaled_quant_kernel_v1IDF16_aLi512ELi16ELb0ELb0ELi1024EEEvPT0_PfPT_S3_PiS6_iiiii
	.p2align	8
	.type	_ZN5aiter43moe_smooth_per_token_scaled_quant_kernel_v1IDF16_aLi512ELi16ELb0ELb0ELi1024EEEvPT0_PfPT_S3_PiS6_iiiii,@function
_ZN5aiter43moe_smooth_per_token_scaled_quant_kernel_v1IDF16_aLi512ELi16ELb0ELb0ELi1024EEEvPT0_PfPT_S3_PiS6_iiiii: ; @_ZN5aiter43moe_smooth_per_token_scaled_quant_kernel_v1IDF16_aLi512ELi16ELb0ELb0ELi1024EEEvPT0_PfPT_S3_PiS6_iiiii
; %bb.0:
	s_clause 0x2
	s_load_b128 s[4:7], s[0:1], 0x34
	s_load_b64 s[2:3], s[0:1], 0x20
	s_load_b64 s[12:13], s[0:1], 0x10
	v_and_b32_e32 v20, 31, v0
	s_mov_b32 s11, -1
	v_lshlrev_b32_e32 v1, 5, v0
	s_delay_alu instid0(VALU_DEP_2)
	v_lshlrev_b32_e32 v2, 2, v20
	s_waitcnt lgkmcnt(0)
	s_mul_i32 s20, s15, s4
	s_mul_hi_i32 s7, s6, s15
	s_ashr_i32 s21, s20, 31
	s_mul_i32 s6, s6, s15
	s_lshl_b64 s[8:9], s[20:21], 2
	s_mov_b32 s21, 0
	s_add_u32 s8, s2, s8
	s_addc_u32 s2, s3, s9
	s_lshl_b32 s10, s4, 2
	s_and_b32 s9, s2, 0xffff
	s_lshl_b64 s[2:3], s[6:7], 1
	buffer_load_b32 v9, v2, s[8:11], 0 offen
	s_add_u32 s8, s12, s2
	s_addc_u32 s2, s13, s3
	s_lshl_b32 s10, s5, 1
	s_and_b32 s9, s2, 0xffff
	s_clause 0x1
	buffer_load_b128 v[5:8], v1, s[8:11], 0 offen
	buffer_load_b128 v[1:4], v1, s[8:11], 16 offen
	s_cmp_lt_i32 s4, 1
	s_waitcnt vmcnt(0) expcnt(2) lgkmcnt(55)
	s_barrier
	buffer_gl0_inv
	s_cbranch_scc1 .LBB208_11
; %bb.1:
	s_clause 0x1
	s_load_b128 s[12:15], s[0:1], 0x0
	s_load_b64 s[6:7], s[0:1], 0x18
	s_add_i32 s1, s5, 15
	v_lshrrev_b32_e32 v10, 16, v5
	s_ashr_i32 s2, s1, 31
	v_lshrrev_b32_e32 v11, 16, v6
	s_lshr_b32 s2, s2, 28
	v_lshrrev_b32_e32 v12, 16, v7
	v_lshrrev_b32_e32 v13, 16, v8
	;; [unrolled: 1-line block ×7, first 2 shown]
	v_and_b32_e32 v22, 15, v0
	s_add_i32 s3, s5, 3
	s_add_i32 s1, s1, s2
	s_ashr_i32 s2, s3, 31
	s_ashr_i32 s1, s1, 4
	s_lshr_b32 s2, s2, 30
	v_cvt_f32_f16_e32 v5, v5
	v_cvt_f32_f16_e32 v10, v10
	;; [unrolled: 1-line block ×16, first 2 shown]
	v_lshlrev_b32_e32 v18, 4, v0
	v_lshlrev_b32_e32 v19, 6, v0
	v_cmp_eq_u32_e32 vcc_lo, 31, v20
	v_and_b32_e32 v20, 0x7c, v21
	v_lshlrev_b32_e32 v21, 2, v22
	v_cmp_eq_u32_e64 s0, 0, v0
	v_cmp_gt_u32_e64 s1, s1, v0
	v_mov_b32_e32 v0, 0
	s_add_i32 s3, s3, s2
	s_mov_b32 s22, s5
	s_lshl_b32 s10, s5, 2
	s_and_b32 s18, s3, -4
	s_mov_b32 s5, 0x76543210
	s_branch .LBB208_4
.LBB208_2:                              ;   in Loop: Header=BB208_4 Depth=1
	s_or_b32 exec_lo, exec_lo, s3
.LBB208_3:                              ;   in Loop: Header=BB208_4 Depth=1
	s_add_i32 s21, s21, 1
	s_delay_alu instid0(SALU_CYCLE_1)
	s_cmp_eq_u32 s4, s21
	s_cbranch_scc1 .LBB208_11
.LBB208_4:                              ; =>This Inner Loop Header: Depth=1
	v_readlane_b32 s2, v9, s21
	s_delay_alu instid0(VALU_DEP_1)
	s_cmp_lt_i32 s2, 0
	s_cbranch_scc1 .LBB208_3
; %bb.5:                                ;   in Loop: Header=BB208_4 Depth=1
	s_mul_i32 s2, s2, s22
	s_delay_alu instid0(SALU_CYCLE_1) | instskip(NEXT) | instid1(SALU_CYCLE_1)
	s_ashr_i32 s3, s2, 31
	s_lshl_b64 s[2:3], s[2:3], 2
	s_waitcnt lgkmcnt(0)
	s_add_u32 s8, s6, s2
	s_addc_u32 s2, s7, s3
	s_delay_alu instid0(SALU_CYCLE_1)
	s_and_b32 s9, s2, 0xffff
	s_clause 0x3
	buffer_load_b128 v[22:25], v19, s[8:11], 0 offen
	buffer_load_b128 v[26:29], v19, s[8:11], 16 offen
	;; [unrolled: 1-line block ×4, first 2 shown]
	s_waitcnt vmcnt(3)
	v_dual_mul_f32 v36, v22, v5 :: v_dual_mul_f32 v37, v23, v10
	v_dual_mul_f32 v30, v24, v6 :: v_dual_mul_f32 v31, v25, v11
	s_waitcnt vmcnt(2)
	v_dual_mul_f32 v32, v26, v7 :: v_dual_mul_f32 v33, v27, v12
	s_delay_alu instid0(VALU_DEP_3) | instskip(SKIP_3) | instid1(VALU_DEP_3)
	v_max3_f32 v22, |v36|, 0x2edbe6ff, |v37|
	v_dual_mul_f32 v34, v28, v8 :: v_dual_mul_f32 v35, v29, v13
	s_waitcnt vmcnt(1)
	v_dual_mul_f32 v27, v38, v1 :: v_dual_mul_f32 v28, v39, v14
	v_max3_f32 v22, v22, |v30|, |v31|
	s_waitcnt vmcnt(0)
	v_mul_f32_e32 v25, v42, v3
	v_dual_mul_f32 v29, v43, v16 :: v_dual_mul_f32 v26, v45, v17
	v_mul_f32_e32 v23, v41, v15
	v_max3_f32 v22, v22, |v32|, |v33|
	s_delay_alu instid0(VALU_DEP_1) | instskip(SKIP_1) | instid1(VALU_DEP_2)
	v_max3_f32 v24, v22, |v34|, |v35|
	v_mul_f32_e32 v22, v40, v2
	v_max3_f32 v24, v24, |v27|, |v28|
	s_delay_alu instid0(VALU_DEP_1) | instskip(SKIP_1) | instid1(VALU_DEP_2)
	v_max3_f32 v38, v24, |v22|, |v23|
	v_mul_f32_e32 v24, v44, v4
	v_max3_f32 v38, v38, |v25|, |v29|
	s_delay_alu instid0(VALU_DEP_1) | instskip(NEXT) | instid1(VALU_DEP_1)
	v_max3_f32 v38, v38, |v24|, |v26|
	v_mov_b32_dpp v39, v38 quad_perm:[1,0,3,2] row_mask:0xf bank_mask:0xf
	s_delay_alu instid0(VALU_DEP_1) | instskip(NEXT) | instid1(VALU_DEP_1)
	v_cmp_gt_f32_e64 s2, v38, v39
	v_cndmask_b32_e64 v38, v39, v38, s2
	s_delay_alu instid0(VALU_DEP_1) | instskip(NEXT) | instid1(VALU_DEP_1)
	v_mov_b32_dpp v39, v38 quad_perm:[2,3,0,1] row_mask:0xf bank_mask:0xf
	v_cmp_gt_f32_e64 s2, v38, v39
	s_delay_alu instid0(VALU_DEP_1) | instskip(NEXT) | instid1(VALU_DEP_1)
	v_cndmask_b32_e64 v38, v39, v38, s2
	v_mov_b32_dpp v39, v38 row_xmask:7 row_mask:0xf bank_mask:0xf
	s_delay_alu instid0(VALU_DEP_1) | instskip(NEXT) | instid1(VALU_DEP_1)
	v_cmp_gt_f32_e64 s2, v38, v39
	v_cndmask_b32_e64 v38, v39, v38, s2
	s_delay_alu instid0(VALU_DEP_1) | instskip(NEXT) | instid1(VALU_DEP_1)
	v_mov_b32_dpp v39, v38 row_xmask:15 row_mask:0xf bank_mask:0xf
	v_cmp_gt_f32_e64 s2, v38, v39
	s_and_saveexec_b32 s3, vcc_lo
	s_cbranch_execz .LBB208_7
; %bb.6:                                ;   in Loop: Header=BB208_4 Depth=1
	s_delay_alu instid0(VALU_DEP_1) | instskip(NEXT) | instid1(VALU_DEP_1)
	v_cndmask_b32_e64 v38, v39, v38, s2
	v_permlanex16_b32 v39, v38, s5, 0xfedcba98 op_sel:[1,1]
	s_delay_alu instid0(VALU_DEP_1) | instskip(NEXT) | instid1(VALU_DEP_1)
	v_cmp_gt_f32_e64 s2, v38, v39
	v_cndmask_b32_e64 v38, v39, v38, s2
	ds_store_b32 v20, v38
.LBB208_7:                              ;   in Loop: Header=BB208_4 Depth=1
	s_or_b32 exec_lo, exec_lo, s3
	s_waitcnt lgkmcnt(0)
	s_waitcnt_vscnt null, 0x0
	s_barrier
	buffer_gl0_inv
	ds_load_b32 v38, v21
	s_waitcnt lgkmcnt(0)
	v_mov_b32_dpp v39, v38 quad_perm:[1,0,3,2] row_mask:0xf bank_mask:0xf
	s_delay_alu instid0(VALU_DEP_1) | instskip(NEXT) | instid1(VALU_DEP_1)
	v_cmp_gt_f32_e64 s2, v38, v39
	v_cndmask_b32_e64 v38, v39, v38, s2
	s_delay_alu instid0(VALU_DEP_1) | instskip(NEXT) | instid1(VALU_DEP_1)
	v_mov_b32_dpp v39, v38 quad_perm:[2,3,0,1] row_mask:0xf bank_mask:0xf
	v_cmp_gt_f32_e64 s2, v38, v39
	s_delay_alu instid0(VALU_DEP_1) | instskip(NEXT) | instid1(VALU_DEP_1)
	v_cndmask_b32_e64 v38, v39, v38, s2
	v_mov_b32_dpp v39, v38 row_xmask:7 row_mask:0xf bank_mask:0xf
	s_delay_alu instid0(VALU_DEP_1) | instskip(NEXT) | instid1(VALU_DEP_1)
	v_cmp_gt_f32_e64 s2, v38, v39
	v_cndmask_b32_e64 v38, v39, v38, s2
	s_delay_alu instid0(VALU_DEP_1) | instskip(NEXT) | instid1(VALU_DEP_1)
	v_mov_b32_dpp v39, v38 row_xmask:15 row_mask:0xf bank_mask:0xf
	v_cmp_gt_f32_e64 s2, v38, v39
	s_delay_alu instid0(VALU_DEP_1) | instskip(SKIP_1) | instid1(VALU_DEP_1)
	v_cndmask_b32_e64 v38, v39, v38, s2
	s_add_i32 s2, s20, s21
	v_mul_f32_e32 v38, 0x3c010204, v38
	s_and_saveexec_b32 s8, s0
	s_cbranch_execz .LBB208_9
; %bb.8:                                ;   in Loop: Header=BB208_4 Depth=1
	s_ashr_i32 s3, s2, 31
	s_delay_alu instid0(SALU_CYCLE_1) | instskip(NEXT) | instid1(SALU_CYCLE_1)
	s_lshl_b64 s[16:17], s[2:3], 2
	s_add_u32 s16, s14, s16
	s_addc_u32 s17, s15, s17
	global_store_b32 v0, v38, s[16:17]
.LBB208_9:                              ;   in Loop: Header=BB208_4 Depth=1
	s_or_b32 exec_lo, exec_lo, s8
	s_and_saveexec_b32 s3, s1
	s_cbranch_execz .LBB208_2
; %bb.10:                               ;   in Loop: Header=BB208_4 Depth=1
	v_rcp_f32_e32 v38, v38
	s_mul_i32 s8, s2, s22
	s_mul_hi_i32 s2, s2, s22
	s_add_u32 s16, s12, s8
	s_addc_u32 s2, s13, s2
	s_mov_b32 s19, s11
	s_and_b32 s17, s2, 0xffff
	s_waitcnt_depctr 0xfff
	v_mul_f32_e32 v29, v29, v38
	v_mul_f32_e32 v25, v25, v38
	v_mul_f32_e32 v27, v27, v38
	v_mul_f32_e32 v28, v28, v38
	v_mul_f32_e32 v26, v26, v38
	v_cvt_i32_f32_e32 v29, v29
	v_cvt_i32_f32_e32 v25, v25
	v_mul_f32_e32 v36, v36, v38
	v_mul_f32_e32 v24, v24, v38
	v_cvt_i32_f32_e32 v27, v27
	v_lshlrev_b16 v29, 8, v29
	v_and_b32_e32 v25, 0xff, v25
	v_cvt_i32_f32_e32 v26, v26
	v_cvt_i32_f32_e32 v24, v24
	;; [unrolled: 1-line block ×3, first 2 shown]
	v_mul_f32_e32 v37, v37, v38
	v_or_b32_e32 v25, v25, v29
	v_mul_f32_e32 v32, v32, v38
	v_dual_mul_f32 v30, v30, v38 :: v_dual_and_b32 v27, 0xff, v27
	v_lshlrev_b16 v26, 8, v26
	v_and_b32_e32 v24, 0xff, v24
	v_lshlrev_b16 v28, 8, v28
	v_mul_f32_e32 v23, v23, v38
	v_dual_mul_f32 v22, v22, v38 :: v_dual_and_b32 v25, 0xffff, v25
	v_cvt_i32_f32_e32 v32, v32
	v_mul_f32_e32 v33, v33, v38
	v_or_b32_e32 v24, v24, v26
	v_or_b32_e32 v26, v27, v28
	v_cvt_i32_f32_e32 v23, v23
	v_and_b32_e32 v28, 0xff, v32
	v_cvt_i32_f32_e32 v33, v33
	v_cvt_i32_f32_e32 v22, v22
	v_dual_mul_f32 v31, v31, v38 :: v_dual_lshlrev_b32 v24, 16, v24
	v_lshlrev_b16 v23, 8, v23
	s_delay_alu instid0(VALU_DEP_4) | instskip(NEXT) | instid1(VALU_DEP_4)
	v_lshlrev_b16 v27, 8, v33
	v_and_b32_e32 v22, 0xff, v22
	v_cvt_i32_f32_e32 v36, v36
	v_mul_f32_e32 v35, v35, v38
	v_cvt_i32_f32_e32 v37, v37
	v_cvt_i32_f32_e32 v30, v30
	v_or_b32_e32 v22, v22, v23
	v_or_b32_e32 v23, v28, v27
	v_mul_f32_e32 v34, v34, v38
	v_cvt_i32_f32_e32 v31, v31
	v_lshlrev_b16 v33, 8, v37
	v_and_b32_e32 v30, 0xff, v30
	v_and_b32_e32 v23, 0xffff, v23
	v_cvt_i32_f32_e32 v34, v34
	v_lshlrev_b16 v31, 8, v31
	v_and_b32_e32 v26, 0xffff, v26
	v_lshlrev_b32_e32 v22, 16, v22
	v_or_b32_e32 v25, v25, v24
	v_and_b32_e32 v32, 0xff, v34
	v_and_b32_e32 v34, 0xff, v36
	v_cvt_i32_f32_e32 v35, v35
	v_or_b32_e32 v24, v26, v22
	s_delay_alu instid0(VALU_DEP_3) | instskip(NEXT) | instid1(VALU_DEP_3)
	v_or_b32_e32 v28, v34, v33
	v_lshlrev_b16 v29, 8, v35
	s_delay_alu instid0(VALU_DEP_2) | instskip(NEXT) | instid1(VALU_DEP_2)
	v_and_b32_e32 v28, 0xffff, v28
	v_or_b32_e32 v27, v32, v29
	v_or_b32_e32 v29, v30, v31
	s_delay_alu instid0(VALU_DEP_2) | instskip(NEXT) | instid1(VALU_DEP_2)
	v_lshlrev_b32_e32 v27, 16, v27
	v_lshlrev_b32_e32 v29, 16, v29
	s_delay_alu instid0(VALU_DEP_2) | instskip(NEXT) | instid1(VALU_DEP_2)
	v_or_b32_e32 v23, v23, v27
	v_or_b32_e32 v22, v28, v29
	buffer_store_b128 v[22:25], v18, s[16:19], 0 offen
	;;#ASMSTART
	s_nop 0
	;;#ASMEND
	s_branch .LBB208_2
.LBB208_11:
	s_nop 0
	s_sendmsg sendmsg(MSG_DEALLOC_VGPRS)
	s_endpgm
	.section	.rodata,"a",@progbits
	.p2align	6, 0x0
	.amdhsa_kernel _ZN5aiter43moe_smooth_per_token_scaled_quant_kernel_v1IDF16_aLi512ELi16ELb0ELb0ELi1024EEEvPT0_PfPT_S3_PiS6_iiiii
		.amdhsa_group_segment_fixed_size 64
		.amdhsa_private_segment_fixed_size 0
		.amdhsa_kernarg_size 68
		.amdhsa_user_sgpr_count 15
		.amdhsa_user_sgpr_dispatch_ptr 0
		.amdhsa_user_sgpr_queue_ptr 0
		.amdhsa_user_sgpr_kernarg_segment_ptr 1
		.amdhsa_user_sgpr_dispatch_id 0
		.amdhsa_user_sgpr_private_segment_size 0
		.amdhsa_wavefront_size32 1
		.amdhsa_uses_dynamic_stack 0
		.amdhsa_enable_private_segment 0
		.amdhsa_system_sgpr_workgroup_id_x 1
		.amdhsa_system_sgpr_workgroup_id_y 0
		.amdhsa_system_sgpr_workgroup_id_z 0
		.amdhsa_system_sgpr_workgroup_info 0
		.amdhsa_system_vgpr_workitem_id 0
		.amdhsa_next_free_vgpr 46
		.amdhsa_next_free_sgpr 23
		.amdhsa_reserve_vcc 1
		.amdhsa_float_round_mode_32 0
		.amdhsa_float_round_mode_16_64 0
		.amdhsa_float_denorm_mode_32 3
		.amdhsa_float_denorm_mode_16_64 3
		.amdhsa_dx10_clamp 1
		.amdhsa_ieee_mode 1
		.amdhsa_fp16_overflow 0
		.amdhsa_workgroup_processor_mode 1
		.amdhsa_memory_ordered 1
		.amdhsa_forward_progress 0
		.amdhsa_shared_vgpr_count 0
		.amdhsa_exception_fp_ieee_invalid_op 0
		.amdhsa_exception_fp_denorm_src 0
		.amdhsa_exception_fp_ieee_div_zero 0
		.amdhsa_exception_fp_ieee_overflow 0
		.amdhsa_exception_fp_ieee_underflow 0
		.amdhsa_exception_fp_ieee_inexact 0
		.amdhsa_exception_int_div_zero 0
	.end_amdhsa_kernel
	.section	.text._ZN5aiter43moe_smooth_per_token_scaled_quant_kernel_v1IDF16_aLi512ELi16ELb0ELb0ELi1024EEEvPT0_PfPT_S3_PiS6_iiiii,"axG",@progbits,_ZN5aiter43moe_smooth_per_token_scaled_quant_kernel_v1IDF16_aLi512ELi16ELb0ELb0ELi1024EEEvPT0_PfPT_S3_PiS6_iiiii,comdat
.Lfunc_end208:
	.size	_ZN5aiter43moe_smooth_per_token_scaled_quant_kernel_v1IDF16_aLi512ELi16ELb0ELb0ELi1024EEEvPT0_PfPT_S3_PiS6_iiiii, .Lfunc_end208-_ZN5aiter43moe_smooth_per_token_scaled_quant_kernel_v1IDF16_aLi512ELi16ELb0ELb0ELi1024EEEvPT0_PfPT_S3_PiS6_iiiii
                                        ; -- End function
	.section	.AMDGPU.csdata,"",@progbits
; Kernel info:
; codeLenInByte = 1516
; NumSgprs: 25
; NumVgprs: 46
; ScratchSize: 0
; MemoryBound: 0
; FloatMode: 240
; IeeeMode: 1
; LDSByteSize: 64 bytes/workgroup (compile time only)
; SGPRBlocks: 3
; VGPRBlocks: 5
; NumSGPRsForWavesPerEU: 25
; NumVGPRsForWavesPerEU: 46
; Occupancy: 16
; WaveLimiterHint : 0
; COMPUTE_PGM_RSRC2:SCRATCH_EN: 0
; COMPUTE_PGM_RSRC2:USER_SGPR: 15
; COMPUTE_PGM_RSRC2:TRAP_HANDLER: 0
; COMPUTE_PGM_RSRC2:TGID_X_EN: 1
; COMPUTE_PGM_RSRC2:TGID_Y_EN: 0
; COMPUTE_PGM_RSRC2:TGID_Z_EN: 0
; COMPUTE_PGM_RSRC2:TIDIG_COMP_CNT: 0
	.section	.text._ZN5aiter43moe_smooth_per_token_scaled_quant_kernel_v1ItaLi512ELi16ELb0ELb0ELi1024EEEvPT0_PfPT_S3_PiS6_iiiii,"axG",@progbits,_ZN5aiter43moe_smooth_per_token_scaled_quant_kernel_v1ItaLi512ELi16ELb0ELb0ELi1024EEEvPT0_PfPT_S3_PiS6_iiiii,comdat
	.protected	_ZN5aiter43moe_smooth_per_token_scaled_quant_kernel_v1ItaLi512ELi16ELb0ELb0ELi1024EEEvPT0_PfPT_S3_PiS6_iiiii ; -- Begin function _ZN5aiter43moe_smooth_per_token_scaled_quant_kernel_v1ItaLi512ELi16ELb0ELb0ELi1024EEEvPT0_PfPT_S3_PiS6_iiiii
	.globl	_ZN5aiter43moe_smooth_per_token_scaled_quant_kernel_v1ItaLi512ELi16ELb0ELb0ELi1024EEEvPT0_PfPT_S3_PiS6_iiiii
	.p2align	8
	.type	_ZN5aiter43moe_smooth_per_token_scaled_quant_kernel_v1ItaLi512ELi16ELb0ELb0ELi1024EEEvPT0_PfPT_S3_PiS6_iiiii,@function
_ZN5aiter43moe_smooth_per_token_scaled_quant_kernel_v1ItaLi512ELi16ELb0ELb0ELi1024EEEvPT0_PfPT_S3_PiS6_iiiii: ; @_ZN5aiter43moe_smooth_per_token_scaled_quant_kernel_v1ItaLi512ELi16ELb0ELb0ELi1024EEEvPT0_PfPT_S3_PiS6_iiiii
; %bb.0:
	s_clause 0x2
	s_load_b128 s[4:7], s[0:1], 0x34
	s_load_b64 s[2:3], s[0:1], 0x20
	s_load_b64 s[12:13], s[0:1], 0x10
	v_and_b32_e32 v20, 31, v0
	s_mov_b32 s11, -1
	v_lshlrev_b32_e32 v1, 5, v0
	s_delay_alu instid0(VALU_DEP_2)
	v_lshlrev_b32_e32 v2, 2, v20
	s_waitcnt lgkmcnt(0)
	s_mul_i32 s20, s15, s4
	s_mul_hi_i32 s7, s6, s15
	s_ashr_i32 s21, s20, 31
	s_mul_i32 s6, s6, s15
	s_lshl_b64 s[8:9], s[20:21], 2
	s_mov_b32 s21, 0
	s_add_u32 s8, s2, s8
	s_addc_u32 s2, s3, s9
	s_lshl_b32 s10, s4, 2
	s_and_b32 s9, s2, 0xffff
	s_lshl_b64 s[2:3], s[6:7], 1
	buffer_load_b32 v9, v2, s[8:11], 0 offen
	s_add_u32 s8, s12, s2
	s_addc_u32 s2, s13, s3
	s_lshl_b32 s10, s5, 1
	s_and_b32 s9, s2, 0xffff
	s_clause 0x1
	buffer_load_b128 v[5:8], v1, s[8:11], 0 offen
	buffer_load_b128 v[1:4], v1, s[8:11], 16 offen
	s_cmp_lt_i32 s4, 1
	s_waitcnt vmcnt(0) expcnt(2) lgkmcnt(55)
	s_barrier
	buffer_gl0_inv
	s_cbranch_scc1 .LBB209_11
; %bb.1:
	v_and_b32_e32 v10, 0xffff, v5
	s_clause 0x1
	s_load_b128 s[12:15], s[0:1], 0x0
	s_load_b64 s[6:7], s[0:1], 0x18
	v_lshrrev_b32_e32 v11, 16, v5
	v_and_b32_e32 v12, 0xffff, v6
	v_and_b32_e32 v13, 0xffff, v7
	v_lshrrev_b32_e32 v14, 16, v7
	v_cvt_f32_u32_e32 v5, v10
	v_lshrrev_b32_e32 v10, 16, v6
	v_cvt_f32_u32_e32 v6, v11
	v_cvt_f32_u32_e32 v7, v12
	v_cvt_f32_u32_e32 v11, v13
	v_cvt_f32_u32_e32 v12, v14
	v_and_b32_e32 v13, 0xffff, v8
	v_and_b32_e32 v14, 0xffff, v1
	v_lshrrev_b32_e32 v15, 16, v1
	v_and_b32_e32 v16, 0xffff, v2
	s_add_i32 s1, s5, 15
	v_lshrrev_b32_e32 v8, 16, v8
	s_ashr_i32 s2, s1, 31
	v_cvt_f32_u32_e32 v1, v13
	s_lshr_b32 s2, s2, 28
	v_cvt_f32_u32_e32 v13, v14
	v_cvt_f32_u32_e32 v14, v15
	;; [unrolled: 1-line block ×3, first 2 shown]
	v_lshrrev_b32_e32 v2, 16, v2
	v_and_b32_e32 v16, 0xffff, v3
	v_lshrrev_b32_e32 v17, 16, v3
	v_and_b32_e32 v18, 0xffff, v4
	v_lshrrev_b32_e32 v19, 16, v4
	v_lshrrev_b32_e32 v21, 3, v0
	v_and_b32_e32 v22, 15, v0
	s_add_i32 s3, s5, 3
	s_add_i32 s1, s1, s2
	s_ashr_i32 s2, s3, 31
	s_ashr_i32 s1, s1, 4
	s_lshr_b32 s2, s2, 30
	v_cvt_f32_u32_e32 v10, v10
	v_cvt_f32_u32_e32 v8, v8
	;; [unrolled: 1-line block ×7, first 2 shown]
	v_lshlrev_b32_e32 v18, 4, v0
	v_lshlrev_b32_e32 v19, 6, v0
	v_cmp_eq_u32_e32 vcc_lo, 31, v20
	v_and_b32_e32 v20, 0x7c, v21
	v_lshlrev_b32_e32 v21, 2, v22
	v_cmp_eq_u32_e64 s0, 0, v0
	v_cmp_gt_u32_e64 s1, s1, v0
	v_mov_b32_e32 v0, 0
	s_add_i32 s3, s3, s2
	s_mov_b32 s22, s5
	s_lshl_b32 s10, s5, 2
	s_and_b32 s18, s3, -4
	s_mov_b32 s5, 0x76543210
	s_branch .LBB209_4
.LBB209_2:                              ;   in Loop: Header=BB209_4 Depth=1
	s_or_b32 exec_lo, exec_lo, s3
.LBB209_3:                              ;   in Loop: Header=BB209_4 Depth=1
	s_add_i32 s21, s21, 1
	s_delay_alu instid0(SALU_CYCLE_1)
	s_cmp_eq_u32 s4, s21
	s_cbranch_scc1 .LBB209_11
.LBB209_4:                              ; =>This Inner Loop Header: Depth=1
	v_readlane_b32 s2, v9, s21
	s_delay_alu instid0(VALU_DEP_1)
	s_cmp_lt_i32 s2, 0
	s_cbranch_scc1 .LBB209_3
; %bb.5:                                ;   in Loop: Header=BB209_4 Depth=1
	s_mul_i32 s2, s2, s22
	s_delay_alu instid0(SALU_CYCLE_1) | instskip(NEXT) | instid1(SALU_CYCLE_1)
	s_ashr_i32 s3, s2, 31
	s_lshl_b64 s[2:3], s[2:3], 2
	s_waitcnt lgkmcnt(0)
	s_add_u32 s8, s6, s2
	s_addc_u32 s2, s7, s3
	s_delay_alu instid0(SALU_CYCLE_1)
	s_and_b32 s9, s2, 0xffff
	s_clause 0x3
	buffer_load_b128 v[22:25], v19, s[8:11], 0 offen
	buffer_load_b128 v[26:29], v19, s[8:11], 16 offen
	;; [unrolled: 1-line block ×4, first 2 shown]
	s_waitcnt vmcnt(3)
	v_dual_mul_f32 v36, v22, v5 :: v_dual_mul_f32 v37, v23, v6
	v_dual_mul_f32 v30, v24, v7 :: v_dual_mul_f32 v31, v25, v10
	s_waitcnt vmcnt(2)
	v_dual_mul_f32 v32, v26, v11 :: v_dual_mul_f32 v33, v27, v12
	s_delay_alu instid0(VALU_DEP_3) | instskip(SKIP_3) | instid1(VALU_DEP_3)
	v_max3_f32 v22, |v36|, 0x2edbe6ff, |v37|
	v_dual_mul_f32 v34, v28, v1 :: v_dual_mul_f32 v35, v29, v8
	s_waitcnt vmcnt(1)
	v_dual_mul_f32 v27, v38, v13 :: v_dual_mul_f32 v28, v39, v14
	v_max3_f32 v22, v22, |v30|, |v31|
	s_waitcnt vmcnt(0)
	v_mul_f32_e32 v25, v42, v3
	v_dual_mul_f32 v29, v43, v4 :: v_dual_mul_f32 v26, v45, v17
	v_mul_f32_e32 v23, v41, v2
	v_max3_f32 v22, v22, |v32|, |v33|
	s_delay_alu instid0(VALU_DEP_1) | instskip(SKIP_1) | instid1(VALU_DEP_2)
	v_max3_f32 v24, v22, |v34|, |v35|
	v_mul_f32_e32 v22, v40, v15
	v_max3_f32 v24, v24, |v27|, |v28|
	s_delay_alu instid0(VALU_DEP_1) | instskip(SKIP_1) | instid1(VALU_DEP_2)
	v_max3_f32 v38, v24, |v22|, |v23|
	v_mul_f32_e32 v24, v44, v16
	v_max3_f32 v38, v38, |v25|, |v29|
	s_delay_alu instid0(VALU_DEP_1) | instskip(NEXT) | instid1(VALU_DEP_1)
	v_max3_f32 v38, v38, |v24|, |v26|
	v_mov_b32_dpp v39, v38 quad_perm:[1,0,3,2] row_mask:0xf bank_mask:0xf
	s_delay_alu instid0(VALU_DEP_1) | instskip(NEXT) | instid1(VALU_DEP_1)
	v_cmp_gt_f32_e64 s2, v38, v39
	v_cndmask_b32_e64 v38, v39, v38, s2
	s_delay_alu instid0(VALU_DEP_1) | instskip(NEXT) | instid1(VALU_DEP_1)
	v_mov_b32_dpp v39, v38 quad_perm:[2,3,0,1] row_mask:0xf bank_mask:0xf
	v_cmp_gt_f32_e64 s2, v38, v39
	s_delay_alu instid0(VALU_DEP_1) | instskip(NEXT) | instid1(VALU_DEP_1)
	v_cndmask_b32_e64 v38, v39, v38, s2
	v_mov_b32_dpp v39, v38 row_xmask:7 row_mask:0xf bank_mask:0xf
	s_delay_alu instid0(VALU_DEP_1) | instskip(NEXT) | instid1(VALU_DEP_1)
	v_cmp_gt_f32_e64 s2, v38, v39
	v_cndmask_b32_e64 v38, v39, v38, s2
	s_delay_alu instid0(VALU_DEP_1) | instskip(NEXT) | instid1(VALU_DEP_1)
	v_mov_b32_dpp v39, v38 row_xmask:15 row_mask:0xf bank_mask:0xf
	v_cmp_gt_f32_e64 s2, v38, v39
	s_and_saveexec_b32 s3, vcc_lo
	s_cbranch_execz .LBB209_7
; %bb.6:                                ;   in Loop: Header=BB209_4 Depth=1
	s_delay_alu instid0(VALU_DEP_1) | instskip(NEXT) | instid1(VALU_DEP_1)
	v_cndmask_b32_e64 v38, v39, v38, s2
	v_permlanex16_b32 v39, v38, s5, 0xfedcba98 op_sel:[1,1]
	s_delay_alu instid0(VALU_DEP_1) | instskip(NEXT) | instid1(VALU_DEP_1)
	v_cmp_gt_f32_e64 s2, v38, v39
	v_cndmask_b32_e64 v38, v39, v38, s2
	ds_store_b32 v20, v38
.LBB209_7:                              ;   in Loop: Header=BB209_4 Depth=1
	s_or_b32 exec_lo, exec_lo, s3
	s_waitcnt lgkmcnt(0)
	s_waitcnt_vscnt null, 0x0
	s_barrier
	buffer_gl0_inv
	ds_load_b32 v38, v21
	s_waitcnt lgkmcnt(0)
	v_mov_b32_dpp v39, v38 quad_perm:[1,0,3,2] row_mask:0xf bank_mask:0xf
	s_delay_alu instid0(VALU_DEP_1) | instskip(NEXT) | instid1(VALU_DEP_1)
	v_cmp_gt_f32_e64 s2, v38, v39
	v_cndmask_b32_e64 v38, v39, v38, s2
	s_delay_alu instid0(VALU_DEP_1) | instskip(NEXT) | instid1(VALU_DEP_1)
	v_mov_b32_dpp v39, v38 quad_perm:[2,3,0,1] row_mask:0xf bank_mask:0xf
	v_cmp_gt_f32_e64 s2, v38, v39
	s_delay_alu instid0(VALU_DEP_1) | instskip(NEXT) | instid1(VALU_DEP_1)
	v_cndmask_b32_e64 v38, v39, v38, s2
	v_mov_b32_dpp v39, v38 row_xmask:7 row_mask:0xf bank_mask:0xf
	s_delay_alu instid0(VALU_DEP_1) | instskip(NEXT) | instid1(VALU_DEP_1)
	v_cmp_gt_f32_e64 s2, v38, v39
	v_cndmask_b32_e64 v38, v39, v38, s2
	s_delay_alu instid0(VALU_DEP_1) | instskip(NEXT) | instid1(VALU_DEP_1)
	v_mov_b32_dpp v39, v38 row_xmask:15 row_mask:0xf bank_mask:0xf
	v_cmp_gt_f32_e64 s2, v38, v39
	s_delay_alu instid0(VALU_DEP_1) | instskip(SKIP_1) | instid1(VALU_DEP_1)
	v_cndmask_b32_e64 v38, v39, v38, s2
	s_add_i32 s2, s20, s21
	v_mul_f32_e32 v38, 0x3c010204, v38
	s_and_saveexec_b32 s8, s0
	s_cbranch_execz .LBB209_9
; %bb.8:                                ;   in Loop: Header=BB209_4 Depth=1
	s_ashr_i32 s3, s2, 31
	s_delay_alu instid0(SALU_CYCLE_1) | instskip(NEXT) | instid1(SALU_CYCLE_1)
	s_lshl_b64 s[16:17], s[2:3], 2
	s_add_u32 s16, s14, s16
	s_addc_u32 s17, s15, s17
	global_store_b32 v0, v38, s[16:17]
.LBB209_9:                              ;   in Loop: Header=BB209_4 Depth=1
	s_or_b32 exec_lo, exec_lo, s8
	s_and_saveexec_b32 s3, s1
	s_cbranch_execz .LBB209_2
; %bb.10:                               ;   in Loop: Header=BB209_4 Depth=1
	v_rcp_f32_e32 v38, v38
	s_mul_i32 s8, s2, s22
	s_mul_hi_i32 s2, s2, s22
	s_add_u32 s16, s12, s8
	s_addc_u32 s2, s13, s2
	s_mov_b32 s19, s11
	s_and_b32 s17, s2, 0xffff
	s_waitcnt_depctr 0xfff
	v_mul_f32_e32 v29, v29, v38
	v_mul_f32_e32 v25, v25, v38
	v_mul_f32_e32 v27, v27, v38
	v_mul_f32_e32 v28, v28, v38
	v_mul_f32_e32 v26, v26, v38
	v_cvt_i32_f32_e32 v29, v29
	v_cvt_i32_f32_e32 v25, v25
	v_mul_f32_e32 v36, v36, v38
	v_mul_f32_e32 v24, v24, v38
	v_cvt_i32_f32_e32 v27, v27
	v_lshlrev_b16 v29, 8, v29
	v_and_b32_e32 v25, 0xff, v25
	v_cvt_i32_f32_e32 v26, v26
	v_cvt_i32_f32_e32 v24, v24
	;; [unrolled: 1-line block ×3, first 2 shown]
	v_mul_f32_e32 v37, v37, v38
	v_or_b32_e32 v25, v25, v29
	v_mul_f32_e32 v32, v32, v38
	v_dual_mul_f32 v30, v30, v38 :: v_dual_and_b32 v27, 0xff, v27
	v_lshlrev_b16 v26, 8, v26
	v_and_b32_e32 v24, 0xff, v24
	v_lshlrev_b16 v28, 8, v28
	v_mul_f32_e32 v23, v23, v38
	v_dual_mul_f32 v22, v22, v38 :: v_dual_and_b32 v25, 0xffff, v25
	v_cvt_i32_f32_e32 v32, v32
	v_mul_f32_e32 v33, v33, v38
	v_or_b32_e32 v24, v24, v26
	v_or_b32_e32 v26, v27, v28
	v_cvt_i32_f32_e32 v23, v23
	v_and_b32_e32 v28, 0xff, v32
	v_cvt_i32_f32_e32 v33, v33
	v_cvt_i32_f32_e32 v22, v22
	v_dual_mul_f32 v31, v31, v38 :: v_dual_lshlrev_b32 v24, 16, v24
	v_lshlrev_b16 v23, 8, v23
	s_delay_alu instid0(VALU_DEP_4) | instskip(NEXT) | instid1(VALU_DEP_4)
	v_lshlrev_b16 v27, 8, v33
	v_and_b32_e32 v22, 0xff, v22
	v_cvt_i32_f32_e32 v36, v36
	v_mul_f32_e32 v35, v35, v38
	v_cvt_i32_f32_e32 v37, v37
	v_cvt_i32_f32_e32 v30, v30
	v_or_b32_e32 v22, v22, v23
	v_or_b32_e32 v23, v28, v27
	v_mul_f32_e32 v34, v34, v38
	v_cvt_i32_f32_e32 v31, v31
	v_lshlrev_b16 v33, 8, v37
	v_and_b32_e32 v30, 0xff, v30
	v_and_b32_e32 v23, 0xffff, v23
	v_cvt_i32_f32_e32 v34, v34
	v_lshlrev_b16 v31, 8, v31
	v_and_b32_e32 v26, 0xffff, v26
	v_lshlrev_b32_e32 v22, 16, v22
	v_or_b32_e32 v25, v25, v24
	v_and_b32_e32 v32, 0xff, v34
	v_and_b32_e32 v34, 0xff, v36
	v_cvt_i32_f32_e32 v35, v35
	v_or_b32_e32 v24, v26, v22
	s_delay_alu instid0(VALU_DEP_3) | instskip(NEXT) | instid1(VALU_DEP_3)
	v_or_b32_e32 v28, v34, v33
	v_lshlrev_b16 v29, 8, v35
	s_delay_alu instid0(VALU_DEP_2) | instskip(NEXT) | instid1(VALU_DEP_2)
	v_and_b32_e32 v28, 0xffff, v28
	v_or_b32_e32 v27, v32, v29
	v_or_b32_e32 v29, v30, v31
	s_delay_alu instid0(VALU_DEP_2) | instskip(NEXT) | instid1(VALU_DEP_2)
	v_lshlrev_b32_e32 v27, 16, v27
	v_lshlrev_b32_e32 v29, 16, v29
	s_delay_alu instid0(VALU_DEP_2) | instskip(NEXT) | instid1(VALU_DEP_2)
	v_or_b32_e32 v23, v23, v27
	v_or_b32_e32 v22, v28, v29
	buffer_store_b128 v[22:25], v18, s[16:19], 0 offen
	;;#ASMSTART
	s_nop 0
	;;#ASMEND
	s_branch .LBB209_2
.LBB209_11:
	s_nop 0
	s_sendmsg sendmsg(MSG_DEALLOC_VGPRS)
	s_endpgm
	.section	.rodata,"a",@progbits
	.p2align	6, 0x0
	.amdhsa_kernel _ZN5aiter43moe_smooth_per_token_scaled_quant_kernel_v1ItaLi512ELi16ELb0ELb0ELi1024EEEvPT0_PfPT_S3_PiS6_iiiii
		.amdhsa_group_segment_fixed_size 64
		.amdhsa_private_segment_fixed_size 0
		.amdhsa_kernarg_size 68
		.amdhsa_user_sgpr_count 15
		.amdhsa_user_sgpr_dispatch_ptr 0
		.amdhsa_user_sgpr_queue_ptr 0
		.amdhsa_user_sgpr_kernarg_segment_ptr 1
		.amdhsa_user_sgpr_dispatch_id 0
		.amdhsa_user_sgpr_private_segment_size 0
		.amdhsa_wavefront_size32 1
		.amdhsa_uses_dynamic_stack 0
		.amdhsa_enable_private_segment 0
		.amdhsa_system_sgpr_workgroup_id_x 1
		.amdhsa_system_sgpr_workgroup_id_y 0
		.amdhsa_system_sgpr_workgroup_id_z 0
		.amdhsa_system_sgpr_workgroup_info 0
		.amdhsa_system_vgpr_workitem_id 0
		.amdhsa_next_free_vgpr 46
		.amdhsa_next_free_sgpr 23
		.amdhsa_reserve_vcc 1
		.amdhsa_float_round_mode_32 0
		.amdhsa_float_round_mode_16_64 0
		.amdhsa_float_denorm_mode_32 3
		.amdhsa_float_denorm_mode_16_64 3
		.amdhsa_dx10_clamp 1
		.amdhsa_ieee_mode 1
		.amdhsa_fp16_overflow 0
		.amdhsa_workgroup_processor_mode 1
		.amdhsa_memory_ordered 1
		.amdhsa_forward_progress 0
		.amdhsa_shared_vgpr_count 0
		.amdhsa_exception_fp_ieee_invalid_op 0
		.amdhsa_exception_fp_denorm_src 0
		.amdhsa_exception_fp_ieee_div_zero 0
		.amdhsa_exception_fp_ieee_overflow 0
		.amdhsa_exception_fp_ieee_underflow 0
		.amdhsa_exception_fp_ieee_inexact 0
		.amdhsa_exception_int_div_zero 0
	.end_amdhsa_kernel
	.section	.text._ZN5aiter43moe_smooth_per_token_scaled_quant_kernel_v1ItaLi512ELi16ELb0ELb0ELi1024EEEvPT0_PfPT_S3_PiS6_iiiii,"axG",@progbits,_ZN5aiter43moe_smooth_per_token_scaled_quant_kernel_v1ItaLi512ELi16ELb0ELb0ELi1024EEEvPT0_PfPT_S3_PiS6_iiiii,comdat
.Lfunc_end209:
	.size	_ZN5aiter43moe_smooth_per_token_scaled_quant_kernel_v1ItaLi512ELi16ELb0ELb0ELi1024EEEvPT0_PfPT_S3_PiS6_iiiii, .Lfunc_end209-_ZN5aiter43moe_smooth_per_token_scaled_quant_kernel_v1ItaLi512ELi16ELb0ELb0ELi1024EEEvPT0_PfPT_S3_PiS6_iiiii
                                        ; -- End function
	.section	.AMDGPU.csdata,"",@progbits
; Kernel info:
; codeLenInByte = 1580
; NumSgprs: 25
; NumVgprs: 46
; ScratchSize: 0
; MemoryBound: 0
; FloatMode: 240
; IeeeMode: 1
; LDSByteSize: 64 bytes/workgroup (compile time only)
; SGPRBlocks: 3
; VGPRBlocks: 5
; NumSGPRsForWavesPerEU: 25
; NumVGPRsForWavesPerEU: 46
; Occupancy: 16
; WaveLimiterHint : 0
; COMPUTE_PGM_RSRC2:SCRATCH_EN: 0
; COMPUTE_PGM_RSRC2:USER_SGPR: 15
; COMPUTE_PGM_RSRC2:TRAP_HANDLER: 0
; COMPUTE_PGM_RSRC2:TGID_X_EN: 1
; COMPUTE_PGM_RSRC2:TGID_Y_EN: 0
; COMPUTE_PGM_RSRC2:TGID_Z_EN: 0
; COMPUTE_PGM_RSRC2:TIDIG_COMP_CNT: 0
	.section	.text._ZN5aiter43moe_smooth_per_token_scaled_quant_kernel_v2IDF16_DB8_Li128ELi8EEEvPT0_PfPT_S4_PiS7_S7_iiiiiiiiiibb,"axG",@progbits,_ZN5aiter43moe_smooth_per_token_scaled_quant_kernel_v2IDF16_DB8_Li128ELi8EEEvPT0_PfPT_S4_PiS7_S7_iiiiiiiiiibb,comdat
	.protected	_ZN5aiter43moe_smooth_per_token_scaled_quant_kernel_v2IDF16_DB8_Li128ELi8EEEvPT0_PfPT_S4_PiS7_S7_iiiiiiiiiibb ; -- Begin function _ZN5aiter43moe_smooth_per_token_scaled_quant_kernel_v2IDF16_DB8_Li128ELi8EEEvPT0_PfPT_S4_PiS7_S7_iiiiiiiiiibb
	.globl	_ZN5aiter43moe_smooth_per_token_scaled_quant_kernel_v2IDF16_DB8_Li128ELi8EEEvPT0_PfPT_S4_PiS7_S7_iiiiiiiiiibb
	.p2align	8
	.type	_ZN5aiter43moe_smooth_per_token_scaled_quant_kernel_v2IDF16_DB8_Li128ELi8EEEvPT0_PfPT_S4_PiS7_S7_iiiiiiiiiibb,@function
_ZN5aiter43moe_smooth_per_token_scaled_quant_kernel_v2IDF16_DB8_Li128ELi8EEEvPT0_PfPT_S4_PiS7_S7_iiiiiiiiiibb: ; @_ZN5aiter43moe_smooth_per_token_scaled_quant_kernel_v2IDF16_DB8_Li128ELi8EEEvPT0_PfPT_S4_PiS7_S7_iiiiiiiiiibb
; %bb.0:
	s_load_b256 s[4:11], s[0:1], 0x38
	s_waitcnt lgkmcnt(0)
	s_cmp_ge_i32 s15, s6
	s_cbranch_scc1 .LBB210_21
; %bb.1:
	s_clause 0x3
	s_load_b128 s[24:27], s[0:1], 0x58
	s_load_b64 s[2:3], s[0:1], 0x30
	s_load_b128 s[28:31], s[0:1], 0x20
	s_load_b256 s[16:23], s[0:1], 0x0
	v_dual_mov_b32 v12, 0xc3e00000 :: v_dual_and_b32 v1, 31, v0
	v_lshrrev_b32_e32 v2, 3, v0
	v_and_b32_e32 v3, 3, v0
	v_dual_mov_b32 v11, 0 :: v_dual_lshlrev_b32 v8, 3, v0
	v_dual_mov_b32 v16, 0x43e00000 :: v_dual_lshlrev_b32 v9, 5, v0
	v_lshlrev_b32_e32 v10, 4, v0
	v_cmp_eq_u32_e64 s0, 0, v0
	v_lshlrev_b32_e32 v13, 2, v1
	v_cmp_eq_u32_e64 s1, 31, v1
	v_and_b32_e32 v14, 0x7c, v2
	v_lshlrev_b32_e32 v15, 2, v3
	s_mov_b32 s39, -1
	s_waitcnt lgkmcnt(0)
	s_bitcmp1_b32 s26, 8
	s_load_b32 s3, s[2:3], 0x0
	s_cselect_b32 s2, -1, 0
	s_ashr_i32 s10, s10, s11
	s_lshl_b32 s42, s8, 2
	s_xor_b32 s14, s2, -1
	s_lshl_b32 s46, s10, 2
	s_cmp_gt_i32 s10, 0
	s_cselect_b32 s26, -1, 0
	s_add_i32 s2, s8, 7
	s_add_i32 s12, s8, 3
	s_ashr_i32 s13, s2, 31
	s_ashr_i32 s27, s12, 31
	s_lshr_b32 s13, s13, 29
	s_lshl_b32 s38, s8, 1
	s_add_i32 s2, s2, s13
	s_lshr_b32 s13, s27, 30
	s_ashr_i32 s2, s2, 3
	s_add_i32 s12, s12, s13
	v_cmp_gt_u32_e64 s2, s2, v0
	s_and_b32 s50, s12, -4
	s_mov_b32 s27, 0x76543210
	s_branch .LBB210_4
.LBB210_2:                              ;   in Loop: Header=BB210_4 Depth=1
	s_mov_b32 s13, -1
.LBB210_3:                              ;   in Loop: Header=BB210_4 Depth=1
	s_add_i32 s15, s15, s7
	s_delay_alu instid0(SALU_CYCLE_1) | instskip(SKIP_1) | instid1(SALU_CYCLE_1)
	s_cmp_lt_i32 s15, s6
	s_cselect_b32 s12, -1, 0
	s_and_b32 s12, s13, s12
	s_delay_alu instid0(SALU_CYCLE_1)
	s_and_b32 vcc_lo, exec_lo, s12
	s_cbranch_vccz .LBB210_21
.LBB210_4:                              ; =>This Loop Header: Depth=1
                                        ;     Child Loop BB210_10 Depth 2
	s_mul_i32 s12, s15, s10
	s_mov_b32 s13, 0
	s_waitcnt lgkmcnt(0)
	s_cmp_ge_i32 s12, s3
	s_cbranch_scc1 .LBB210_3
; %bb.5:                                ;   in Loop: Header=BB210_4 Depth=1
	s_ashr_i32 s34, s15, s11
	s_delay_alu instid0(SALU_CYCLE_1) | instskip(NEXT) | instid1(SALU_CYCLE_1)
	s_ashr_i32 s35, s34, 31
	s_lshl_b64 s[34:35], s[34:35], 2
	s_delay_alu instid0(SALU_CYCLE_1)
	s_add_u32 s34, s30, s34
	s_addc_u32 s35, s31, s35
	s_load_b32 s33, s[34:35], 0x0
	s_waitcnt lgkmcnt(0)
	s_cmp_ge_i32 s33, s4
	s_cbranch_scc1 .LBB210_3
; %bb.6:                                ;   in Loop: Header=BB210_4 Depth=1
	s_and_not1_b32 vcc_lo, exec_lo, s26
	s_cbranch_vccnz .LBB210_2
; %bb.7:                                ;   in Loop: Header=BB210_4 Depth=1
	s_ashr_i32 s13, s12, 31
	s_mul_i32 s34, s33, s8
	s_lshl_b64 s[12:13], s[12:13], 2
	s_mov_b32 s47, s39
	s_add_u32 s44, s28, s12
	s_addc_u32 s12, s29, s13
	s_ashr_i32 s35, s34, 31
	s_and_b32 s45, s12, 0xffff
	s_lshl_b64 s[12:13], s[34:35], 2
	buffer_load_b32 v18, v13, s[44:47], 0 offen
	s_add_u32 s40, s22, s12
	s_addc_u32 s12, s23, s13
	s_mov_b32 s43, s39
	s_and_b32 s41, s12, 0xffff
	s_clause 0x1
	buffer_load_b128 v[0:3], v9, s[40:43], 16 offen
	buffer_load_b128 v[4:7], v9, s[40:43], 0 offen
	s_mov_b32 s33, 0
	s_waitcnt vmcnt(2)
	v_and_b32_e32 v17, 0xffffff, v18
	v_ashrrev_i32_e32 v18, 24, v18
	s_branch .LBB210_10
.LBB210_8:                              ;   in Loop: Header=BB210_10 Depth=2
	s_or_b32 exec_lo, exec_lo, s13
	s_add_i32 s33, s33, 1
	s_delay_alu instid0(SALU_CYCLE_1)
	s_cmp_eq_u32 s10, s33
	s_cselect_b32 s12, -1, 0
.LBB210_9:                              ;   in Loop: Header=BB210_10 Depth=2
	s_delay_alu instid0(SALU_CYCLE_1)
	s_and_b32 vcc_lo, exec_lo, s12
	s_cbranch_vccnz .LBB210_2
.LBB210_10:                             ;   Parent Loop BB210_4 Depth=1
                                        ; =>  This Inner Loop Header: Depth=2
	s_delay_alu instid0(VALU_DEP_2) | instskip(NEXT) | instid1(VALU_DEP_2)
	v_readlane_b32 s13, v17, s33
	v_readlane_b32 s34, v18, s33
	s_mov_b32 s12, -1
	s_delay_alu instid0(VALU_DEP_2)
	s_cmp_ge_i32 s13, s5
	s_cbranch_scc1 .LBB210_9
; %bb.11:                               ;   in Loop: Header=BB210_10 Depth=2
	s_mul_hi_i32 s37, s13, s24
	s_mul_i32 s36, s13, s24
	s_mul_i32 s40, s34, s25
	s_lshl_b64 s[36:37], s[36:37], 1
	s_ashr_i32 s41, s40, 31
	s_add_u32 s12, s20, s36
	s_addc_u32 s35, s21, s37
	s_lshl_b64 s[36:37], s[40:41], 1
	s_delay_alu instid0(SALU_CYCLE_1) | instskip(SKIP_1) | instid1(SALU_CYCLE_1)
	s_add_u32 s36, s12, s36
	s_addc_u32 s12, s35, s37
	s_and_b32 s37, s12, 0xffff
	buffer_load_b128 v[19:22], v10, s[36:39], 0 offen
	s_waitcnt vmcnt(0)
	v_lshrrev_b32_e32 v23, 16, v19
	v_cvt_f32_f16_e32 v19, v19
	v_lshrrev_b32_e32 v24, 16, v20
	v_cvt_f32_f16_e32 v20, v20
	v_cvt_f32_f16_e32 v27, v21
	;; [unrolled: 1-line block ×3, first 2 shown]
	v_lshrrev_b32_e32 v21, 16, v21
	v_cvt_f32_f16_e32 v26, v24
	v_mul_f32_e32 v23, v4, v19
	v_lshrrev_b32_e32 v19, 16, v22
	v_mul_f32_e32 v24, v5, v25
	v_cvt_f32_f16_e32 v21, v21
	v_dual_mul_f32 v25, v6, v20 :: v_dual_mul_f32 v26, v7, v26
	v_cvt_f32_f16_e32 v28, v22
	s_delay_alu instid0(VALU_DEP_4) | instskip(SKIP_2) | instid1(VALU_DEP_4)
	v_max3_f32 v20, |v23|, 0x2edbe6ff, |v24|
	v_cvt_f32_f16_e32 v29, v19
	v_dual_mul_f32 v22, v0, v27 :: v_dual_mul_f32 v21, v1, v21
	v_mul_f32_e32 v19, v2, v28
	s_delay_alu instid0(VALU_DEP_4) | instskip(NEXT) | instid1(VALU_DEP_4)
	v_max3_f32 v27, v20, |v25|, |v26|
	v_mul_f32_e32 v20, v3, v29
	s_delay_alu instid0(VALU_DEP_2) | instskip(NEXT) | instid1(VALU_DEP_1)
	v_max3_f32 v27, v27, |v22|, |v21|
	v_max3_f32 v27, v27, |v19|, |v20|
	s_delay_alu instid0(VALU_DEP_1) | instskip(NEXT) | instid1(VALU_DEP_1)
	v_mov_b32_dpp v28, v27 quad_perm:[1,0,3,2] row_mask:0xf bank_mask:0xf
	v_cmp_gt_f32_e32 vcc_lo, v27, v28
	v_cndmask_b32_e32 v27, v28, v27, vcc_lo
	s_delay_alu instid0(VALU_DEP_1) | instskip(NEXT) | instid1(VALU_DEP_1)
	v_mov_b32_dpp v28, v27 quad_perm:[2,3,0,1] row_mask:0xf bank_mask:0xf
	v_cmp_gt_f32_e32 vcc_lo, v27, v28
	v_cndmask_b32_e32 v27, v28, v27, vcc_lo
	s_delay_alu instid0(VALU_DEP_1) | instskip(NEXT) | instid1(VALU_DEP_1)
	v_mov_b32_dpp v28, v27 row_xmask:7 row_mask:0xf bank_mask:0xf
	v_cmp_gt_f32_e32 vcc_lo, v27, v28
	v_cndmask_b32_e32 v27, v28, v27, vcc_lo
	s_delay_alu instid0(VALU_DEP_1) | instskip(NEXT) | instid1(VALU_DEP_1)
	v_mov_b32_dpp v28, v27 row_xmask:15 row_mask:0xf bank_mask:0xf
	v_cmp_gt_f32_e32 vcc_lo, v27, v28
	s_and_saveexec_b32 s12, s1
	s_cbranch_execz .LBB210_13
; %bb.12:                               ;   in Loop: Header=BB210_10 Depth=2
	v_cndmask_b32_e32 v27, v28, v27, vcc_lo
	s_delay_alu instid0(VALU_DEP_1) | instskip(NEXT) | instid1(VALU_DEP_1)
	v_permlanex16_b32 v28, v27, s27, 0xfedcba98 op_sel:[1,1]
	v_cmp_gt_f32_e32 vcc_lo, v27, v28
	v_cndmask_b32_e32 v27, v28, v27, vcc_lo
	ds_store_b32 v14, v27
.LBB210_13:                             ;   in Loop: Header=BB210_10 Depth=2
	s_or_b32 exec_lo, exec_lo, s12
	s_waitcnt lgkmcnt(0)
	s_waitcnt_vscnt null, 0x0
	s_barrier
	buffer_gl0_inv
	ds_load_b32 v27, v15
	s_mov_b32 s35, -1
                                        ; implicit-def: $sgpr12
	s_waitcnt lgkmcnt(0)
	v_mov_b32_dpp v28, v27 quad_perm:[1,0,3,2] row_mask:0xf bank_mask:0xf
	s_delay_alu instid0(VALU_DEP_1) | instskip(SKIP_2) | instid1(VALU_DEP_1)
	v_cmp_gt_f32_e32 vcc_lo, v27, v28
	v_cndmask_b32_e32 v27, v28, v27, vcc_lo
	s_and_b32 vcc_lo, exec_lo, s14
	v_mov_b32_dpp v28, v27 quad_perm:[2,3,0,1] row_mask:0xf bank_mask:0xf
	s_cbranch_vccz .LBB210_15
; %bb.14:                               ;   in Loop: Header=BB210_10 Depth=2
	s_mul_i32 s12, s13, s9
	s_mov_b32 s35, 0
	s_add_i32 s12, s12, s34
.LBB210_15:                             ;   in Loop: Header=BB210_10 Depth=2
	s_and_not1_b32 vcc_lo, exec_lo, s35
	s_cbranch_vccnz .LBB210_17
; %bb.16:                               ;   in Loop: Header=BB210_10 Depth=2
	s_mul_i32 s12, s34, s5
	s_delay_alu instid0(SALU_CYCLE_1)
	s_add_i32 s12, s12, s13
.LBB210_17:                             ;   in Loop: Header=BB210_10 Depth=2
	s_delay_alu instid0(VALU_DEP_1) | instskip(SKIP_1) | instid1(VALU_DEP_1)
	v_cmp_gt_f32_e32 vcc_lo, v27, v28
	v_cndmask_b32_e32 v27, v28, v27, vcc_lo
	v_mul_f32_e32 v27, 0x3b124925, v27
	s_and_saveexec_b32 s34, s0
	s_cbranch_execz .LBB210_19
; %bb.18:                               ;   in Loop: Header=BB210_10 Depth=2
	s_ashr_i32 s13, s12, 31
	s_delay_alu instid0(SALU_CYCLE_1) | instskip(NEXT) | instid1(SALU_CYCLE_1)
	s_lshl_b64 s[36:37], s[12:13], 2
	s_add_u32 s36, s18, s36
	s_addc_u32 s37, s19, s37
	global_store_b32 v11, v27, s[36:37]
.LBB210_19:                             ;   in Loop: Header=BB210_10 Depth=2
	s_or_b32 exec_lo, exec_lo, s34
	s_and_saveexec_b32 s13, s2
	s_cbranch_execz .LBB210_8
; %bb.20:                               ;   in Loop: Header=BB210_10 Depth=2
	v_rcp_f32_e32 v27, v27
	s_mul_i32 s34, s12, s8
	s_mul_hi_i32 s12, s12, s8
	s_add_u32 s48, s16, s34
	s_addc_u32 s12, s17, s12
	s_mov_b32 s51, s39
	s_and_b32 s49, s12, 0xffff
	s_waitcnt_depctr 0xfff
	v_mul_f32_e32 v23, v23, v27
	v_mul_f32_e32 v24, v24, v27
	;; [unrolled: 1-line block ×4, first 2 shown]
	;;#ASMSTART
	v_med3_f32 v23, v23, v12, v16
v_med3_f32 v24, v24, v12, v16
v_cvt_pk_fp8_f32 v28, v23, v24
	;;#ASMEND
	;;#ASMSTART
	v_med3_f32 v25, v25, v12, v16
v_med3_f32 v26, v26, v12, v16
v_cvt_pk_fp8_f32 v23, v25, v26
	;;#ASMEND
	v_perm_b32 v24, v23, v28, 0x5040100
	v_and_b32_e32 v23, 0xffffff00, v23
	v_mul_f32_e32 v22, v22, v27
	v_mul_f32_e32 v21, v21, v27
	;; [unrolled: 1-line block ×3, first 2 shown]
	v_lshrrev_b32_e32 v25, 16, v24
	s_delay_alu instid0(VALU_DEP_1) | instskip(NEXT) | instid1(VALU_DEP_1)
	v_dual_mul_f32 v20, v20, v27 :: v_dual_and_b32 v25, 0xff, v25
	v_or_b32_e32 v23, v25, v23
	;;#ASMSTART
	v_med3_f32 v22, v22, v12, v16
v_med3_f32 v21, v21, v12, v16
v_cvt_pk_fp8_f32 v25, v22, v21
	;;#ASMEND
	;;#ASMSTART
	v_med3_f32 v19, v19, v12, v16
v_med3_f32 v20, v20, v12, v16
v_cvt_pk_fp8_f32 v21, v19, v20
	;;#ASMEND
	v_lshlrev_b32_e32 v19, 16, v21
	s_delay_alu instid0(VALU_DEP_2) | instskip(NEXT) | instid1(VALU_DEP_2)
	v_lshlrev_b32_e32 v21, 16, v23
	v_and_or_b32 v20, 0xffff, v25, v19
	s_delay_alu instid0(VALU_DEP_2)
	v_and_or_b32 v19, 0xffff, v24, v21
	buffer_store_b64 v[19:20], v8, s[48:51], 0 offen
	;;#ASMSTART
	s_nop 0
	;;#ASMEND
	s_branch .LBB210_8
.LBB210_21:
	s_nop 0
	s_sendmsg sendmsg(MSG_DEALLOC_VGPRS)
	s_endpgm
	.section	.rodata,"a",@progbits
	.p2align	6, 0x0
	.amdhsa_kernel _ZN5aiter43moe_smooth_per_token_scaled_quant_kernel_v2IDF16_DB8_Li128ELi8EEEvPT0_PfPT_S4_PiS7_S7_iiiiiiiiiibb
		.amdhsa_group_segment_fixed_size 16
		.amdhsa_private_segment_fixed_size 0
		.amdhsa_kernarg_size 100
		.amdhsa_user_sgpr_count 15
		.amdhsa_user_sgpr_dispatch_ptr 0
		.amdhsa_user_sgpr_queue_ptr 0
		.amdhsa_user_sgpr_kernarg_segment_ptr 1
		.amdhsa_user_sgpr_dispatch_id 0
		.amdhsa_user_sgpr_private_segment_size 0
		.amdhsa_wavefront_size32 1
		.amdhsa_uses_dynamic_stack 0
		.amdhsa_enable_private_segment 0
		.amdhsa_system_sgpr_workgroup_id_x 1
		.amdhsa_system_sgpr_workgroup_id_y 0
		.amdhsa_system_sgpr_workgroup_id_z 0
		.amdhsa_system_sgpr_workgroup_info 0
		.amdhsa_system_vgpr_workitem_id 0
		.amdhsa_next_free_vgpr 30
		.amdhsa_next_free_sgpr 52
		.amdhsa_reserve_vcc 1
		.amdhsa_float_round_mode_32 0
		.amdhsa_float_round_mode_16_64 0
		.amdhsa_float_denorm_mode_32 3
		.amdhsa_float_denorm_mode_16_64 3
		.amdhsa_dx10_clamp 1
		.amdhsa_ieee_mode 1
		.amdhsa_fp16_overflow 0
		.amdhsa_workgroup_processor_mode 1
		.amdhsa_memory_ordered 1
		.amdhsa_forward_progress 0
		.amdhsa_shared_vgpr_count 0
		.amdhsa_exception_fp_ieee_invalid_op 0
		.amdhsa_exception_fp_denorm_src 0
		.amdhsa_exception_fp_ieee_div_zero 0
		.amdhsa_exception_fp_ieee_overflow 0
		.amdhsa_exception_fp_ieee_underflow 0
		.amdhsa_exception_fp_ieee_inexact 0
		.amdhsa_exception_int_div_zero 0
	.end_amdhsa_kernel
	.section	.text._ZN5aiter43moe_smooth_per_token_scaled_quant_kernel_v2IDF16_DB8_Li128ELi8EEEvPT0_PfPT_S4_PiS7_S7_iiiiiiiiiibb,"axG",@progbits,_ZN5aiter43moe_smooth_per_token_scaled_quant_kernel_v2IDF16_DB8_Li128ELi8EEEvPT0_PfPT_S4_PiS7_S7_iiiiiiiiiibb,comdat
.Lfunc_end210:
	.size	_ZN5aiter43moe_smooth_per_token_scaled_quant_kernel_v2IDF16_DB8_Li128ELi8EEEvPT0_PfPT_S4_PiS7_S7_iiiiiiiiiibb, .Lfunc_end210-_ZN5aiter43moe_smooth_per_token_scaled_quant_kernel_v2IDF16_DB8_Li128ELi8EEEvPT0_PfPT_S4_PiS7_S7_iiiiiiiiiibb
                                        ; -- End function
	.section	.AMDGPU.csdata,"",@progbits
; Kernel info:
; codeLenInByte = 1456
; NumSgprs: 54
; NumVgprs: 30
; ScratchSize: 0
; MemoryBound: 0
; FloatMode: 240
; IeeeMode: 1
; LDSByteSize: 16 bytes/workgroup (compile time only)
; SGPRBlocks: 6
; VGPRBlocks: 3
; NumSGPRsForWavesPerEU: 54
; NumVGPRsForWavesPerEU: 30
; Occupancy: 16
; WaveLimiterHint : 0
; COMPUTE_PGM_RSRC2:SCRATCH_EN: 0
; COMPUTE_PGM_RSRC2:USER_SGPR: 15
; COMPUTE_PGM_RSRC2:TRAP_HANDLER: 0
; COMPUTE_PGM_RSRC2:TGID_X_EN: 1
; COMPUTE_PGM_RSRC2:TGID_Y_EN: 0
; COMPUTE_PGM_RSRC2:TGID_Z_EN: 0
; COMPUTE_PGM_RSRC2:TIDIG_COMP_CNT: 0
	.section	.text._ZN5aiter43moe_smooth_per_token_scaled_quant_kernel_v2ItDB8_Li128ELi8EEEvPT0_PfPT_S4_PiS7_S7_iiiiiiiiiibb,"axG",@progbits,_ZN5aiter43moe_smooth_per_token_scaled_quant_kernel_v2ItDB8_Li128ELi8EEEvPT0_PfPT_S4_PiS7_S7_iiiiiiiiiibb,comdat
	.protected	_ZN5aiter43moe_smooth_per_token_scaled_quant_kernel_v2ItDB8_Li128ELi8EEEvPT0_PfPT_S4_PiS7_S7_iiiiiiiiiibb ; -- Begin function _ZN5aiter43moe_smooth_per_token_scaled_quant_kernel_v2ItDB8_Li128ELi8EEEvPT0_PfPT_S4_PiS7_S7_iiiiiiiiiibb
	.globl	_ZN5aiter43moe_smooth_per_token_scaled_quant_kernel_v2ItDB8_Li128ELi8EEEvPT0_PfPT_S4_PiS7_S7_iiiiiiiiiibb
	.p2align	8
	.type	_ZN5aiter43moe_smooth_per_token_scaled_quant_kernel_v2ItDB8_Li128ELi8EEEvPT0_PfPT_S4_PiS7_S7_iiiiiiiiiibb,@function
_ZN5aiter43moe_smooth_per_token_scaled_quant_kernel_v2ItDB8_Li128ELi8EEEvPT0_PfPT_S4_PiS7_S7_iiiiiiiiiibb: ; @_ZN5aiter43moe_smooth_per_token_scaled_quant_kernel_v2ItDB8_Li128ELi8EEEvPT0_PfPT_S4_PiS7_S7_iiiiiiiiiibb
; %bb.0:
	s_load_b256 s[4:11], s[0:1], 0x38
	s_waitcnt lgkmcnt(0)
	s_cmp_ge_i32 s15, s6
	s_cbranch_scc1 .LBB211_21
; %bb.1:
	s_clause 0x3
	s_load_b128 s[24:27], s[0:1], 0x58
	s_load_b64 s[2:3], s[0:1], 0x30
	s_load_b128 s[28:31], s[0:1], 0x20
	s_load_b256 s[16:23], s[0:1], 0x0
	v_dual_mov_b32 v12, 0xc3e00000 :: v_dual_and_b32 v1, 31, v0
	v_lshrrev_b32_e32 v2, 3, v0
	v_and_b32_e32 v3, 3, v0
	v_dual_mov_b32 v11, 0 :: v_dual_lshlrev_b32 v8, 3, v0
	v_dual_mov_b32 v16, 0x43e00000 :: v_dual_lshlrev_b32 v9, 5, v0
	v_lshlrev_b32_e32 v10, 4, v0
	v_cmp_eq_u32_e64 s0, 0, v0
	v_lshlrev_b32_e32 v13, 2, v1
	v_cmp_eq_u32_e64 s1, 31, v1
	v_and_b32_e32 v14, 0x7c, v2
	v_lshlrev_b32_e32 v15, 2, v3
	s_mov_b32 s39, -1
	s_waitcnt lgkmcnt(0)
	s_bitcmp1_b32 s26, 8
	s_load_b32 s3, s[2:3], 0x0
	s_cselect_b32 s2, -1, 0
	s_ashr_i32 s10, s10, s11
	s_lshl_b32 s42, s8, 2
	s_xor_b32 s14, s2, -1
	s_lshl_b32 s46, s10, 2
	s_cmp_gt_i32 s10, 0
	s_cselect_b32 s26, -1, 0
	s_add_i32 s2, s8, 7
	s_add_i32 s12, s8, 3
	s_ashr_i32 s13, s2, 31
	s_ashr_i32 s27, s12, 31
	s_lshr_b32 s13, s13, 29
	s_lshl_b32 s38, s8, 1
	s_add_i32 s2, s2, s13
	s_lshr_b32 s13, s27, 30
	s_ashr_i32 s2, s2, 3
	s_add_i32 s12, s12, s13
	v_cmp_gt_u32_e64 s2, s2, v0
	s_and_b32 s50, s12, -4
	s_mov_b32 s27, 0x76543210
	s_branch .LBB211_4
.LBB211_2:                              ;   in Loop: Header=BB211_4 Depth=1
	s_mov_b32 s13, -1
.LBB211_3:                              ;   in Loop: Header=BB211_4 Depth=1
	s_add_i32 s15, s15, s7
	s_delay_alu instid0(SALU_CYCLE_1) | instskip(SKIP_1) | instid1(SALU_CYCLE_1)
	s_cmp_lt_i32 s15, s6
	s_cselect_b32 s12, -1, 0
	s_and_b32 s12, s13, s12
	s_delay_alu instid0(SALU_CYCLE_1)
	s_and_b32 vcc_lo, exec_lo, s12
	s_cbranch_vccz .LBB211_21
.LBB211_4:                              ; =>This Loop Header: Depth=1
                                        ;     Child Loop BB211_10 Depth 2
	s_mul_i32 s12, s15, s10
	s_mov_b32 s13, 0
	s_waitcnt lgkmcnt(0)
	s_cmp_ge_i32 s12, s3
	s_cbranch_scc1 .LBB211_3
; %bb.5:                                ;   in Loop: Header=BB211_4 Depth=1
	s_ashr_i32 s34, s15, s11
	s_delay_alu instid0(SALU_CYCLE_1) | instskip(NEXT) | instid1(SALU_CYCLE_1)
	s_ashr_i32 s35, s34, 31
	s_lshl_b64 s[34:35], s[34:35], 2
	s_delay_alu instid0(SALU_CYCLE_1)
	s_add_u32 s34, s30, s34
	s_addc_u32 s35, s31, s35
	s_load_b32 s33, s[34:35], 0x0
	s_waitcnt lgkmcnt(0)
	s_cmp_ge_i32 s33, s4
	s_cbranch_scc1 .LBB211_3
; %bb.6:                                ;   in Loop: Header=BB211_4 Depth=1
	s_and_not1_b32 vcc_lo, exec_lo, s26
	s_cbranch_vccnz .LBB211_2
; %bb.7:                                ;   in Loop: Header=BB211_4 Depth=1
	s_ashr_i32 s13, s12, 31
	s_mul_i32 s34, s33, s8
	s_lshl_b64 s[12:13], s[12:13], 2
	s_mov_b32 s47, s39
	s_add_u32 s44, s28, s12
	s_addc_u32 s12, s29, s13
	s_ashr_i32 s35, s34, 31
	s_and_b32 s45, s12, 0xffff
	s_lshl_b64 s[12:13], s[34:35], 2
	buffer_load_b32 v18, v13, s[44:47], 0 offen
	s_add_u32 s40, s22, s12
	s_addc_u32 s12, s23, s13
	s_mov_b32 s43, s39
	s_and_b32 s41, s12, 0xffff
	s_clause 0x1
	buffer_load_b128 v[0:3], v9, s[40:43], 16 offen
	buffer_load_b128 v[4:7], v9, s[40:43], 0 offen
	s_mov_b32 s33, 0
	s_waitcnt vmcnt(2)
	v_and_b32_e32 v17, 0xffffff, v18
	v_ashrrev_i32_e32 v18, 24, v18
	s_branch .LBB211_10
.LBB211_8:                              ;   in Loop: Header=BB211_10 Depth=2
	s_or_b32 exec_lo, exec_lo, s13
	s_add_i32 s33, s33, 1
	s_delay_alu instid0(SALU_CYCLE_1)
	s_cmp_eq_u32 s10, s33
	s_cselect_b32 s12, -1, 0
.LBB211_9:                              ;   in Loop: Header=BB211_10 Depth=2
	s_delay_alu instid0(SALU_CYCLE_1)
	s_and_b32 vcc_lo, exec_lo, s12
	s_cbranch_vccnz .LBB211_2
.LBB211_10:                             ;   Parent Loop BB211_4 Depth=1
                                        ; =>  This Inner Loop Header: Depth=2
	s_delay_alu instid0(VALU_DEP_2) | instskip(NEXT) | instid1(VALU_DEP_2)
	v_readlane_b32 s13, v17, s33
	v_readlane_b32 s34, v18, s33
	s_mov_b32 s12, -1
	s_delay_alu instid0(VALU_DEP_2)
	s_cmp_ge_i32 s13, s5
	s_cbranch_scc1 .LBB211_9
; %bb.11:                               ;   in Loop: Header=BB211_10 Depth=2
	s_mul_hi_i32 s37, s13, s24
	s_mul_i32 s36, s13, s24
	s_mul_i32 s40, s34, s25
	s_lshl_b64 s[36:37], s[36:37], 1
	s_ashr_i32 s41, s40, 31
	s_add_u32 s12, s20, s36
	s_addc_u32 s35, s21, s37
	s_lshl_b64 s[36:37], s[40:41], 1
	s_delay_alu instid0(SALU_CYCLE_1) | instskip(SKIP_1) | instid1(SALU_CYCLE_1)
	s_add_u32 s36, s12, s36
	s_addc_u32 s12, s35, s37
	s_and_b32 s37, s12, 0xffff
	buffer_load_b128 v[19:22], v10, s[36:39], 0 offen
	s_waitcnt vmcnt(0)
	v_and_b32_e32 v24, 0xffff, v20
	v_lshrrev_b32_e32 v20, 16, v20
	s_delay_alu instid0(VALU_DEP_2) | instskip(NEXT) | instid1(VALU_DEP_2)
	v_cvt_f32_u32_e32 v26, v24
	v_cvt_f32_u32_e32 v20, v20
	v_and_b32_e32 v23, 0xffff, v19
	v_lshrrev_b32_e32 v19, 16, v19
	s_delay_alu instid0(VALU_DEP_1) | instskip(SKIP_2) | instid1(VALU_DEP_3)
	v_cvt_f32_u32_e32 v19, v19
	v_and_b32_e32 v25, 0xffff, v21
	v_lshrrev_b32_e32 v21, 16, v21
	v_mul_f32_e32 v24, v5, v19
	s_delay_alu instid0(VALU_DEP_3) | instskip(SKIP_3) | instid1(VALU_DEP_2)
	v_cvt_f32_u32_e32 v19, v25
	v_and_b32_e32 v27, 0xffff, v22
	v_lshrrev_b32_e32 v22, 16, v22
	v_cvt_f32_u32_e32 v21, v21
	v_cvt_f32_u32_e32 v28, v22
	v_dual_mul_f32 v22, v0, v19 :: v_dual_mul_f32 v25, v6, v26
	v_mul_f32_e32 v26, v7, v20
	v_cvt_f32_u32_e32 v23, v23
	v_cvt_f32_u32_e32 v27, v27
	v_mul_f32_e32 v21, v1, v21
	s_delay_alu instid0(VALU_DEP_3) | instskip(NEXT) | instid1(VALU_DEP_3)
	v_mul_f32_e32 v23, v4, v23
	v_mul_f32_e32 v19, v2, v27
	s_delay_alu instid0(VALU_DEP_2) | instskip(NEXT) | instid1(VALU_DEP_1)
	v_max3_f32 v20, |v23|, 0x2edbe6ff, |v24|
	v_max3_f32 v29, v20, |v25|, |v26|
	v_mul_f32_e32 v20, v3, v28
	s_delay_alu instid0(VALU_DEP_2) | instskip(NEXT) | instid1(VALU_DEP_1)
	v_max3_f32 v27, v29, |v22|, |v21|
	v_max3_f32 v27, v27, |v19|, |v20|
	s_delay_alu instid0(VALU_DEP_1) | instskip(NEXT) | instid1(VALU_DEP_1)
	v_mov_b32_dpp v28, v27 quad_perm:[1,0,3,2] row_mask:0xf bank_mask:0xf
	v_cmp_gt_f32_e32 vcc_lo, v27, v28
	v_cndmask_b32_e32 v27, v28, v27, vcc_lo
	s_delay_alu instid0(VALU_DEP_1) | instskip(NEXT) | instid1(VALU_DEP_1)
	v_mov_b32_dpp v28, v27 quad_perm:[2,3,0,1] row_mask:0xf bank_mask:0xf
	v_cmp_gt_f32_e32 vcc_lo, v27, v28
	v_cndmask_b32_e32 v27, v28, v27, vcc_lo
	s_delay_alu instid0(VALU_DEP_1) | instskip(NEXT) | instid1(VALU_DEP_1)
	v_mov_b32_dpp v28, v27 row_xmask:7 row_mask:0xf bank_mask:0xf
	v_cmp_gt_f32_e32 vcc_lo, v27, v28
	v_cndmask_b32_e32 v27, v28, v27, vcc_lo
	s_delay_alu instid0(VALU_DEP_1) | instskip(NEXT) | instid1(VALU_DEP_1)
	v_mov_b32_dpp v28, v27 row_xmask:15 row_mask:0xf bank_mask:0xf
	v_cmp_gt_f32_e32 vcc_lo, v27, v28
	s_and_saveexec_b32 s12, s1
	s_cbranch_execz .LBB211_13
; %bb.12:                               ;   in Loop: Header=BB211_10 Depth=2
	v_cndmask_b32_e32 v27, v28, v27, vcc_lo
	s_delay_alu instid0(VALU_DEP_1) | instskip(NEXT) | instid1(VALU_DEP_1)
	v_permlanex16_b32 v28, v27, s27, 0xfedcba98 op_sel:[1,1]
	v_cmp_gt_f32_e32 vcc_lo, v27, v28
	v_cndmask_b32_e32 v27, v28, v27, vcc_lo
	ds_store_b32 v14, v27
.LBB211_13:                             ;   in Loop: Header=BB211_10 Depth=2
	s_or_b32 exec_lo, exec_lo, s12
	s_waitcnt lgkmcnt(0)
	s_waitcnt_vscnt null, 0x0
	s_barrier
	buffer_gl0_inv
	ds_load_b32 v27, v15
	s_mov_b32 s35, -1
                                        ; implicit-def: $sgpr12
	s_waitcnt lgkmcnt(0)
	v_mov_b32_dpp v28, v27 quad_perm:[1,0,3,2] row_mask:0xf bank_mask:0xf
	s_delay_alu instid0(VALU_DEP_1) | instskip(SKIP_2) | instid1(VALU_DEP_1)
	v_cmp_gt_f32_e32 vcc_lo, v27, v28
	v_cndmask_b32_e32 v27, v28, v27, vcc_lo
	s_and_b32 vcc_lo, exec_lo, s14
	v_mov_b32_dpp v28, v27 quad_perm:[2,3,0,1] row_mask:0xf bank_mask:0xf
	s_cbranch_vccz .LBB211_15
; %bb.14:                               ;   in Loop: Header=BB211_10 Depth=2
	s_mul_i32 s12, s13, s9
	s_mov_b32 s35, 0
	s_add_i32 s12, s12, s34
.LBB211_15:                             ;   in Loop: Header=BB211_10 Depth=2
	s_and_not1_b32 vcc_lo, exec_lo, s35
	s_cbranch_vccnz .LBB211_17
; %bb.16:                               ;   in Loop: Header=BB211_10 Depth=2
	s_mul_i32 s12, s34, s5
	s_delay_alu instid0(SALU_CYCLE_1)
	s_add_i32 s12, s12, s13
.LBB211_17:                             ;   in Loop: Header=BB211_10 Depth=2
	s_delay_alu instid0(VALU_DEP_1) | instskip(SKIP_1) | instid1(VALU_DEP_1)
	v_cmp_gt_f32_e32 vcc_lo, v27, v28
	v_cndmask_b32_e32 v27, v28, v27, vcc_lo
	v_mul_f32_e32 v27, 0x3b124925, v27
	s_and_saveexec_b32 s34, s0
	s_cbranch_execz .LBB211_19
; %bb.18:                               ;   in Loop: Header=BB211_10 Depth=2
	s_ashr_i32 s13, s12, 31
	s_delay_alu instid0(SALU_CYCLE_1) | instskip(NEXT) | instid1(SALU_CYCLE_1)
	s_lshl_b64 s[36:37], s[12:13], 2
	s_add_u32 s36, s18, s36
	s_addc_u32 s37, s19, s37
	global_store_b32 v11, v27, s[36:37]
.LBB211_19:                             ;   in Loop: Header=BB211_10 Depth=2
	s_or_b32 exec_lo, exec_lo, s34
	s_and_saveexec_b32 s13, s2
	s_cbranch_execz .LBB211_8
; %bb.20:                               ;   in Loop: Header=BB211_10 Depth=2
	v_rcp_f32_e32 v27, v27
	s_mul_i32 s34, s12, s8
	s_mul_hi_i32 s12, s12, s8
	s_add_u32 s48, s16, s34
	s_addc_u32 s12, s17, s12
	s_mov_b32 s51, s39
	s_and_b32 s49, s12, 0xffff
	s_waitcnt_depctr 0xfff
	v_mul_f32_e32 v23, v23, v27
	v_mul_f32_e32 v24, v24, v27
	;; [unrolled: 1-line block ×4, first 2 shown]
	;;#ASMSTART
	v_med3_f32 v23, v23, v12, v16
v_med3_f32 v24, v24, v12, v16
v_cvt_pk_fp8_f32 v28, v23, v24
	;;#ASMEND
	;;#ASMSTART
	v_med3_f32 v25, v25, v12, v16
v_med3_f32 v26, v26, v12, v16
v_cvt_pk_fp8_f32 v23, v25, v26
	;;#ASMEND
	v_perm_b32 v24, v23, v28, 0x5040100
	v_and_b32_e32 v23, 0xffffff00, v23
	v_mul_f32_e32 v22, v22, v27
	v_mul_f32_e32 v21, v21, v27
	;; [unrolled: 1-line block ×3, first 2 shown]
	v_lshrrev_b32_e32 v25, 16, v24
	s_delay_alu instid0(VALU_DEP_1) | instskip(NEXT) | instid1(VALU_DEP_1)
	v_dual_mul_f32 v20, v20, v27 :: v_dual_and_b32 v25, 0xff, v25
	v_or_b32_e32 v23, v25, v23
	;;#ASMSTART
	v_med3_f32 v22, v22, v12, v16
v_med3_f32 v21, v21, v12, v16
v_cvt_pk_fp8_f32 v25, v22, v21
	;;#ASMEND
	;;#ASMSTART
	v_med3_f32 v19, v19, v12, v16
v_med3_f32 v20, v20, v12, v16
v_cvt_pk_fp8_f32 v21, v19, v20
	;;#ASMEND
	v_lshlrev_b32_e32 v19, 16, v21
	s_delay_alu instid0(VALU_DEP_2) | instskip(NEXT) | instid1(VALU_DEP_2)
	v_lshlrev_b32_e32 v21, 16, v23
	v_and_or_b32 v20, 0xffff, v25, v19
	s_delay_alu instid0(VALU_DEP_2)
	v_and_or_b32 v19, 0xffff, v24, v21
	buffer_store_b64 v[19:20], v8, s[48:51], 0 offen
	;;#ASMSTART
	s_nop 0
	;;#ASMEND
	s_branch .LBB211_8
.LBB211_21:
	s_nop 0
	s_sendmsg sendmsg(MSG_DEALLOC_VGPRS)
	s_endpgm
	.section	.rodata,"a",@progbits
	.p2align	6, 0x0
	.amdhsa_kernel _ZN5aiter43moe_smooth_per_token_scaled_quant_kernel_v2ItDB8_Li128ELi8EEEvPT0_PfPT_S4_PiS7_S7_iiiiiiiiiibb
		.amdhsa_group_segment_fixed_size 16
		.amdhsa_private_segment_fixed_size 0
		.amdhsa_kernarg_size 100
		.amdhsa_user_sgpr_count 15
		.amdhsa_user_sgpr_dispatch_ptr 0
		.amdhsa_user_sgpr_queue_ptr 0
		.amdhsa_user_sgpr_kernarg_segment_ptr 1
		.amdhsa_user_sgpr_dispatch_id 0
		.amdhsa_user_sgpr_private_segment_size 0
		.amdhsa_wavefront_size32 1
		.amdhsa_uses_dynamic_stack 0
		.amdhsa_enable_private_segment 0
		.amdhsa_system_sgpr_workgroup_id_x 1
		.amdhsa_system_sgpr_workgroup_id_y 0
		.amdhsa_system_sgpr_workgroup_id_z 0
		.amdhsa_system_sgpr_workgroup_info 0
		.amdhsa_system_vgpr_workitem_id 0
		.amdhsa_next_free_vgpr 30
		.amdhsa_next_free_sgpr 52
		.amdhsa_reserve_vcc 1
		.amdhsa_float_round_mode_32 0
		.amdhsa_float_round_mode_16_64 0
		.amdhsa_float_denorm_mode_32 3
		.amdhsa_float_denorm_mode_16_64 3
		.amdhsa_dx10_clamp 1
		.amdhsa_ieee_mode 1
		.amdhsa_fp16_overflow 0
		.amdhsa_workgroup_processor_mode 1
		.amdhsa_memory_ordered 1
		.amdhsa_forward_progress 0
		.amdhsa_shared_vgpr_count 0
		.amdhsa_exception_fp_ieee_invalid_op 0
		.amdhsa_exception_fp_denorm_src 0
		.amdhsa_exception_fp_ieee_div_zero 0
		.amdhsa_exception_fp_ieee_overflow 0
		.amdhsa_exception_fp_ieee_underflow 0
		.amdhsa_exception_fp_ieee_inexact 0
		.amdhsa_exception_int_div_zero 0
	.end_amdhsa_kernel
	.section	.text._ZN5aiter43moe_smooth_per_token_scaled_quant_kernel_v2ItDB8_Li128ELi8EEEvPT0_PfPT_S4_PiS7_S7_iiiiiiiiiibb,"axG",@progbits,_ZN5aiter43moe_smooth_per_token_scaled_quant_kernel_v2ItDB8_Li128ELi8EEEvPT0_PfPT_S4_PiS7_S7_iiiiiiiiiibb,comdat
.Lfunc_end211:
	.size	_ZN5aiter43moe_smooth_per_token_scaled_quant_kernel_v2ItDB8_Li128ELi8EEEvPT0_PfPT_S4_PiS7_S7_iiiiiiiiiibb, .Lfunc_end211-_ZN5aiter43moe_smooth_per_token_scaled_quant_kernel_v2ItDB8_Li128ELi8EEEvPT0_PfPT_S4_PiS7_S7_iiiiiiiiiibb
                                        ; -- End function
	.section	.AMDGPU.csdata,"",@progbits
; Kernel info:
; codeLenInByte = 1500
; NumSgprs: 54
; NumVgprs: 30
; ScratchSize: 0
; MemoryBound: 0
; FloatMode: 240
; IeeeMode: 1
; LDSByteSize: 16 bytes/workgroup (compile time only)
; SGPRBlocks: 6
; VGPRBlocks: 3
; NumSGPRsForWavesPerEU: 54
; NumVGPRsForWavesPerEU: 30
; Occupancy: 16
; WaveLimiterHint : 0
; COMPUTE_PGM_RSRC2:SCRATCH_EN: 0
; COMPUTE_PGM_RSRC2:USER_SGPR: 15
; COMPUTE_PGM_RSRC2:TRAP_HANDLER: 0
; COMPUTE_PGM_RSRC2:TGID_X_EN: 1
; COMPUTE_PGM_RSRC2:TGID_Y_EN: 0
; COMPUTE_PGM_RSRC2:TGID_Z_EN: 0
; COMPUTE_PGM_RSRC2:TIDIG_COMP_CNT: 0
	.section	.text._ZN5aiter43moe_smooth_per_token_scaled_quant_kernel_v2IDF16_DB8_Li256ELi8EEEvPT0_PfPT_S4_PiS7_S7_iiiiiiiiiibb,"axG",@progbits,_ZN5aiter43moe_smooth_per_token_scaled_quant_kernel_v2IDF16_DB8_Li256ELi8EEEvPT0_PfPT_S4_PiS7_S7_iiiiiiiiiibb,comdat
	.protected	_ZN5aiter43moe_smooth_per_token_scaled_quant_kernel_v2IDF16_DB8_Li256ELi8EEEvPT0_PfPT_S4_PiS7_S7_iiiiiiiiiibb ; -- Begin function _ZN5aiter43moe_smooth_per_token_scaled_quant_kernel_v2IDF16_DB8_Li256ELi8EEEvPT0_PfPT_S4_PiS7_S7_iiiiiiiiiibb
	.globl	_ZN5aiter43moe_smooth_per_token_scaled_quant_kernel_v2IDF16_DB8_Li256ELi8EEEvPT0_PfPT_S4_PiS7_S7_iiiiiiiiiibb
	.p2align	8
	.type	_ZN5aiter43moe_smooth_per_token_scaled_quant_kernel_v2IDF16_DB8_Li256ELi8EEEvPT0_PfPT_S4_PiS7_S7_iiiiiiiiiibb,@function
_ZN5aiter43moe_smooth_per_token_scaled_quant_kernel_v2IDF16_DB8_Li256ELi8EEEvPT0_PfPT_S4_PiS7_S7_iiiiiiiiiibb: ; @_ZN5aiter43moe_smooth_per_token_scaled_quant_kernel_v2IDF16_DB8_Li256ELi8EEEvPT0_PfPT_S4_PiS7_S7_iiiiiiiiiibb
; %bb.0:
	s_load_b256 s[4:11], s[0:1], 0x38
	s_waitcnt lgkmcnt(0)
	s_cmp_ge_i32 s15, s6
	s_cbranch_scc1 .LBB212_21
; %bb.1:
	s_clause 0x3
	s_load_b128 s[24:27], s[0:1], 0x58
	s_load_b64 s[2:3], s[0:1], 0x30
	s_load_b128 s[28:31], s[0:1], 0x20
	s_load_b256 s[16:23], s[0:1], 0x0
	v_dual_mov_b32 v12, 0xc3e00000 :: v_dual_and_b32 v1, 31, v0
	v_lshrrev_b32_e32 v2, 3, v0
	v_and_b32_e32 v3, 7, v0
	v_dual_mov_b32 v11, 0 :: v_dual_lshlrev_b32 v8, 3, v0
	v_dual_mov_b32 v16, 0x43e00000 :: v_dual_lshlrev_b32 v9, 5, v0
	v_lshlrev_b32_e32 v10, 4, v0
	v_cmp_eq_u32_e64 s0, 0, v0
	v_lshlrev_b32_e32 v13, 2, v1
	v_cmp_eq_u32_e64 s1, 31, v1
	v_and_b32_e32 v14, 0x7c, v2
	v_lshlrev_b32_e32 v15, 2, v3
	s_mov_b32 s39, -1
	s_waitcnt lgkmcnt(0)
	s_bitcmp1_b32 s26, 8
	s_load_b32 s3, s[2:3], 0x0
	s_cselect_b32 s2, -1, 0
	s_ashr_i32 s10, s10, s11
	s_lshl_b32 s42, s8, 2
	s_xor_b32 s14, s2, -1
	s_lshl_b32 s46, s10, 2
	s_cmp_gt_i32 s10, 0
	s_cselect_b32 s26, -1, 0
	s_add_i32 s2, s8, 7
	s_add_i32 s12, s8, 3
	s_ashr_i32 s13, s2, 31
	s_ashr_i32 s27, s12, 31
	s_lshr_b32 s13, s13, 29
	s_lshl_b32 s38, s8, 1
	s_add_i32 s2, s2, s13
	s_lshr_b32 s13, s27, 30
	s_ashr_i32 s2, s2, 3
	s_add_i32 s12, s12, s13
	v_cmp_gt_u32_e64 s2, s2, v0
	s_and_b32 s50, s12, -4
	s_mov_b32 s27, 0x76543210
	s_branch .LBB212_4
.LBB212_2:                              ;   in Loop: Header=BB212_4 Depth=1
	s_mov_b32 s13, -1
.LBB212_3:                              ;   in Loop: Header=BB212_4 Depth=1
	s_add_i32 s15, s15, s7
	s_delay_alu instid0(SALU_CYCLE_1) | instskip(SKIP_1) | instid1(SALU_CYCLE_1)
	s_cmp_lt_i32 s15, s6
	s_cselect_b32 s12, -1, 0
	s_and_b32 s12, s13, s12
	s_delay_alu instid0(SALU_CYCLE_1)
	s_and_b32 vcc_lo, exec_lo, s12
	s_cbranch_vccz .LBB212_21
.LBB212_4:                              ; =>This Loop Header: Depth=1
                                        ;     Child Loop BB212_10 Depth 2
	s_mul_i32 s12, s15, s10
	s_mov_b32 s13, 0
	s_waitcnt lgkmcnt(0)
	s_cmp_ge_i32 s12, s3
	s_cbranch_scc1 .LBB212_3
; %bb.5:                                ;   in Loop: Header=BB212_4 Depth=1
	s_ashr_i32 s34, s15, s11
	s_delay_alu instid0(SALU_CYCLE_1) | instskip(NEXT) | instid1(SALU_CYCLE_1)
	s_ashr_i32 s35, s34, 31
	s_lshl_b64 s[34:35], s[34:35], 2
	s_delay_alu instid0(SALU_CYCLE_1)
	s_add_u32 s34, s30, s34
	s_addc_u32 s35, s31, s35
	s_load_b32 s33, s[34:35], 0x0
	s_waitcnt lgkmcnt(0)
	s_cmp_ge_i32 s33, s4
	s_cbranch_scc1 .LBB212_3
; %bb.6:                                ;   in Loop: Header=BB212_4 Depth=1
	s_and_not1_b32 vcc_lo, exec_lo, s26
	s_cbranch_vccnz .LBB212_2
; %bb.7:                                ;   in Loop: Header=BB212_4 Depth=1
	s_ashr_i32 s13, s12, 31
	s_mul_i32 s34, s33, s8
	s_lshl_b64 s[12:13], s[12:13], 2
	s_mov_b32 s47, s39
	s_add_u32 s44, s28, s12
	s_addc_u32 s12, s29, s13
	s_ashr_i32 s35, s34, 31
	s_and_b32 s45, s12, 0xffff
	s_lshl_b64 s[12:13], s[34:35], 2
	buffer_load_b32 v18, v13, s[44:47], 0 offen
	s_add_u32 s40, s22, s12
	s_addc_u32 s12, s23, s13
	s_mov_b32 s43, s39
	s_and_b32 s41, s12, 0xffff
	s_clause 0x1
	buffer_load_b128 v[0:3], v9, s[40:43], 16 offen
	buffer_load_b128 v[4:7], v9, s[40:43], 0 offen
	s_mov_b32 s33, 0
	s_waitcnt vmcnt(2)
	v_and_b32_e32 v17, 0xffffff, v18
	v_ashrrev_i32_e32 v18, 24, v18
	s_branch .LBB212_10
.LBB212_8:                              ;   in Loop: Header=BB212_10 Depth=2
	s_or_b32 exec_lo, exec_lo, s13
	s_add_i32 s33, s33, 1
	s_delay_alu instid0(SALU_CYCLE_1)
	s_cmp_eq_u32 s10, s33
	s_cselect_b32 s12, -1, 0
.LBB212_9:                              ;   in Loop: Header=BB212_10 Depth=2
	s_delay_alu instid0(SALU_CYCLE_1)
	s_and_b32 vcc_lo, exec_lo, s12
	s_cbranch_vccnz .LBB212_2
.LBB212_10:                             ;   Parent Loop BB212_4 Depth=1
                                        ; =>  This Inner Loop Header: Depth=2
	s_delay_alu instid0(VALU_DEP_2) | instskip(NEXT) | instid1(VALU_DEP_2)
	v_readlane_b32 s13, v17, s33
	v_readlane_b32 s34, v18, s33
	s_mov_b32 s12, -1
	s_delay_alu instid0(VALU_DEP_2)
	s_cmp_ge_i32 s13, s5
	s_cbranch_scc1 .LBB212_9
; %bb.11:                               ;   in Loop: Header=BB212_10 Depth=2
	s_mul_hi_i32 s37, s13, s24
	s_mul_i32 s36, s13, s24
	s_mul_i32 s40, s34, s25
	s_lshl_b64 s[36:37], s[36:37], 1
	s_ashr_i32 s41, s40, 31
	s_add_u32 s12, s20, s36
	s_addc_u32 s35, s21, s37
	s_lshl_b64 s[36:37], s[40:41], 1
	s_delay_alu instid0(SALU_CYCLE_1) | instskip(SKIP_1) | instid1(SALU_CYCLE_1)
	s_add_u32 s36, s12, s36
	s_addc_u32 s12, s35, s37
	s_and_b32 s37, s12, 0xffff
	buffer_load_b128 v[19:22], v10, s[36:39], 0 offen
	s_waitcnt vmcnt(0)
	v_lshrrev_b32_e32 v23, 16, v19
	v_cvt_f32_f16_e32 v19, v19
	v_lshrrev_b32_e32 v24, 16, v20
	v_cvt_f32_f16_e32 v20, v20
	v_cvt_f32_f16_e32 v27, v21
	v_cvt_f32_f16_e32 v25, v23
	v_lshrrev_b32_e32 v21, 16, v21
	v_cvt_f32_f16_e32 v26, v24
	v_mul_f32_e32 v23, v4, v19
	v_lshrrev_b32_e32 v19, 16, v22
	v_mul_f32_e32 v24, v5, v25
	v_cvt_f32_f16_e32 v21, v21
	v_dual_mul_f32 v25, v6, v20 :: v_dual_mul_f32 v26, v7, v26
	v_cvt_f32_f16_e32 v28, v22
	s_delay_alu instid0(VALU_DEP_4) | instskip(SKIP_2) | instid1(VALU_DEP_4)
	v_max3_f32 v20, |v23|, 0x2edbe6ff, |v24|
	v_cvt_f32_f16_e32 v29, v19
	v_dual_mul_f32 v22, v0, v27 :: v_dual_mul_f32 v21, v1, v21
	v_mul_f32_e32 v19, v2, v28
	s_delay_alu instid0(VALU_DEP_4) | instskip(NEXT) | instid1(VALU_DEP_4)
	v_max3_f32 v27, v20, |v25|, |v26|
	v_mul_f32_e32 v20, v3, v29
	s_delay_alu instid0(VALU_DEP_2) | instskip(NEXT) | instid1(VALU_DEP_1)
	v_max3_f32 v27, v27, |v22|, |v21|
	v_max3_f32 v27, v27, |v19|, |v20|
	s_delay_alu instid0(VALU_DEP_1) | instskip(NEXT) | instid1(VALU_DEP_1)
	v_mov_b32_dpp v28, v27 quad_perm:[1,0,3,2] row_mask:0xf bank_mask:0xf
	v_cmp_gt_f32_e32 vcc_lo, v27, v28
	v_cndmask_b32_e32 v27, v28, v27, vcc_lo
	s_delay_alu instid0(VALU_DEP_1) | instskip(NEXT) | instid1(VALU_DEP_1)
	v_mov_b32_dpp v28, v27 quad_perm:[2,3,0,1] row_mask:0xf bank_mask:0xf
	v_cmp_gt_f32_e32 vcc_lo, v27, v28
	v_cndmask_b32_e32 v27, v28, v27, vcc_lo
	s_delay_alu instid0(VALU_DEP_1) | instskip(NEXT) | instid1(VALU_DEP_1)
	v_mov_b32_dpp v28, v27 row_xmask:7 row_mask:0xf bank_mask:0xf
	v_cmp_gt_f32_e32 vcc_lo, v27, v28
	v_cndmask_b32_e32 v27, v28, v27, vcc_lo
	s_delay_alu instid0(VALU_DEP_1) | instskip(NEXT) | instid1(VALU_DEP_1)
	v_mov_b32_dpp v28, v27 row_xmask:15 row_mask:0xf bank_mask:0xf
	v_cmp_gt_f32_e32 vcc_lo, v27, v28
	s_and_saveexec_b32 s12, s1
	s_cbranch_execz .LBB212_13
; %bb.12:                               ;   in Loop: Header=BB212_10 Depth=2
	v_cndmask_b32_e32 v27, v28, v27, vcc_lo
	s_delay_alu instid0(VALU_DEP_1) | instskip(NEXT) | instid1(VALU_DEP_1)
	v_permlanex16_b32 v28, v27, s27, 0xfedcba98 op_sel:[1,1]
	v_cmp_gt_f32_e32 vcc_lo, v27, v28
	v_cndmask_b32_e32 v27, v28, v27, vcc_lo
	ds_store_b32 v14, v27
.LBB212_13:                             ;   in Loop: Header=BB212_10 Depth=2
	s_or_b32 exec_lo, exec_lo, s12
	s_waitcnt lgkmcnt(0)
	s_waitcnt_vscnt null, 0x0
	s_barrier
	buffer_gl0_inv
	ds_load_b32 v27, v15
	s_mov_b32 s35, -1
                                        ; implicit-def: $sgpr12
	s_waitcnt lgkmcnt(0)
	v_mov_b32_dpp v28, v27 quad_perm:[1,0,3,2] row_mask:0xf bank_mask:0xf
	s_delay_alu instid0(VALU_DEP_1) | instskip(SKIP_1) | instid1(VALU_DEP_1)
	v_cmp_gt_f32_e32 vcc_lo, v27, v28
	v_cndmask_b32_e32 v27, v28, v27, vcc_lo
	v_mov_b32_dpp v28, v27 quad_perm:[2,3,0,1] row_mask:0xf bank_mask:0xf
	s_delay_alu instid0(VALU_DEP_1) | instskip(SKIP_2) | instid1(VALU_DEP_1)
	v_cmp_gt_f32_e32 vcc_lo, v27, v28
	v_cndmask_b32_e32 v27, v28, v27, vcc_lo
	s_and_b32 vcc_lo, exec_lo, s14
	v_mov_b32_dpp v28, v27 row_xmask:7 row_mask:0xf bank_mask:0xf
	s_cbranch_vccz .LBB212_15
; %bb.14:                               ;   in Loop: Header=BB212_10 Depth=2
	s_mul_i32 s12, s13, s9
	s_mov_b32 s35, 0
	s_add_i32 s12, s12, s34
.LBB212_15:                             ;   in Loop: Header=BB212_10 Depth=2
	s_and_not1_b32 vcc_lo, exec_lo, s35
	s_cbranch_vccnz .LBB212_17
; %bb.16:                               ;   in Loop: Header=BB212_10 Depth=2
	s_mul_i32 s12, s34, s5
	s_delay_alu instid0(SALU_CYCLE_1)
	s_add_i32 s12, s12, s13
.LBB212_17:                             ;   in Loop: Header=BB212_10 Depth=2
	s_delay_alu instid0(VALU_DEP_1) | instskip(SKIP_1) | instid1(VALU_DEP_1)
	v_cmp_gt_f32_e32 vcc_lo, v27, v28
	v_cndmask_b32_e32 v27, v28, v27, vcc_lo
	v_mul_f32_e32 v27, 0x3b124925, v27
	s_and_saveexec_b32 s34, s0
	s_cbranch_execz .LBB212_19
; %bb.18:                               ;   in Loop: Header=BB212_10 Depth=2
	s_ashr_i32 s13, s12, 31
	s_delay_alu instid0(SALU_CYCLE_1) | instskip(NEXT) | instid1(SALU_CYCLE_1)
	s_lshl_b64 s[36:37], s[12:13], 2
	s_add_u32 s36, s18, s36
	s_addc_u32 s37, s19, s37
	global_store_b32 v11, v27, s[36:37]
.LBB212_19:                             ;   in Loop: Header=BB212_10 Depth=2
	s_or_b32 exec_lo, exec_lo, s34
	s_and_saveexec_b32 s13, s2
	s_cbranch_execz .LBB212_8
; %bb.20:                               ;   in Loop: Header=BB212_10 Depth=2
	v_rcp_f32_e32 v27, v27
	s_mul_i32 s34, s12, s8
	s_mul_hi_i32 s12, s12, s8
	s_add_u32 s48, s16, s34
	s_addc_u32 s12, s17, s12
	s_mov_b32 s51, s39
	s_and_b32 s49, s12, 0xffff
	s_waitcnt_depctr 0xfff
	v_mul_f32_e32 v23, v23, v27
	v_mul_f32_e32 v24, v24, v27
	;; [unrolled: 1-line block ×4, first 2 shown]
	;;#ASMSTART
	v_med3_f32 v23, v23, v12, v16
v_med3_f32 v24, v24, v12, v16
v_cvt_pk_fp8_f32 v28, v23, v24
	;;#ASMEND
	;;#ASMSTART
	v_med3_f32 v25, v25, v12, v16
v_med3_f32 v26, v26, v12, v16
v_cvt_pk_fp8_f32 v23, v25, v26
	;;#ASMEND
	v_perm_b32 v24, v23, v28, 0x5040100
	v_and_b32_e32 v23, 0xffffff00, v23
	v_mul_f32_e32 v22, v22, v27
	v_mul_f32_e32 v21, v21, v27
	;; [unrolled: 1-line block ×3, first 2 shown]
	v_lshrrev_b32_e32 v25, 16, v24
	s_delay_alu instid0(VALU_DEP_1) | instskip(NEXT) | instid1(VALU_DEP_1)
	v_dual_mul_f32 v20, v20, v27 :: v_dual_and_b32 v25, 0xff, v25
	v_or_b32_e32 v23, v25, v23
	;;#ASMSTART
	v_med3_f32 v22, v22, v12, v16
v_med3_f32 v21, v21, v12, v16
v_cvt_pk_fp8_f32 v25, v22, v21
	;;#ASMEND
	;;#ASMSTART
	v_med3_f32 v19, v19, v12, v16
v_med3_f32 v20, v20, v12, v16
v_cvt_pk_fp8_f32 v21, v19, v20
	;;#ASMEND
	v_lshlrev_b32_e32 v19, 16, v21
	s_delay_alu instid0(VALU_DEP_2) | instskip(NEXT) | instid1(VALU_DEP_2)
	v_lshlrev_b32_e32 v21, 16, v23
	v_and_or_b32 v20, 0xffff, v25, v19
	s_delay_alu instid0(VALU_DEP_2)
	v_and_or_b32 v19, 0xffff, v24, v21
	buffer_store_b64 v[19:20], v8, s[48:51], 0 offen
	;;#ASMSTART
	s_nop 0
	;;#ASMEND
	s_branch .LBB212_8
.LBB212_21:
	s_nop 0
	s_sendmsg sendmsg(MSG_DEALLOC_VGPRS)
	s_endpgm
	.section	.rodata,"a",@progbits
	.p2align	6, 0x0
	.amdhsa_kernel _ZN5aiter43moe_smooth_per_token_scaled_quant_kernel_v2IDF16_DB8_Li256ELi8EEEvPT0_PfPT_S4_PiS7_S7_iiiiiiiiiibb
		.amdhsa_group_segment_fixed_size 32
		.amdhsa_private_segment_fixed_size 0
		.amdhsa_kernarg_size 100
		.amdhsa_user_sgpr_count 15
		.amdhsa_user_sgpr_dispatch_ptr 0
		.amdhsa_user_sgpr_queue_ptr 0
		.amdhsa_user_sgpr_kernarg_segment_ptr 1
		.amdhsa_user_sgpr_dispatch_id 0
		.amdhsa_user_sgpr_private_segment_size 0
		.amdhsa_wavefront_size32 1
		.amdhsa_uses_dynamic_stack 0
		.amdhsa_enable_private_segment 0
		.amdhsa_system_sgpr_workgroup_id_x 1
		.amdhsa_system_sgpr_workgroup_id_y 0
		.amdhsa_system_sgpr_workgroup_id_z 0
		.amdhsa_system_sgpr_workgroup_info 0
		.amdhsa_system_vgpr_workitem_id 0
		.amdhsa_next_free_vgpr 30
		.amdhsa_next_free_sgpr 52
		.amdhsa_reserve_vcc 1
		.amdhsa_float_round_mode_32 0
		.amdhsa_float_round_mode_16_64 0
		.amdhsa_float_denorm_mode_32 3
		.amdhsa_float_denorm_mode_16_64 3
		.amdhsa_dx10_clamp 1
		.amdhsa_ieee_mode 1
		.amdhsa_fp16_overflow 0
		.amdhsa_workgroup_processor_mode 1
		.amdhsa_memory_ordered 1
		.amdhsa_forward_progress 0
		.amdhsa_shared_vgpr_count 0
		.amdhsa_exception_fp_ieee_invalid_op 0
		.amdhsa_exception_fp_denorm_src 0
		.amdhsa_exception_fp_ieee_div_zero 0
		.amdhsa_exception_fp_ieee_overflow 0
		.amdhsa_exception_fp_ieee_underflow 0
		.amdhsa_exception_fp_ieee_inexact 0
		.amdhsa_exception_int_div_zero 0
	.end_amdhsa_kernel
	.section	.text._ZN5aiter43moe_smooth_per_token_scaled_quant_kernel_v2IDF16_DB8_Li256ELi8EEEvPT0_PfPT_S4_PiS7_S7_iiiiiiiiiibb,"axG",@progbits,_ZN5aiter43moe_smooth_per_token_scaled_quant_kernel_v2IDF16_DB8_Li256ELi8EEEvPT0_PfPT_S4_PiS7_S7_iiiiiiiiiibb,comdat
.Lfunc_end212:
	.size	_ZN5aiter43moe_smooth_per_token_scaled_quant_kernel_v2IDF16_DB8_Li256ELi8EEEvPT0_PfPT_S4_PiS7_S7_iiiiiiiiiibb, .Lfunc_end212-_ZN5aiter43moe_smooth_per_token_scaled_quant_kernel_v2IDF16_DB8_Li256ELi8EEEvPT0_PfPT_S4_PiS7_S7_iiiiiiiiiibb
                                        ; -- End function
	.section	.AMDGPU.csdata,"",@progbits
; Kernel info:
; codeLenInByte = 1476
; NumSgprs: 54
; NumVgprs: 30
; ScratchSize: 0
; MemoryBound: 0
; FloatMode: 240
; IeeeMode: 1
; LDSByteSize: 32 bytes/workgroup (compile time only)
; SGPRBlocks: 6
; VGPRBlocks: 3
; NumSGPRsForWavesPerEU: 54
; NumVGPRsForWavesPerEU: 30
; Occupancy: 16
; WaveLimiterHint : 0
; COMPUTE_PGM_RSRC2:SCRATCH_EN: 0
; COMPUTE_PGM_RSRC2:USER_SGPR: 15
; COMPUTE_PGM_RSRC2:TRAP_HANDLER: 0
; COMPUTE_PGM_RSRC2:TGID_X_EN: 1
; COMPUTE_PGM_RSRC2:TGID_Y_EN: 0
; COMPUTE_PGM_RSRC2:TGID_Z_EN: 0
; COMPUTE_PGM_RSRC2:TIDIG_COMP_CNT: 0
	.section	.text._ZN5aiter43moe_smooth_per_token_scaled_quant_kernel_v2ItDB8_Li256ELi8EEEvPT0_PfPT_S4_PiS7_S7_iiiiiiiiiibb,"axG",@progbits,_ZN5aiter43moe_smooth_per_token_scaled_quant_kernel_v2ItDB8_Li256ELi8EEEvPT0_PfPT_S4_PiS7_S7_iiiiiiiiiibb,comdat
	.protected	_ZN5aiter43moe_smooth_per_token_scaled_quant_kernel_v2ItDB8_Li256ELi8EEEvPT0_PfPT_S4_PiS7_S7_iiiiiiiiiibb ; -- Begin function _ZN5aiter43moe_smooth_per_token_scaled_quant_kernel_v2ItDB8_Li256ELi8EEEvPT0_PfPT_S4_PiS7_S7_iiiiiiiiiibb
	.globl	_ZN5aiter43moe_smooth_per_token_scaled_quant_kernel_v2ItDB8_Li256ELi8EEEvPT0_PfPT_S4_PiS7_S7_iiiiiiiiiibb
	.p2align	8
	.type	_ZN5aiter43moe_smooth_per_token_scaled_quant_kernel_v2ItDB8_Li256ELi8EEEvPT0_PfPT_S4_PiS7_S7_iiiiiiiiiibb,@function
_ZN5aiter43moe_smooth_per_token_scaled_quant_kernel_v2ItDB8_Li256ELi8EEEvPT0_PfPT_S4_PiS7_S7_iiiiiiiiiibb: ; @_ZN5aiter43moe_smooth_per_token_scaled_quant_kernel_v2ItDB8_Li256ELi8EEEvPT0_PfPT_S4_PiS7_S7_iiiiiiiiiibb
; %bb.0:
	s_load_b256 s[4:11], s[0:1], 0x38
	s_waitcnt lgkmcnt(0)
	s_cmp_ge_i32 s15, s6
	s_cbranch_scc1 .LBB213_21
; %bb.1:
	s_clause 0x3
	s_load_b128 s[24:27], s[0:1], 0x58
	s_load_b64 s[2:3], s[0:1], 0x30
	s_load_b128 s[28:31], s[0:1], 0x20
	s_load_b256 s[16:23], s[0:1], 0x0
	v_dual_mov_b32 v12, 0xc3e00000 :: v_dual_and_b32 v1, 31, v0
	v_lshrrev_b32_e32 v2, 3, v0
	v_and_b32_e32 v3, 7, v0
	v_dual_mov_b32 v11, 0 :: v_dual_lshlrev_b32 v8, 3, v0
	v_dual_mov_b32 v16, 0x43e00000 :: v_dual_lshlrev_b32 v9, 5, v0
	v_lshlrev_b32_e32 v10, 4, v0
	v_cmp_eq_u32_e64 s0, 0, v0
	v_lshlrev_b32_e32 v13, 2, v1
	v_cmp_eq_u32_e64 s1, 31, v1
	v_and_b32_e32 v14, 0x7c, v2
	v_lshlrev_b32_e32 v15, 2, v3
	s_mov_b32 s39, -1
	s_waitcnt lgkmcnt(0)
	s_bitcmp1_b32 s26, 8
	s_load_b32 s3, s[2:3], 0x0
	s_cselect_b32 s2, -1, 0
	s_ashr_i32 s10, s10, s11
	s_lshl_b32 s42, s8, 2
	s_xor_b32 s14, s2, -1
	s_lshl_b32 s46, s10, 2
	s_cmp_gt_i32 s10, 0
	s_cselect_b32 s26, -1, 0
	s_add_i32 s2, s8, 7
	s_add_i32 s12, s8, 3
	s_ashr_i32 s13, s2, 31
	s_ashr_i32 s27, s12, 31
	s_lshr_b32 s13, s13, 29
	s_lshl_b32 s38, s8, 1
	s_add_i32 s2, s2, s13
	s_lshr_b32 s13, s27, 30
	s_ashr_i32 s2, s2, 3
	s_add_i32 s12, s12, s13
	v_cmp_gt_u32_e64 s2, s2, v0
	s_and_b32 s50, s12, -4
	s_mov_b32 s27, 0x76543210
	s_branch .LBB213_4
.LBB213_2:                              ;   in Loop: Header=BB213_4 Depth=1
	s_mov_b32 s13, -1
.LBB213_3:                              ;   in Loop: Header=BB213_4 Depth=1
	s_add_i32 s15, s15, s7
	s_delay_alu instid0(SALU_CYCLE_1) | instskip(SKIP_1) | instid1(SALU_CYCLE_1)
	s_cmp_lt_i32 s15, s6
	s_cselect_b32 s12, -1, 0
	s_and_b32 s12, s13, s12
	s_delay_alu instid0(SALU_CYCLE_1)
	s_and_b32 vcc_lo, exec_lo, s12
	s_cbranch_vccz .LBB213_21
.LBB213_4:                              ; =>This Loop Header: Depth=1
                                        ;     Child Loop BB213_10 Depth 2
	s_mul_i32 s12, s15, s10
	s_mov_b32 s13, 0
	s_waitcnt lgkmcnt(0)
	s_cmp_ge_i32 s12, s3
	s_cbranch_scc1 .LBB213_3
; %bb.5:                                ;   in Loop: Header=BB213_4 Depth=1
	s_ashr_i32 s34, s15, s11
	s_delay_alu instid0(SALU_CYCLE_1) | instskip(NEXT) | instid1(SALU_CYCLE_1)
	s_ashr_i32 s35, s34, 31
	s_lshl_b64 s[34:35], s[34:35], 2
	s_delay_alu instid0(SALU_CYCLE_1)
	s_add_u32 s34, s30, s34
	s_addc_u32 s35, s31, s35
	s_load_b32 s33, s[34:35], 0x0
	s_waitcnt lgkmcnt(0)
	s_cmp_ge_i32 s33, s4
	s_cbranch_scc1 .LBB213_3
; %bb.6:                                ;   in Loop: Header=BB213_4 Depth=1
	s_and_not1_b32 vcc_lo, exec_lo, s26
	s_cbranch_vccnz .LBB213_2
; %bb.7:                                ;   in Loop: Header=BB213_4 Depth=1
	s_ashr_i32 s13, s12, 31
	s_mul_i32 s34, s33, s8
	s_lshl_b64 s[12:13], s[12:13], 2
	s_mov_b32 s47, s39
	s_add_u32 s44, s28, s12
	s_addc_u32 s12, s29, s13
	s_ashr_i32 s35, s34, 31
	s_and_b32 s45, s12, 0xffff
	s_lshl_b64 s[12:13], s[34:35], 2
	buffer_load_b32 v18, v13, s[44:47], 0 offen
	s_add_u32 s40, s22, s12
	s_addc_u32 s12, s23, s13
	s_mov_b32 s43, s39
	s_and_b32 s41, s12, 0xffff
	s_clause 0x1
	buffer_load_b128 v[0:3], v9, s[40:43], 16 offen
	buffer_load_b128 v[4:7], v9, s[40:43], 0 offen
	s_mov_b32 s33, 0
	s_waitcnt vmcnt(2)
	v_and_b32_e32 v17, 0xffffff, v18
	v_ashrrev_i32_e32 v18, 24, v18
	s_branch .LBB213_10
.LBB213_8:                              ;   in Loop: Header=BB213_10 Depth=2
	s_or_b32 exec_lo, exec_lo, s13
	s_add_i32 s33, s33, 1
	s_delay_alu instid0(SALU_CYCLE_1)
	s_cmp_eq_u32 s10, s33
	s_cselect_b32 s12, -1, 0
.LBB213_9:                              ;   in Loop: Header=BB213_10 Depth=2
	s_delay_alu instid0(SALU_CYCLE_1)
	s_and_b32 vcc_lo, exec_lo, s12
	s_cbranch_vccnz .LBB213_2
.LBB213_10:                             ;   Parent Loop BB213_4 Depth=1
                                        ; =>  This Inner Loop Header: Depth=2
	s_delay_alu instid0(VALU_DEP_2) | instskip(NEXT) | instid1(VALU_DEP_2)
	v_readlane_b32 s13, v17, s33
	v_readlane_b32 s34, v18, s33
	s_mov_b32 s12, -1
	s_delay_alu instid0(VALU_DEP_2)
	s_cmp_ge_i32 s13, s5
	s_cbranch_scc1 .LBB213_9
; %bb.11:                               ;   in Loop: Header=BB213_10 Depth=2
	s_mul_hi_i32 s37, s13, s24
	s_mul_i32 s36, s13, s24
	s_mul_i32 s40, s34, s25
	s_lshl_b64 s[36:37], s[36:37], 1
	s_ashr_i32 s41, s40, 31
	s_add_u32 s12, s20, s36
	s_addc_u32 s35, s21, s37
	s_lshl_b64 s[36:37], s[40:41], 1
	s_delay_alu instid0(SALU_CYCLE_1) | instskip(SKIP_1) | instid1(SALU_CYCLE_1)
	s_add_u32 s36, s12, s36
	s_addc_u32 s12, s35, s37
	s_and_b32 s37, s12, 0xffff
	buffer_load_b128 v[19:22], v10, s[36:39], 0 offen
	s_waitcnt vmcnt(0)
	v_and_b32_e32 v24, 0xffff, v20
	v_lshrrev_b32_e32 v20, 16, v20
	s_delay_alu instid0(VALU_DEP_2) | instskip(NEXT) | instid1(VALU_DEP_2)
	v_cvt_f32_u32_e32 v26, v24
	v_cvt_f32_u32_e32 v20, v20
	v_and_b32_e32 v23, 0xffff, v19
	v_lshrrev_b32_e32 v19, 16, v19
	s_delay_alu instid0(VALU_DEP_1) | instskip(SKIP_2) | instid1(VALU_DEP_3)
	v_cvt_f32_u32_e32 v19, v19
	v_and_b32_e32 v25, 0xffff, v21
	v_lshrrev_b32_e32 v21, 16, v21
	v_mul_f32_e32 v24, v5, v19
	s_delay_alu instid0(VALU_DEP_3) | instskip(SKIP_3) | instid1(VALU_DEP_2)
	v_cvt_f32_u32_e32 v19, v25
	v_and_b32_e32 v27, 0xffff, v22
	v_lshrrev_b32_e32 v22, 16, v22
	v_cvt_f32_u32_e32 v21, v21
	v_cvt_f32_u32_e32 v28, v22
	v_dual_mul_f32 v22, v0, v19 :: v_dual_mul_f32 v25, v6, v26
	v_mul_f32_e32 v26, v7, v20
	v_cvt_f32_u32_e32 v23, v23
	v_cvt_f32_u32_e32 v27, v27
	v_mul_f32_e32 v21, v1, v21
	s_delay_alu instid0(VALU_DEP_3) | instskip(NEXT) | instid1(VALU_DEP_3)
	v_mul_f32_e32 v23, v4, v23
	v_mul_f32_e32 v19, v2, v27
	s_delay_alu instid0(VALU_DEP_2) | instskip(NEXT) | instid1(VALU_DEP_1)
	v_max3_f32 v20, |v23|, 0x2edbe6ff, |v24|
	v_max3_f32 v29, v20, |v25|, |v26|
	v_mul_f32_e32 v20, v3, v28
	s_delay_alu instid0(VALU_DEP_2) | instskip(NEXT) | instid1(VALU_DEP_1)
	v_max3_f32 v27, v29, |v22|, |v21|
	v_max3_f32 v27, v27, |v19|, |v20|
	s_delay_alu instid0(VALU_DEP_1) | instskip(NEXT) | instid1(VALU_DEP_1)
	v_mov_b32_dpp v28, v27 quad_perm:[1,0,3,2] row_mask:0xf bank_mask:0xf
	v_cmp_gt_f32_e32 vcc_lo, v27, v28
	v_cndmask_b32_e32 v27, v28, v27, vcc_lo
	s_delay_alu instid0(VALU_DEP_1) | instskip(NEXT) | instid1(VALU_DEP_1)
	v_mov_b32_dpp v28, v27 quad_perm:[2,3,0,1] row_mask:0xf bank_mask:0xf
	v_cmp_gt_f32_e32 vcc_lo, v27, v28
	v_cndmask_b32_e32 v27, v28, v27, vcc_lo
	s_delay_alu instid0(VALU_DEP_1) | instskip(NEXT) | instid1(VALU_DEP_1)
	v_mov_b32_dpp v28, v27 row_xmask:7 row_mask:0xf bank_mask:0xf
	v_cmp_gt_f32_e32 vcc_lo, v27, v28
	v_cndmask_b32_e32 v27, v28, v27, vcc_lo
	s_delay_alu instid0(VALU_DEP_1) | instskip(NEXT) | instid1(VALU_DEP_1)
	v_mov_b32_dpp v28, v27 row_xmask:15 row_mask:0xf bank_mask:0xf
	v_cmp_gt_f32_e32 vcc_lo, v27, v28
	s_and_saveexec_b32 s12, s1
	s_cbranch_execz .LBB213_13
; %bb.12:                               ;   in Loop: Header=BB213_10 Depth=2
	v_cndmask_b32_e32 v27, v28, v27, vcc_lo
	s_delay_alu instid0(VALU_DEP_1) | instskip(NEXT) | instid1(VALU_DEP_1)
	v_permlanex16_b32 v28, v27, s27, 0xfedcba98 op_sel:[1,1]
	v_cmp_gt_f32_e32 vcc_lo, v27, v28
	v_cndmask_b32_e32 v27, v28, v27, vcc_lo
	ds_store_b32 v14, v27
.LBB213_13:                             ;   in Loop: Header=BB213_10 Depth=2
	s_or_b32 exec_lo, exec_lo, s12
	s_waitcnt lgkmcnt(0)
	s_waitcnt_vscnt null, 0x0
	s_barrier
	buffer_gl0_inv
	ds_load_b32 v27, v15
	s_mov_b32 s35, -1
                                        ; implicit-def: $sgpr12
	s_waitcnt lgkmcnt(0)
	v_mov_b32_dpp v28, v27 quad_perm:[1,0,3,2] row_mask:0xf bank_mask:0xf
	s_delay_alu instid0(VALU_DEP_1) | instskip(SKIP_1) | instid1(VALU_DEP_1)
	v_cmp_gt_f32_e32 vcc_lo, v27, v28
	v_cndmask_b32_e32 v27, v28, v27, vcc_lo
	v_mov_b32_dpp v28, v27 quad_perm:[2,3,0,1] row_mask:0xf bank_mask:0xf
	s_delay_alu instid0(VALU_DEP_1) | instskip(SKIP_2) | instid1(VALU_DEP_1)
	v_cmp_gt_f32_e32 vcc_lo, v27, v28
	v_cndmask_b32_e32 v27, v28, v27, vcc_lo
	s_and_b32 vcc_lo, exec_lo, s14
	v_mov_b32_dpp v28, v27 row_xmask:7 row_mask:0xf bank_mask:0xf
	s_cbranch_vccz .LBB213_15
; %bb.14:                               ;   in Loop: Header=BB213_10 Depth=2
	s_mul_i32 s12, s13, s9
	s_mov_b32 s35, 0
	s_add_i32 s12, s12, s34
.LBB213_15:                             ;   in Loop: Header=BB213_10 Depth=2
	s_and_not1_b32 vcc_lo, exec_lo, s35
	s_cbranch_vccnz .LBB213_17
; %bb.16:                               ;   in Loop: Header=BB213_10 Depth=2
	s_mul_i32 s12, s34, s5
	s_delay_alu instid0(SALU_CYCLE_1)
	s_add_i32 s12, s12, s13
.LBB213_17:                             ;   in Loop: Header=BB213_10 Depth=2
	s_delay_alu instid0(VALU_DEP_1) | instskip(SKIP_1) | instid1(VALU_DEP_1)
	v_cmp_gt_f32_e32 vcc_lo, v27, v28
	v_cndmask_b32_e32 v27, v28, v27, vcc_lo
	v_mul_f32_e32 v27, 0x3b124925, v27
	s_and_saveexec_b32 s34, s0
	s_cbranch_execz .LBB213_19
; %bb.18:                               ;   in Loop: Header=BB213_10 Depth=2
	s_ashr_i32 s13, s12, 31
	s_delay_alu instid0(SALU_CYCLE_1) | instskip(NEXT) | instid1(SALU_CYCLE_1)
	s_lshl_b64 s[36:37], s[12:13], 2
	s_add_u32 s36, s18, s36
	s_addc_u32 s37, s19, s37
	global_store_b32 v11, v27, s[36:37]
.LBB213_19:                             ;   in Loop: Header=BB213_10 Depth=2
	s_or_b32 exec_lo, exec_lo, s34
	s_and_saveexec_b32 s13, s2
	s_cbranch_execz .LBB213_8
; %bb.20:                               ;   in Loop: Header=BB213_10 Depth=2
	v_rcp_f32_e32 v27, v27
	s_mul_i32 s34, s12, s8
	s_mul_hi_i32 s12, s12, s8
	s_add_u32 s48, s16, s34
	s_addc_u32 s12, s17, s12
	s_mov_b32 s51, s39
	s_and_b32 s49, s12, 0xffff
	s_waitcnt_depctr 0xfff
	v_mul_f32_e32 v23, v23, v27
	v_mul_f32_e32 v24, v24, v27
	v_mul_f32_e32 v25, v25, v27
	v_mul_f32_e32 v26, v26, v27
	;;#ASMSTART
	v_med3_f32 v23, v23, v12, v16
v_med3_f32 v24, v24, v12, v16
v_cvt_pk_fp8_f32 v28, v23, v24
	;;#ASMEND
	;;#ASMSTART
	v_med3_f32 v25, v25, v12, v16
v_med3_f32 v26, v26, v12, v16
v_cvt_pk_fp8_f32 v23, v25, v26
	;;#ASMEND
	v_perm_b32 v24, v23, v28, 0x5040100
	v_and_b32_e32 v23, 0xffffff00, v23
	v_mul_f32_e32 v22, v22, v27
	v_mul_f32_e32 v21, v21, v27
	;; [unrolled: 1-line block ×3, first 2 shown]
	v_lshrrev_b32_e32 v25, 16, v24
	s_delay_alu instid0(VALU_DEP_1) | instskip(NEXT) | instid1(VALU_DEP_1)
	v_dual_mul_f32 v20, v20, v27 :: v_dual_and_b32 v25, 0xff, v25
	v_or_b32_e32 v23, v25, v23
	;;#ASMSTART
	v_med3_f32 v22, v22, v12, v16
v_med3_f32 v21, v21, v12, v16
v_cvt_pk_fp8_f32 v25, v22, v21
	;;#ASMEND
	;;#ASMSTART
	v_med3_f32 v19, v19, v12, v16
v_med3_f32 v20, v20, v12, v16
v_cvt_pk_fp8_f32 v21, v19, v20
	;;#ASMEND
	v_lshlrev_b32_e32 v19, 16, v21
	s_delay_alu instid0(VALU_DEP_2) | instskip(NEXT) | instid1(VALU_DEP_2)
	v_lshlrev_b32_e32 v21, 16, v23
	v_and_or_b32 v20, 0xffff, v25, v19
	s_delay_alu instid0(VALU_DEP_2)
	v_and_or_b32 v19, 0xffff, v24, v21
	buffer_store_b64 v[19:20], v8, s[48:51], 0 offen
	;;#ASMSTART
	s_nop 0
	;;#ASMEND
	s_branch .LBB213_8
.LBB213_21:
	s_nop 0
	s_sendmsg sendmsg(MSG_DEALLOC_VGPRS)
	s_endpgm
	.section	.rodata,"a",@progbits
	.p2align	6, 0x0
	.amdhsa_kernel _ZN5aiter43moe_smooth_per_token_scaled_quant_kernel_v2ItDB8_Li256ELi8EEEvPT0_PfPT_S4_PiS7_S7_iiiiiiiiiibb
		.amdhsa_group_segment_fixed_size 32
		.amdhsa_private_segment_fixed_size 0
		.amdhsa_kernarg_size 100
		.amdhsa_user_sgpr_count 15
		.amdhsa_user_sgpr_dispatch_ptr 0
		.amdhsa_user_sgpr_queue_ptr 0
		.amdhsa_user_sgpr_kernarg_segment_ptr 1
		.amdhsa_user_sgpr_dispatch_id 0
		.amdhsa_user_sgpr_private_segment_size 0
		.amdhsa_wavefront_size32 1
		.amdhsa_uses_dynamic_stack 0
		.amdhsa_enable_private_segment 0
		.amdhsa_system_sgpr_workgroup_id_x 1
		.amdhsa_system_sgpr_workgroup_id_y 0
		.amdhsa_system_sgpr_workgroup_id_z 0
		.amdhsa_system_sgpr_workgroup_info 0
		.amdhsa_system_vgpr_workitem_id 0
		.amdhsa_next_free_vgpr 30
		.amdhsa_next_free_sgpr 52
		.amdhsa_reserve_vcc 1
		.amdhsa_float_round_mode_32 0
		.amdhsa_float_round_mode_16_64 0
		.amdhsa_float_denorm_mode_32 3
		.amdhsa_float_denorm_mode_16_64 3
		.amdhsa_dx10_clamp 1
		.amdhsa_ieee_mode 1
		.amdhsa_fp16_overflow 0
		.amdhsa_workgroup_processor_mode 1
		.amdhsa_memory_ordered 1
		.amdhsa_forward_progress 0
		.amdhsa_shared_vgpr_count 0
		.amdhsa_exception_fp_ieee_invalid_op 0
		.amdhsa_exception_fp_denorm_src 0
		.amdhsa_exception_fp_ieee_div_zero 0
		.amdhsa_exception_fp_ieee_overflow 0
		.amdhsa_exception_fp_ieee_underflow 0
		.amdhsa_exception_fp_ieee_inexact 0
		.amdhsa_exception_int_div_zero 0
	.end_amdhsa_kernel
	.section	.text._ZN5aiter43moe_smooth_per_token_scaled_quant_kernel_v2ItDB8_Li256ELi8EEEvPT0_PfPT_S4_PiS7_S7_iiiiiiiiiibb,"axG",@progbits,_ZN5aiter43moe_smooth_per_token_scaled_quant_kernel_v2ItDB8_Li256ELi8EEEvPT0_PfPT_S4_PiS7_S7_iiiiiiiiiibb,comdat
.Lfunc_end213:
	.size	_ZN5aiter43moe_smooth_per_token_scaled_quant_kernel_v2ItDB8_Li256ELi8EEEvPT0_PfPT_S4_PiS7_S7_iiiiiiiiiibb, .Lfunc_end213-_ZN5aiter43moe_smooth_per_token_scaled_quant_kernel_v2ItDB8_Li256ELi8EEEvPT0_PfPT_S4_PiS7_S7_iiiiiiiiiibb
                                        ; -- End function
	.section	.AMDGPU.csdata,"",@progbits
; Kernel info:
; codeLenInByte = 1520
; NumSgprs: 54
; NumVgprs: 30
; ScratchSize: 0
; MemoryBound: 0
; FloatMode: 240
; IeeeMode: 1
; LDSByteSize: 32 bytes/workgroup (compile time only)
; SGPRBlocks: 6
; VGPRBlocks: 3
; NumSGPRsForWavesPerEU: 54
; NumVGPRsForWavesPerEU: 30
; Occupancy: 16
; WaveLimiterHint : 0
; COMPUTE_PGM_RSRC2:SCRATCH_EN: 0
; COMPUTE_PGM_RSRC2:USER_SGPR: 15
; COMPUTE_PGM_RSRC2:TRAP_HANDLER: 0
; COMPUTE_PGM_RSRC2:TGID_X_EN: 1
; COMPUTE_PGM_RSRC2:TGID_Y_EN: 0
; COMPUTE_PGM_RSRC2:TGID_Z_EN: 0
; COMPUTE_PGM_RSRC2:TIDIG_COMP_CNT: 0
	.section	.text._ZN5aiter43moe_smooth_per_token_scaled_quant_kernel_v2IDF16_DB8_Li256ELi16EEEvPT0_PfPT_S4_PiS7_S7_iiiiiiiiiibb,"axG",@progbits,_ZN5aiter43moe_smooth_per_token_scaled_quant_kernel_v2IDF16_DB8_Li256ELi16EEEvPT0_PfPT_S4_PiS7_S7_iiiiiiiiiibb,comdat
	.protected	_ZN5aiter43moe_smooth_per_token_scaled_quant_kernel_v2IDF16_DB8_Li256ELi16EEEvPT0_PfPT_S4_PiS7_S7_iiiiiiiiiibb ; -- Begin function _ZN5aiter43moe_smooth_per_token_scaled_quant_kernel_v2IDF16_DB8_Li256ELi16EEEvPT0_PfPT_S4_PiS7_S7_iiiiiiiiiibb
	.globl	_ZN5aiter43moe_smooth_per_token_scaled_quant_kernel_v2IDF16_DB8_Li256ELi16EEEvPT0_PfPT_S4_PiS7_S7_iiiiiiiiiibb
	.p2align	8
	.type	_ZN5aiter43moe_smooth_per_token_scaled_quant_kernel_v2IDF16_DB8_Li256ELi16EEEvPT0_PfPT_S4_PiS7_S7_iiiiiiiiiibb,@function
_ZN5aiter43moe_smooth_per_token_scaled_quant_kernel_v2IDF16_DB8_Li256ELi16EEEvPT0_PfPT_S4_PiS7_S7_iiiiiiiiiibb: ; @_ZN5aiter43moe_smooth_per_token_scaled_quant_kernel_v2IDF16_DB8_Li256ELi16EEEvPT0_PfPT_S4_PiS7_S7_iiiiiiiiiibb
; %bb.0:
	s_load_b256 s[4:11], s[0:1], 0x38
	s_waitcnt lgkmcnt(0)
	s_cmp_ge_i32 s15, s6
	s_cbranch_scc1 .LBB214_21
; %bb.1:
	s_clause 0x3
	s_load_b128 s[24:27], s[0:1], 0x58
	s_load_b64 s[2:3], s[0:1], 0x30
	s_load_b128 s[28:31], s[0:1], 0x20
	s_load_b256 s[16:23], s[0:1], 0x0
	v_dual_mov_b32 v20, 0xc3e00000 :: v_dual_and_b32 v1, 31, v0
	v_lshrrev_b32_e32 v2, 3, v0
	v_and_b32_e32 v3, 7, v0
	v_dual_mov_b32 v19, 0 :: v_dual_lshlrev_b32 v16, 4, v0
	v_dual_mov_b32 v24, 0x43e00000 :: v_dual_lshlrev_b32 v17, 6, v0
	v_lshlrev_b32_e32 v18, 5, v0
	v_cmp_eq_u32_e64 s0, 0, v0
	v_lshlrev_b32_e32 v21, 2, v1
	v_cmp_eq_u32_e64 s1, 31, v1
	v_and_b32_e32 v22, 0x7c, v2
	v_lshlrev_b32_e32 v23, 2, v3
	s_mov_b32 s39, -1
	s_waitcnt lgkmcnt(0)
	s_bitcmp1_b32 s26, 8
	s_load_b32 s3, s[2:3], 0x0
	s_cselect_b32 s2, -1, 0
	s_ashr_i32 s10, s10, s11
	s_lshl_b32 s42, s8, 2
	s_xor_b32 s14, s2, -1
	s_lshl_b32 s46, s10, 2
	s_cmp_gt_i32 s10, 0
	s_cselect_b32 s26, -1, 0
	s_add_i32 s2, s8, 15
	s_add_i32 s12, s8, 3
	s_ashr_i32 s13, s2, 31
	s_ashr_i32 s27, s12, 31
	s_lshr_b32 s13, s13, 28
	s_lshl_b32 s38, s8, 1
	s_add_i32 s2, s2, s13
	s_lshr_b32 s13, s27, 30
	s_ashr_i32 s2, s2, 4
	s_add_i32 s12, s12, s13
	v_cmp_gt_u32_e64 s2, s2, v0
	s_and_b32 s50, s12, -4
	s_mov_b32 s27, 0x76543210
	s_branch .LBB214_4
.LBB214_2:                              ;   in Loop: Header=BB214_4 Depth=1
	s_mov_b32 s13, -1
.LBB214_3:                              ;   in Loop: Header=BB214_4 Depth=1
	s_add_i32 s15, s15, s7
	s_delay_alu instid0(SALU_CYCLE_1) | instskip(SKIP_1) | instid1(SALU_CYCLE_1)
	s_cmp_lt_i32 s15, s6
	s_cselect_b32 s12, -1, 0
	s_and_b32 s12, s13, s12
	s_delay_alu instid0(SALU_CYCLE_1)
	s_and_b32 vcc_lo, exec_lo, s12
	s_cbranch_vccz .LBB214_21
.LBB214_4:                              ; =>This Loop Header: Depth=1
                                        ;     Child Loop BB214_10 Depth 2
	s_mul_i32 s12, s15, s10
	s_mov_b32 s13, 0
	s_waitcnt lgkmcnt(0)
	s_cmp_ge_i32 s12, s3
	s_cbranch_scc1 .LBB214_3
; %bb.5:                                ;   in Loop: Header=BB214_4 Depth=1
	s_ashr_i32 s34, s15, s11
	s_delay_alu instid0(SALU_CYCLE_1) | instskip(NEXT) | instid1(SALU_CYCLE_1)
	s_ashr_i32 s35, s34, 31
	s_lshl_b64 s[34:35], s[34:35], 2
	s_delay_alu instid0(SALU_CYCLE_1)
	s_add_u32 s34, s30, s34
	s_addc_u32 s35, s31, s35
	s_load_b32 s33, s[34:35], 0x0
	s_waitcnt lgkmcnt(0)
	s_cmp_ge_i32 s33, s4
	s_cbranch_scc1 .LBB214_3
; %bb.6:                                ;   in Loop: Header=BB214_4 Depth=1
	s_and_not1_b32 vcc_lo, exec_lo, s26
	s_cbranch_vccnz .LBB214_2
; %bb.7:                                ;   in Loop: Header=BB214_4 Depth=1
	s_ashr_i32 s13, s12, 31
	s_mul_i32 s34, s33, s8
	s_lshl_b64 s[12:13], s[12:13], 2
	s_mov_b32 s47, s39
	s_add_u32 s44, s28, s12
	s_addc_u32 s12, s29, s13
	s_ashr_i32 s35, s34, 31
	s_and_b32 s45, s12, 0xffff
	s_lshl_b64 s[12:13], s[34:35], 2
	buffer_load_b32 v26, v21, s[44:47], 0 offen
	s_add_u32 s40, s22, s12
	s_addc_u32 s12, s23, s13
	s_mov_b32 s43, s39
	s_and_b32 s41, s12, 0xffff
	s_clause 0x3
	buffer_load_b128 v[0:3], v17, s[40:43], 48 offen
	buffer_load_b128 v[4:7], v17, s[40:43], 32 offen
	buffer_load_b128 v[8:11], v17, s[40:43], 16 offen
	buffer_load_b128 v[12:15], v17, s[40:43], 0 offen
	s_mov_b32 s33, 0
	s_waitcnt vmcnt(4)
	v_and_b32_e32 v25, 0xffffff, v26
	v_ashrrev_i32_e32 v26, 24, v26
	s_branch .LBB214_10
.LBB214_8:                              ;   in Loop: Header=BB214_10 Depth=2
	s_or_b32 exec_lo, exec_lo, s13
	s_add_i32 s33, s33, 1
	s_delay_alu instid0(SALU_CYCLE_1)
	s_cmp_eq_u32 s10, s33
	s_cselect_b32 s12, -1, 0
.LBB214_9:                              ;   in Loop: Header=BB214_10 Depth=2
	s_delay_alu instid0(SALU_CYCLE_1)
	s_and_b32 vcc_lo, exec_lo, s12
	s_cbranch_vccnz .LBB214_2
.LBB214_10:                             ;   Parent Loop BB214_4 Depth=1
                                        ; =>  This Inner Loop Header: Depth=2
	s_delay_alu instid0(VALU_DEP_2) | instskip(NEXT) | instid1(VALU_DEP_2)
	v_readlane_b32 s13, v25, s33
	v_readlane_b32 s34, v26, s33
	s_mov_b32 s12, -1
	s_delay_alu instid0(VALU_DEP_2)
	s_cmp_ge_i32 s13, s5
	s_cbranch_scc1 .LBB214_9
; %bb.11:                               ;   in Loop: Header=BB214_10 Depth=2
	s_mul_hi_i32 s37, s13, s24
	s_mul_i32 s36, s13, s24
	s_mul_i32 s40, s34, s25
	s_lshl_b64 s[36:37], s[36:37], 1
	s_ashr_i32 s41, s40, 31
	s_add_u32 s12, s20, s36
	s_addc_u32 s35, s21, s37
	s_lshl_b64 s[36:37], s[40:41], 1
	s_delay_alu instid0(SALU_CYCLE_1) | instskip(SKIP_1) | instid1(SALU_CYCLE_1)
	s_add_u32 s36, s12, s36
	s_addc_u32 s12, s35, s37
	s_and_b32 s37, s12, 0xffff
	s_clause 0x1
	buffer_load_b128 v[27:30], v18, s[36:39], 0 offen
	buffer_load_b128 v[40:43], v18, s[36:39], 16 offen
	s_waitcnt vmcnt(1)
	v_cvt_f32_f16_e32 v31, v27
	v_lshrrev_b32_e32 v27, 16, v27
	v_cvt_f32_f16_e32 v32, v28
	v_lshrrev_b32_e32 v28, 16, v28
	;; [unrolled: 2-line block ×3, first 2 shown]
	v_cvt_f32_f16_e32 v27, v27
	v_cvt_f32_f16_e32 v44, v30
	;; [unrolled: 1-line block ×3, first 2 shown]
	v_mul_f32_e32 v36, v12, v31
	v_lshrrev_b32_e32 v30, 16, v30
	v_dual_mul_f32 v37, v13, v27 :: v_dual_mul_f32 v38, v14, v32
	v_cvt_f32_f16_e32 v29, v29
	v_mul_f32_e32 v39, v15, v28
	s_waitcnt vmcnt(0)
	v_cvt_f32_f16_e32 v45, v40
	v_max3_f32 v28, |v36|, 0x2edbe6ff, |v37|
	v_lshrrev_b32_e32 v40, 16, v40
	v_cvt_f32_f16_e32 v30, v30
	v_mul_f32_e32 v34, v8, v33
	v_mul_f32_e32 v35, v9, v29
	v_max3_f32 v28, v28, |v38|, |v39|
	v_cvt_f32_f16_e32 v27, v41
	v_lshrrev_b32_e32 v31, 16, v41
	v_cvt_f32_f16_e32 v29, v40
	v_dual_mul_f32 v40, v10, v44 :: v_dual_mul_f32 v41, v11, v30
	v_max3_f32 v28, v28, |v34|, |v35|
	v_cvt_f32_f16_e32 v32, v42
	v_lshrrev_b32_e32 v30, 16, v42
	v_cvt_f32_f16_e32 v31, v31
	v_mul_f32_e32 v42, v4, v45
	v_mul_f32_e32 v33, v5, v29
	v_max3_f32 v28, v28, |v40|, |v41|
	v_lshrrev_b32_e32 v44, 16, v43
	v_cvt_f32_f16_e32 v45, v30
	v_mul_f32_e32 v30, v7, v31
	v_mul_f32_e32 v29, v6, v27
	v_max3_f32 v27, v28, |v42|, |v33|
	v_cvt_f32_f16_e32 v28, v43
	v_cvt_f32_f16_e32 v43, v44
	v_dual_mul_f32 v31, v0, v32 :: v_dual_mul_f32 v32, v1, v45
	s_delay_alu instid0(VALU_DEP_4) | instskip(NEXT) | instid1(VALU_DEP_3)
	v_max3_f32 v44, v27, |v29|, |v30|
	v_dual_mul_f32 v27, v2, v28 :: v_dual_mul_f32 v28, v3, v43
	s_delay_alu instid0(VALU_DEP_2) | instskip(NEXT) | instid1(VALU_DEP_1)
	v_max3_f32 v43, v44, |v31|, |v32|
	v_max3_f32 v43, v43, |v27|, |v28|
	s_delay_alu instid0(VALU_DEP_1) | instskip(NEXT) | instid1(VALU_DEP_1)
	v_mov_b32_dpp v44, v43 quad_perm:[1,0,3,2] row_mask:0xf bank_mask:0xf
	v_cmp_gt_f32_e32 vcc_lo, v43, v44
	v_cndmask_b32_e32 v43, v44, v43, vcc_lo
	s_delay_alu instid0(VALU_DEP_1) | instskip(NEXT) | instid1(VALU_DEP_1)
	v_mov_b32_dpp v44, v43 quad_perm:[2,3,0,1] row_mask:0xf bank_mask:0xf
	v_cmp_gt_f32_e32 vcc_lo, v43, v44
	v_cndmask_b32_e32 v43, v44, v43, vcc_lo
	s_delay_alu instid0(VALU_DEP_1) | instskip(NEXT) | instid1(VALU_DEP_1)
	v_mov_b32_dpp v44, v43 row_xmask:7 row_mask:0xf bank_mask:0xf
	v_cmp_gt_f32_e32 vcc_lo, v43, v44
	v_cndmask_b32_e32 v43, v44, v43, vcc_lo
	s_delay_alu instid0(VALU_DEP_1) | instskip(NEXT) | instid1(VALU_DEP_1)
	v_mov_b32_dpp v44, v43 row_xmask:15 row_mask:0xf bank_mask:0xf
	v_cmp_gt_f32_e32 vcc_lo, v43, v44
	s_and_saveexec_b32 s12, s1
	s_cbranch_execz .LBB214_13
; %bb.12:                               ;   in Loop: Header=BB214_10 Depth=2
	v_cndmask_b32_e32 v43, v44, v43, vcc_lo
	s_delay_alu instid0(VALU_DEP_1) | instskip(NEXT) | instid1(VALU_DEP_1)
	v_permlanex16_b32 v44, v43, s27, 0xfedcba98 op_sel:[1,1]
	v_cmp_gt_f32_e32 vcc_lo, v43, v44
	v_cndmask_b32_e32 v43, v44, v43, vcc_lo
	ds_store_b32 v22, v43
.LBB214_13:                             ;   in Loop: Header=BB214_10 Depth=2
	s_or_b32 exec_lo, exec_lo, s12
	s_waitcnt lgkmcnt(0)
	s_waitcnt_vscnt null, 0x0
	s_barrier
	buffer_gl0_inv
	ds_load_b32 v43, v23
	s_mov_b32 s35, -1
                                        ; implicit-def: $sgpr12
	s_waitcnt lgkmcnt(0)
	v_mov_b32_dpp v44, v43 quad_perm:[1,0,3,2] row_mask:0xf bank_mask:0xf
	s_delay_alu instid0(VALU_DEP_1) | instskip(SKIP_1) | instid1(VALU_DEP_1)
	v_cmp_gt_f32_e32 vcc_lo, v43, v44
	v_cndmask_b32_e32 v43, v44, v43, vcc_lo
	v_mov_b32_dpp v44, v43 quad_perm:[2,3,0,1] row_mask:0xf bank_mask:0xf
	s_delay_alu instid0(VALU_DEP_1) | instskip(SKIP_2) | instid1(VALU_DEP_1)
	v_cmp_gt_f32_e32 vcc_lo, v43, v44
	v_cndmask_b32_e32 v43, v44, v43, vcc_lo
	s_and_b32 vcc_lo, exec_lo, s14
	v_mov_b32_dpp v44, v43 row_xmask:7 row_mask:0xf bank_mask:0xf
	s_cbranch_vccz .LBB214_15
; %bb.14:                               ;   in Loop: Header=BB214_10 Depth=2
	s_mul_i32 s12, s13, s9
	s_mov_b32 s35, 0
	s_add_i32 s12, s12, s34
.LBB214_15:                             ;   in Loop: Header=BB214_10 Depth=2
	s_and_not1_b32 vcc_lo, exec_lo, s35
	s_cbranch_vccnz .LBB214_17
; %bb.16:                               ;   in Loop: Header=BB214_10 Depth=2
	s_mul_i32 s12, s34, s5
	s_delay_alu instid0(SALU_CYCLE_1)
	s_add_i32 s12, s12, s13
.LBB214_17:                             ;   in Loop: Header=BB214_10 Depth=2
	s_delay_alu instid0(VALU_DEP_1) | instskip(SKIP_1) | instid1(VALU_DEP_1)
	v_cmp_gt_f32_e32 vcc_lo, v43, v44
	v_cndmask_b32_e32 v43, v44, v43, vcc_lo
	v_mul_f32_e32 v43, 0x3b124925, v43
	s_and_saveexec_b32 s34, s0
	s_cbranch_execz .LBB214_19
; %bb.18:                               ;   in Loop: Header=BB214_10 Depth=2
	s_ashr_i32 s13, s12, 31
	s_delay_alu instid0(SALU_CYCLE_1) | instskip(NEXT) | instid1(SALU_CYCLE_1)
	s_lshl_b64 s[36:37], s[12:13], 2
	s_add_u32 s36, s18, s36
	s_addc_u32 s37, s19, s37
	global_store_b32 v19, v43, s[36:37]
.LBB214_19:                             ;   in Loop: Header=BB214_10 Depth=2
	s_or_b32 exec_lo, exec_lo, s34
	s_and_saveexec_b32 s13, s2
	s_cbranch_execz .LBB214_8
; %bb.20:                               ;   in Loop: Header=BB214_10 Depth=2
	v_rcp_f32_e32 v43, v43
	s_mul_i32 s34, s12, s8
	s_mul_hi_i32 s12, s12, s8
	s_add_u32 s48, s16, s34
	s_addc_u32 s12, s17, s12
	s_mov_b32 s51, s39
	s_and_b32 s49, s12, 0xffff
	s_waitcnt_depctr 0xfff
	v_mul_f32_e32 v36, v36, v43
	v_mul_f32_e32 v37, v37, v43
	;; [unrolled: 1-line block ×4, first 2 shown]
	;;#ASMSTART
	v_med3_f32 v36, v36, v20, v24
v_med3_f32 v37, v37, v20, v24
v_cvt_pk_fp8_f32 v44, v36, v37
	;;#ASMEND
	;;#ASMSTART
	v_med3_f32 v38, v38, v20, v24
v_med3_f32 v39, v39, v20, v24
v_cvt_pk_fp8_f32 v36, v38, v39
	;;#ASMEND
	v_perm_b32 v37, v36, v44, 0x5040100
	v_mul_f32_e32 v34, v34, v43
	v_mul_f32_e32 v35, v35, v43
	v_mul_f32_e32 v40, v40, v43
	v_mul_f32_e32 v41, v41, v43
	v_mul_f32_e32 v38, v33, v43
	;;#ASMSTART
	v_med3_f32 v34, v34, v20, v24
v_med3_f32 v35, v35, v20, v24
v_cvt_pk_fp8_f32 v33, v34, v35
	;;#ASMEND
	v_mul_f32_e32 v42, v42, v43
	;;#ASMSTART
	v_med3_f32 v40, v40, v20, v24
v_med3_f32 v41, v41, v20, v24
v_cvt_pk_fp8_f32 v34, v40, v41
	;;#ASMEND
	v_mul_f32_e32 v29, v29, v43
	v_mul_f32_e32 v30, v30, v43
	v_perm_b32 v34, v33, v34, 0x1000504
	v_perm_b32 v33, v37, v36, 0x1060504
	v_mul_f32_e32 v31, v31, v43
	v_mul_f32_e32 v32, v32, v43
	;; [unrolled: 1-line block ×4, first 2 shown]
	;;#ASMSTART
	v_med3_f32 v42, v42, v20, v24
v_med3_f32 v38, v38, v20, v24
v_cvt_pk_fp8_f32 v35, v42, v38
	;;#ASMEND
	;;#ASMSTART
	v_med3_f32 v29, v29, v20, v24
v_med3_f32 v30, v30, v20, v24
v_cvt_pk_fp8_f32 v36, v29, v30
	;;#ASMEND
	v_perm_b32 v35, v35, v36, 0x1000504
	;;#ASMSTART
	v_med3_f32 v31, v31, v20, v24
v_med3_f32 v32, v32, v20, v24
v_cvt_pk_fp8_f32 v29, v31, v32
	;;#ASMEND
	;;#ASMSTART
	v_med3_f32 v27, v27, v20, v24
v_med3_f32 v28, v28, v20, v24
v_cvt_pk_fp8_f32 v30, v27, v28
	;;#ASMEND
	v_perm_b32 v36, v29, v30, 0x1000504
	buffer_store_b128 v[33:36], v16, s[48:51], 0 offen
	;;#ASMSTART
	s_nop 0
	;;#ASMEND
	s_branch .LBB214_8
.LBB214_21:
	s_nop 0
	s_sendmsg sendmsg(MSG_DEALLOC_VGPRS)
	s_endpgm
	.section	.rodata,"a",@progbits
	.p2align	6, 0x0
	.amdhsa_kernel _ZN5aiter43moe_smooth_per_token_scaled_quant_kernel_v2IDF16_DB8_Li256ELi16EEEvPT0_PfPT_S4_PiS7_S7_iiiiiiiiiibb
		.amdhsa_group_segment_fixed_size 32
		.amdhsa_private_segment_fixed_size 0
		.amdhsa_kernarg_size 100
		.amdhsa_user_sgpr_count 15
		.amdhsa_user_sgpr_dispatch_ptr 0
		.amdhsa_user_sgpr_queue_ptr 0
		.amdhsa_user_sgpr_kernarg_segment_ptr 1
		.amdhsa_user_sgpr_dispatch_id 0
		.amdhsa_user_sgpr_private_segment_size 0
		.amdhsa_wavefront_size32 1
		.amdhsa_uses_dynamic_stack 0
		.amdhsa_enable_private_segment 0
		.amdhsa_system_sgpr_workgroup_id_x 1
		.amdhsa_system_sgpr_workgroup_id_y 0
		.amdhsa_system_sgpr_workgroup_id_z 0
		.amdhsa_system_sgpr_workgroup_info 0
		.amdhsa_system_vgpr_workitem_id 0
		.amdhsa_next_free_vgpr 46
		.amdhsa_next_free_sgpr 52
		.amdhsa_reserve_vcc 1
		.amdhsa_float_round_mode_32 0
		.amdhsa_float_round_mode_16_64 0
		.amdhsa_float_denorm_mode_32 3
		.amdhsa_float_denorm_mode_16_64 3
		.amdhsa_dx10_clamp 1
		.amdhsa_ieee_mode 1
		.amdhsa_fp16_overflow 0
		.amdhsa_workgroup_processor_mode 1
		.amdhsa_memory_ordered 1
		.amdhsa_forward_progress 0
		.amdhsa_shared_vgpr_count 0
		.amdhsa_exception_fp_ieee_invalid_op 0
		.amdhsa_exception_fp_denorm_src 0
		.amdhsa_exception_fp_ieee_div_zero 0
		.amdhsa_exception_fp_ieee_overflow 0
		.amdhsa_exception_fp_ieee_underflow 0
		.amdhsa_exception_fp_ieee_inexact 0
		.amdhsa_exception_int_div_zero 0
	.end_amdhsa_kernel
	.section	.text._ZN5aiter43moe_smooth_per_token_scaled_quant_kernel_v2IDF16_DB8_Li256ELi16EEEvPT0_PfPT_S4_PiS7_S7_iiiiiiiiiibb,"axG",@progbits,_ZN5aiter43moe_smooth_per_token_scaled_quant_kernel_v2IDF16_DB8_Li256ELi16EEEvPT0_PfPT_S4_PiS7_S7_iiiiiiiiiibb,comdat
.Lfunc_end214:
	.size	_ZN5aiter43moe_smooth_per_token_scaled_quant_kernel_v2IDF16_DB8_Li256ELi16EEEvPT0_PfPT_S4_PiS7_S7_iiiiiiiiiibb, .Lfunc_end214-_ZN5aiter43moe_smooth_per_token_scaled_quant_kernel_v2IDF16_DB8_Li256ELi16EEEvPT0_PfPT_S4_PiS7_S7_iiiiiiiiiibb
                                        ; -- End function
	.section	.AMDGPU.csdata,"",@progbits
; Kernel info:
; codeLenInByte = 1868
; NumSgprs: 54
; NumVgprs: 46
; ScratchSize: 0
; MemoryBound: 0
; FloatMode: 240
; IeeeMode: 1
; LDSByteSize: 32 bytes/workgroup (compile time only)
; SGPRBlocks: 6
; VGPRBlocks: 5
; NumSGPRsForWavesPerEU: 54
; NumVGPRsForWavesPerEU: 46
; Occupancy: 16
; WaveLimiterHint : 0
; COMPUTE_PGM_RSRC2:SCRATCH_EN: 0
; COMPUTE_PGM_RSRC2:USER_SGPR: 15
; COMPUTE_PGM_RSRC2:TRAP_HANDLER: 0
; COMPUTE_PGM_RSRC2:TGID_X_EN: 1
; COMPUTE_PGM_RSRC2:TGID_Y_EN: 0
; COMPUTE_PGM_RSRC2:TGID_Z_EN: 0
; COMPUTE_PGM_RSRC2:TIDIG_COMP_CNT: 0
	.section	.text._ZN5aiter43moe_smooth_per_token_scaled_quant_kernel_v2ItDB8_Li256ELi16EEEvPT0_PfPT_S4_PiS7_S7_iiiiiiiiiibb,"axG",@progbits,_ZN5aiter43moe_smooth_per_token_scaled_quant_kernel_v2ItDB8_Li256ELi16EEEvPT0_PfPT_S4_PiS7_S7_iiiiiiiiiibb,comdat
	.protected	_ZN5aiter43moe_smooth_per_token_scaled_quant_kernel_v2ItDB8_Li256ELi16EEEvPT0_PfPT_S4_PiS7_S7_iiiiiiiiiibb ; -- Begin function _ZN5aiter43moe_smooth_per_token_scaled_quant_kernel_v2ItDB8_Li256ELi16EEEvPT0_PfPT_S4_PiS7_S7_iiiiiiiiiibb
	.globl	_ZN5aiter43moe_smooth_per_token_scaled_quant_kernel_v2ItDB8_Li256ELi16EEEvPT0_PfPT_S4_PiS7_S7_iiiiiiiiiibb
	.p2align	8
	.type	_ZN5aiter43moe_smooth_per_token_scaled_quant_kernel_v2ItDB8_Li256ELi16EEEvPT0_PfPT_S4_PiS7_S7_iiiiiiiiiibb,@function
_ZN5aiter43moe_smooth_per_token_scaled_quant_kernel_v2ItDB8_Li256ELi16EEEvPT0_PfPT_S4_PiS7_S7_iiiiiiiiiibb: ; @_ZN5aiter43moe_smooth_per_token_scaled_quant_kernel_v2ItDB8_Li256ELi16EEEvPT0_PfPT_S4_PiS7_S7_iiiiiiiiiibb
; %bb.0:
	s_load_b256 s[4:11], s[0:1], 0x38
	s_waitcnt lgkmcnt(0)
	s_cmp_ge_i32 s15, s6
	s_cbranch_scc1 .LBB215_21
; %bb.1:
	s_clause 0x3
	s_load_b128 s[24:27], s[0:1], 0x58
	s_load_b64 s[2:3], s[0:1], 0x30
	s_load_b128 s[28:31], s[0:1], 0x20
	s_load_b256 s[16:23], s[0:1], 0x0
	v_dual_mov_b32 v20, 0xc3e00000 :: v_dual_and_b32 v1, 31, v0
	v_lshrrev_b32_e32 v2, 3, v0
	v_and_b32_e32 v3, 7, v0
	v_dual_mov_b32 v19, 0 :: v_dual_lshlrev_b32 v16, 4, v0
	v_dual_mov_b32 v24, 0x43e00000 :: v_dual_lshlrev_b32 v17, 6, v0
	v_lshlrev_b32_e32 v18, 5, v0
	v_cmp_eq_u32_e64 s0, 0, v0
	v_lshlrev_b32_e32 v21, 2, v1
	v_cmp_eq_u32_e64 s1, 31, v1
	v_and_b32_e32 v22, 0x7c, v2
	v_lshlrev_b32_e32 v23, 2, v3
	s_mov_b32 s39, -1
	s_waitcnt lgkmcnt(0)
	s_bitcmp1_b32 s26, 8
	s_load_b32 s3, s[2:3], 0x0
	s_cselect_b32 s2, -1, 0
	s_ashr_i32 s10, s10, s11
	s_lshl_b32 s42, s8, 2
	s_xor_b32 s14, s2, -1
	s_lshl_b32 s46, s10, 2
	s_cmp_gt_i32 s10, 0
	s_cselect_b32 s26, -1, 0
	s_add_i32 s2, s8, 15
	s_add_i32 s12, s8, 3
	s_ashr_i32 s13, s2, 31
	s_ashr_i32 s27, s12, 31
	s_lshr_b32 s13, s13, 28
	s_lshl_b32 s38, s8, 1
	s_add_i32 s2, s2, s13
	s_lshr_b32 s13, s27, 30
	s_ashr_i32 s2, s2, 4
	s_add_i32 s12, s12, s13
	v_cmp_gt_u32_e64 s2, s2, v0
	s_and_b32 s50, s12, -4
	s_mov_b32 s27, 0x76543210
	s_branch .LBB215_4
.LBB215_2:                              ;   in Loop: Header=BB215_4 Depth=1
	s_mov_b32 s13, -1
.LBB215_3:                              ;   in Loop: Header=BB215_4 Depth=1
	s_add_i32 s15, s15, s7
	s_delay_alu instid0(SALU_CYCLE_1) | instskip(SKIP_1) | instid1(SALU_CYCLE_1)
	s_cmp_lt_i32 s15, s6
	s_cselect_b32 s12, -1, 0
	s_and_b32 s12, s13, s12
	s_delay_alu instid0(SALU_CYCLE_1)
	s_and_b32 vcc_lo, exec_lo, s12
	s_cbranch_vccz .LBB215_21
.LBB215_4:                              ; =>This Loop Header: Depth=1
                                        ;     Child Loop BB215_10 Depth 2
	s_mul_i32 s12, s15, s10
	s_mov_b32 s13, 0
	s_waitcnt lgkmcnt(0)
	s_cmp_ge_i32 s12, s3
	s_cbranch_scc1 .LBB215_3
; %bb.5:                                ;   in Loop: Header=BB215_4 Depth=1
	s_ashr_i32 s34, s15, s11
	s_delay_alu instid0(SALU_CYCLE_1) | instskip(NEXT) | instid1(SALU_CYCLE_1)
	s_ashr_i32 s35, s34, 31
	s_lshl_b64 s[34:35], s[34:35], 2
	s_delay_alu instid0(SALU_CYCLE_1)
	s_add_u32 s34, s30, s34
	s_addc_u32 s35, s31, s35
	s_load_b32 s33, s[34:35], 0x0
	s_waitcnt lgkmcnt(0)
	s_cmp_ge_i32 s33, s4
	s_cbranch_scc1 .LBB215_3
; %bb.6:                                ;   in Loop: Header=BB215_4 Depth=1
	s_and_not1_b32 vcc_lo, exec_lo, s26
	s_cbranch_vccnz .LBB215_2
; %bb.7:                                ;   in Loop: Header=BB215_4 Depth=1
	s_ashr_i32 s13, s12, 31
	s_mul_i32 s34, s33, s8
	s_lshl_b64 s[12:13], s[12:13], 2
	s_mov_b32 s47, s39
	s_add_u32 s44, s28, s12
	s_addc_u32 s12, s29, s13
	s_ashr_i32 s35, s34, 31
	s_and_b32 s45, s12, 0xffff
	s_lshl_b64 s[12:13], s[34:35], 2
	buffer_load_b32 v26, v21, s[44:47], 0 offen
	s_add_u32 s40, s22, s12
	s_addc_u32 s12, s23, s13
	s_mov_b32 s43, s39
	s_and_b32 s41, s12, 0xffff
	s_clause 0x3
	buffer_load_b128 v[0:3], v17, s[40:43], 48 offen
	buffer_load_b128 v[4:7], v17, s[40:43], 32 offen
	;; [unrolled: 1-line block ×4, first 2 shown]
	s_mov_b32 s33, 0
	s_waitcnt vmcnt(4)
	v_and_b32_e32 v25, 0xffffff, v26
	v_ashrrev_i32_e32 v26, 24, v26
	s_branch .LBB215_10
.LBB215_8:                              ;   in Loop: Header=BB215_10 Depth=2
	s_or_b32 exec_lo, exec_lo, s13
	s_add_i32 s33, s33, 1
	s_delay_alu instid0(SALU_CYCLE_1)
	s_cmp_eq_u32 s10, s33
	s_cselect_b32 s12, -1, 0
.LBB215_9:                              ;   in Loop: Header=BB215_10 Depth=2
	s_delay_alu instid0(SALU_CYCLE_1)
	s_and_b32 vcc_lo, exec_lo, s12
	s_cbranch_vccnz .LBB215_2
.LBB215_10:                             ;   Parent Loop BB215_4 Depth=1
                                        ; =>  This Inner Loop Header: Depth=2
	s_delay_alu instid0(VALU_DEP_2) | instskip(NEXT) | instid1(VALU_DEP_2)
	v_readlane_b32 s13, v25, s33
	v_readlane_b32 s34, v26, s33
	s_mov_b32 s12, -1
	s_delay_alu instid0(VALU_DEP_2)
	s_cmp_ge_i32 s13, s5
	s_cbranch_scc1 .LBB215_9
; %bb.11:                               ;   in Loop: Header=BB215_10 Depth=2
	s_mul_hi_i32 s37, s13, s24
	s_mul_i32 s36, s13, s24
	s_mul_i32 s40, s34, s25
	s_lshl_b64 s[36:37], s[36:37], 1
	s_ashr_i32 s41, s40, 31
	s_add_u32 s12, s20, s36
	s_addc_u32 s35, s21, s37
	s_lshl_b64 s[36:37], s[40:41], 1
	s_delay_alu instid0(SALU_CYCLE_1) | instskip(SKIP_1) | instid1(SALU_CYCLE_1)
	s_add_u32 s36, s12, s36
	s_addc_u32 s12, s35, s37
	s_and_b32 s37, s12, 0xffff
	s_clause 0x1
	buffer_load_b128 v[27:30], v18, s[36:39], 0 offen
	buffer_load_b128 v[31:34], v18, s[36:39], 16 offen
	s_waitcnt vmcnt(1)
	v_and_b32_e32 v35, 0xffff, v27
	v_lshrrev_b32_e32 v27, 16, v27
	s_waitcnt vmcnt(0)
	v_lshrrev_b32_e32 v44, 16, v33
	v_and_b32_e32 v45, 0xffff, v34
	v_lshrrev_b32_e32 v46, 16, v34
	v_cvt_f32_u32_e32 v27, v27
	v_and_b32_e32 v36, 0xffff, v28
	v_lshrrev_b32_e32 v28, 16, v28
	s_delay_alu instid0(VALU_DEP_3) | instskip(NEXT) | instid1(VALU_DEP_3)
	v_mul_f32_e32 v37, v13, v27
	v_cvt_f32_u32_e32 v34, v36
	s_delay_alu instid0(VALU_DEP_3)
	v_cvt_f32_u32_e32 v28, v28
	v_and_b32_e32 v38, 0xffff, v29
	v_lshrrev_b32_e32 v29, 16, v29
	v_and_b32_e32 v41, 0xffff, v31
	v_lshrrev_b32_e32 v31, 16, v31
	v_mul_f32_e32 v39, v15, v28
	v_cvt_f32_u32_e32 v27, v38
	v_dual_mul_f32 v38, v14, v34 :: v_dual_and_b32 v43, 0xffff, v33
	v_cvt_f32_u32_e32 v33, v35
	v_cvt_f32_u32_e32 v29, v29
	s_delay_alu instid0(VALU_DEP_4)
	v_mul_f32_e32 v34, v8, v27
	v_and_b32_e32 v40, 0xffff, v30
	v_lshrrev_b32_e32 v30, 16, v30
	v_mul_f32_e32 v36, v12, v33
	v_mul_f32_e32 v35, v9, v29
	v_cvt_f32_u32_e32 v29, v31
	v_cvt_f32_u32_e32 v33, v40
	;; [unrolled: 1-line block ×3, first 2 shown]
	v_max3_f32 v28, |v36|, 0x2edbe6ff, |v37|
	v_and_b32_e32 v42, 0xffff, v32
	v_lshrrev_b32_e32 v32, 16, v32
	v_mul_f32_e32 v40, v10, v33
	v_mul_f32_e32 v33, v5, v29
	v_max3_f32 v27, v28, |v38|, |v39|
	v_cvt_f32_u32_e32 v28, v41
	v_mul_f32_e32 v41, v11, v30
	v_cvt_f32_u32_e32 v30, v42
	v_cvt_f32_u32_e32 v31, v32
	v_max3_f32 v27, v27, |v34|, |v35|
	v_mul_f32_e32 v42, v4, v28
	v_cvt_f32_u32_e32 v28, v43
	v_cvt_f32_u32_e32 v32, v44
	v_dual_mul_f32 v29, v6, v30 :: v_dual_mul_f32 v30, v7, v31
	v_max3_f32 v27, v27, |v40|, |v41|
	v_cvt_f32_u32_e32 v43, v45
	v_cvt_f32_u32_e32 v44, v46
	v_mul_f32_e32 v31, v0, v28
	v_mul_f32_e32 v32, v1, v32
	v_max3_f32 v27, v27, |v42|, |v33|
	s_delay_alu instid0(VALU_DEP_4) | instskip(NEXT) | instid1(VALU_DEP_2)
	v_mul_f32_e32 v28, v3, v44
	v_max3_f32 v45, v27, |v29|, |v30|
	v_mul_f32_e32 v27, v2, v43
	s_delay_alu instid0(VALU_DEP_2) | instskip(NEXT) | instid1(VALU_DEP_1)
	v_max3_f32 v43, v45, |v31|, |v32|
	v_max3_f32 v43, v43, |v27|, |v28|
	s_delay_alu instid0(VALU_DEP_1) | instskip(NEXT) | instid1(VALU_DEP_1)
	v_mov_b32_dpp v44, v43 quad_perm:[1,0,3,2] row_mask:0xf bank_mask:0xf
	v_cmp_gt_f32_e32 vcc_lo, v43, v44
	v_cndmask_b32_e32 v43, v44, v43, vcc_lo
	s_delay_alu instid0(VALU_DEP_1) | instskip(NEXT) | instid1(VALU_DEP_1)
	v_mov_b32_dpp v44, v43 quad_perm:[2,3,0,1] row_mask:0xf bank_mask:0xf
	v_cmp_gt_f32_e32 vcc_lo, v43, v44
	v_cndmask_b32_e32 v43, v44, v43, vcc_lo
	s_delay_alu instid0(VALU_DEP_1) | instskip(NEXT) | instid1(VALU_DEP_1)
	v_mov_b32_dpp v44, v43 row_xmask:7 row_mask:0xf bank_mask:0xf
	v_cmp_gt_f32_e32 vcc_lo, v43, v44
	v_cndmask_b32_e32 v43, v44, v43, vcc_lo
	s_delay_alu instid0(VALU_DEP_1) | instskip(NEXT) | instid1(VALU_DEP_1)
	v_mov_b32_dpp v44, v43 row_xmask:15 row_mask:0xf bank_mask:0xf
	v_cmp_gt_f32_e32 vcc_lo, v43, v44
	s_and_saveexec_b32 s12, s1
	s_cbranch_execz .LBB215_13
; %bb.12:                               ;   in Loop: Header=BB215_10 Depth=2
	v_cndmask_b32_e32 v43, v44, v43, vcc_lo
	s_delay_alu instid0(VALU_DEP_1) | instskip(NEXT) | instid1(VALU_DEP_1)
	v_permlanex16_b32 v44, v43, s27, 0xfedcba98 op_sel:[1,1]
	v_cmp_gt_f32_e32 vcc_lo, v43, v44
	v_cndmask_b32_e32 v43, v44, v43, vcc_lo
	ds_store_b32 v22, v43
.LBB215_13:                             ;   in Loop: Header=BB215_10 Depth=2
	s_or_b32 exec_lo, exec_lo, s12
	s_waitcnt lgkmcnt(0)
	s_waitcnt_vscnt null, 0x0
	s_barrier
	buffer_gl0_inv
	ds_load_b32 v43, v23
	s_mov_b32 s35, -1
                                        ; implicit-def: $sgpr12
	s_waitcnt lgkmcnt(0)
	v_mov_b32_dpp v44, v43 quad_perm:[1,0,3,2] row_mask:0xf bank_mask:0xf
	s_delay_alu instid0(VALU_DEP_1) | instskip(SKIP_1) | instid1(VALU_DEP_1)
	v_cmp_gt_f32_e32 vcc_lo, v43, v44
	v_cndmask_b32_e32 v43, v44, v43, vcc_lo
	v_mov_b32_dpp v44, v43 quad_perm:[2,3,0,1] row_mask:0xf bank_mask:0xf
	s_delay_alu instid0(VALU_DEP_1) | instskip(SKIP_2) | instid1(VALU_DEP_1)
	v_cmp_gt_f32_e32 vcc_lo, v43, v44
	v_cndmask_b32_e32 v43, v44, v43, vcc_lo
	s_and_b32 vcc_lo, exec_lo, s14
	v_mov_b32_dpp v44, v43 row_xmask:7 row_mask:0xf bank_mask:0xf
	s_cbranch_vccz .LBB215_15
; %bb.14:                               ;   in Loop: Header=BB215_10 Depth=2
	s_mul_i32 s12, s13, s9
	s_mov_b32 s35, 0
	s_add_i32 s12, s12, s34
.LBB215_15:                             ;   in Loop: Header=BB215_10 Depth=2
	s_and_not1_b32 vcc_lo, exec_lo, s35
	s_cbranch_vccnz .LBB215_17
; %bb.16:                               ;   in Loop: Header=BB215_10 Depth=2
	s_mul_i32 s12, s34, s5
	s_delay_alu instid0(SALU_CYCLE_1)
	s_add_i32 s12, s12, s13
.LBB215_17:                             ;   in Loop: Header=BB215_10 Depth=2
	s_delay_alu instid0(VALU_DEP_1) | instskip(SKIP_1) | instid1(VALU_DEP_1)
	v_cmp_gt_f32_e32 vcc_lo, v43, v44
	v_cndmask_b32_e32 v43, v44, v43, vcc_lo
	v_mul_f32_e32 v43, 0x3b124925, v43
	s_and_saveexec_b32 s34, s0
	s_cbranch_execz .LBB215_19
; %bb.18:                               ;   in Loop: Header=BB215_10 Depth=2
	s_ashr_i32 s13, s12, 31
	s_delay_alu instid0(SALU_CYCLE_1) | instskip(NEXT) | instid1(SALU_CYCLE_1)
	s_lshl_b64 s[36:37], s[12:13], 2
	s_add_u32 s36, s18, s36
	s_addc_u32 s37, s19, s37
	global_store_b32 v19, v43, s[36:37]
.LBB215_19:                             ;   in Loop: Header=BB215_10 Depth=2
	s_or_b32 exec_lo, exec_lo, s34
	s_and_saveexec_b32 s13, s2
	s_cbranch_execz .LBB215_8
; %bb.20:                               ;   in Loop: Header=BB215_10 Depth=2
	v_rcp_f32_e32 v43, v43
	s_mul_i32 s34, s12, s8
	s_mul_hi_i32 s12, s12, s8
	s_add_u32 s48, s16, s34
	s_addc_u32 s12, s17, s12
	s_mov_b32 s51, s39
	s_and_b32 s49, s12, 0xffff
	s_waitcnt_depctr 0xfff
	v_mul_f32_e32 v36, v36, v43
	v_mul_f32_e32 v37, v37, v43
	;; [unrolled: 1-line block ×4, first 2 shown]
	;;#ASMSTART
	v_med3_f32 v36, v36, v20, v24
v_med3_f32 v37, v37, v20, v24
v_cvt_pk_fp8_f32 v44, v36, v37
	;;#ASMEND
	;;#ASMSTART
	v_med3_f32 v38, v38, v20, v24
v_med3_f32 v39, v39, v20, v24
v_cvt_pk_fp8_f32 v36, v38, v39
	;;#ASMEND
	v_perm_b32 v37, v36, v44, 0x5040100
	v_mul_f32_e32 v34, v34, v43
	v_mul_f32_e32 v35, v35, v43
	;; [unrolled: 1-line block ×5, first 2 shown]
	;;#ASMSTART
	v_med3_f32 v34, v34, v20, v24
v_med3_f32 v35, v35, v20, v24
v_cvt_pk_fp8_f32 v33, v34, v35
	;;#ASMEND
	v_mul_f32_e32 v42, v42, v43
	;;#ASMSTART
	v_med3_f32 v40, v40, v20, v24
v_med3_f32 v41, v41, v20, v24
v_cvt_pk_fp8_f32 v34, v40, v41
	;;#ASMEND
	v_mul_f32_e32 v29, v29, v43
	v_mul_f32_e32 v30, v30, v43
	v_perm_b32 v34, v33, v34, 0x1000504
	v_perm_b32 v33, v37, v36, 0x1060504
	v_mul_f32_e32 v31, v31, v43
	v_mul_f32_e32 v32, v32, v43
	;; [unrolled: 1-line block ×4, first 2 shown]
	;;#ASMSTART
	v_med3_f32 v42, v42, v20, v24
v_med3_f32 v38, v38, v20, v24
v_cvt_pk_fp8_f32 v35, v42, v38
	;;#ASMEND
	;;#ASMSTART
	v_med3_f32 v29, v29, v20, v24
v_med3_f32 v30, v30, v20, v24
v_cvt_pk_fp8_f32 v36, v29, v30
	;;#ASMEND
	v_perm_b32 v35, v35, v36, 0x1000504
	;;#ASMSTART
	v_med3_f32 v31, v31, v20, v24
v_med3_f32 v32, v32, v20, v24
v_cvt_pk_fp8_f32 v29, v31, v32
	;;#ASMEND
	;;#ASMSTART
	v_med3_f32 v27, v27, v20, v24
v_med3_f32 v28, v28, v20, v24
v_cvt_pk_fp8_f32 v30, v27, v28
	;;#ASMEND
	v_perm_b32 v36, v29, v30, 0x1000504
	buffer_store_b128 v[33:36], v16, s[48:51], 0 offen
	;;#ASMSTART
	s_nop 0
	;;#ASMEND
	s_branch .LBB215_8
.LBB215_21:
	s_nop 0
	s_sendmsg sendmsg(MSG_DEALLOC_VGPRS)
	s_endpgm
	.section	.rodata,"a",@progbits
	.p2align	6, 0x0
	.amdhsa_kernel _ZN5aiter43moe_smooth_per_token_scaled_quant_kernel_v2ItDB8_Li256ELi16EEEvPT0_PfPT_S4_PiS7_S7_iiiiiiiiiibb
		.amdhsa_group_segment_fixed_size 32
		.amdhsa_private_segment_fixed_size 0
		.amdhsa_kernarg_size 100
		.amdhsa_user_sgpr_count 15
		.amdhsa_user_sgpr_dispatch_ptr 0
		.amdhsa_user_sgpr_queue_ptr 0
		.amdhsa_user_sgpr_kernarg_segment_ptr 1
		.amdhsa_user_sgpr_dispatch_id 0
		.amdhsa_user_sgpr_private_segment_size 0
		.amdhsa_wavefront_size32 1
		.amdhsa_uses_dynamic_stack 0
		.amdhsa_enable_private_segment 0
		.amdhsa_system_sgpr_workgroup_id_x 1
		.amdhsa_system_sgpr_workgroup_id_y 0
		.amdhsa_system_sgpr_workgroup_id_z 0
		.amdhsa_system_sgpr_workgroup_info 0
		.amdhsa_system_vgpr_workitem_id 0
		.amdhsa_next_free_vgpr 47
		.amdhsa_next_free_sgpr 52
		.amdhsa_reserve_vcc 1
		.amdhsa_float_round_mode_32 0
		.amdhsa_float_round_mode_16_64 0
		.amdhsa_float_denorm_mode_32 3
		.amdhsa_float_denorm_mode_16_64 3
		.amdhsa_dx10_clamp 1
		.amdhsa_ieee_mode 1
		.amdhsa_fp16_overflow 0
		.amdhsa_workgroup_processor_mode 1
		.amdhsa_memory_ordered 1
		.amdhsa_forward_progress 0
		.amdhsa_shared_vgpr_count 0
		.amdhsa_exception_fp_ieee_invalid_op 0
		.amdhsa_exception_fp_denorm_src 0
		.amdhsa_exception_fp_ieee_div_zero 0
		.amdhsa_exception_fp_ieee_overflow 0
		.amdhsa_exception_fp_ieee_underflow 0
		.amdhsa_exception_fp_ieee_inexact 0
		.amdhsa_exception_int_div_zero 0
	.end_amdhsa_kernel
	.section	.text._ZN5aiter43moe_smooth_per_token_scaled_quant_kernel_v2ItDB8_Li256ELi16EEEvPT0_PfPT_S4_PiS7_S7_iiiiiiiiiibb,"axG",@progbits,_ZN5aiter43moe_smooth_per_token_scaled_quant_kernel_v2ItDB8_Li256ELi16EEEvPT0_PfPT_S4_PiS7_S7_iiiiiiiiiibb,comdat
.Lfunc_end215:
	.size	_ZN5aiter43moe_smooth_per_token_scaled_quant_kernel_v2ItDB8_Li256ELi16EEEvPT0_PfPT_S4_PiS7_S7_iiiiiiiiiibb, .Lfunc_end215-_ZN5aiter43moe_smooth_per_token_scaled_quant_kernel_v2ItDB8_Li256ELi16EEEvPT0_PfPT_S4_PiS7_S7_iiiiiiiiiibb
                                        ; -- End function
	.section	.AMDGPU.csdata,"",@progbits
; Kernel info:
; codeLenInByte = 1944
; NumSgprs: 54
; NumVgprs: 47
; ScratchSize: 0
; MemoryBound: 0
; FloatMode: 240
; IeeeMode: 1
; LDSByteSize: 32 bytes/workgroup (compile time only)
; SGPRBlocks: 6
; VGPRBlocks: 5
; NumSGPRsForWavesPerEU: 54
; NumVGPRsForWavesPerEU: 47
; Occupancy: 16
; WaveLimiterHint : 0
; COMPUTE_PGM_RSRC2:SCRATCH_EN: 0
; COMPUTE_PGM_RSRC2:USER_SGPR: 15
; COMPUTE_PGM_RSRC2:TRAP_HANDLER: 0
; COMPUTE_PGM_RSRC2:TGID_X_EN: 1
; COMPUTE_PGM_RSRC2:TGID_Y_EN: 0
; COMPUTE_PGM_RSRC2:TGID_Z_EN: 0
; COMPUTE_PGM_RSRC2:TIDIG_COMP_CNT: 0
	.section	.text._ZN5aiter43moe_smooth_per_token_scaled_quant_kernel_v2IDF16_DB8_Li512ELi16EEEvPT0_PfPT_S4_PiS7_S7_iiiiiiiiiibb,"axG",@progbits,_ZN5aiter43moe_smooth_per_token_scaled_quant_kernel_v2IDF16_DB8_Li512ELi16EEEvPT0_PfPT_S4_PiS7_S7_iiiiiiiiiibb,comdat
	.protected	_ZN5aiter43moe_smooth_per_token_scaled_quant_kernel_v2IDF16_DB8_Li512ELi16EEEvPT0_PfPT_S4_PiS7_S7_iiiiiiiiiibb ; -- Begin function _ZN5aiter43moe_smooth_per_token_scaled_quant_kernel_v2IDF16_DB8_Li512ELi16EEEvPT0_PfPT_S4_PiS7_S7_iiiiiiiiiibb
	.globl	_ZN5aiter43moe_smooth_per_token_scaled_quant_kernel_v2IDF16_DB8_Li512ELi16EEEvPT0_PfPT_S4_PiS7_S7_iiiiiiiiiibb
	.p2align	8
	.type	_ZN5aiter43moe_smooth_per_token_scaled_quant_kernel_v2IDF16_DB8_Li512ELi16EEEvPT0_PfPT_S4_PiS7_S7_iiiiiiiiiibb,@function
_ZN5aiter43moe_smooth_per_token_scaled_quant_kernel_v2IDF16_DB8_Li512ELi16EEEvPT0_PfPT_S4_PiS7_S7_iiiiiiiiiibb: ; @_ZN5aiter43moe_smooth_per_token_scaled_quant_kernel_v2IDF16_DB8_Li512ELi16EEEvPT0_PfPT_S4_PiS7_S7_iiiiiiiiiibb
; %bb.0:
	s_load_b256 s[4:11], s[0:1], 0x38
	s_waitcnt lgkmcnt(0)
	s_cmp_ge_i32 s15, s6
	s_cbranch_scc1 .LBB216_21
; %bb.1:
	s_clause 0x3
	s_load_b128 s[24:27], s[0:1], 0x58
	s_load_b64 s[2:3], s[0:1], 0x30
	s_load_b128 s[28:31], s[0:1], 0x20
	s_load_b256 s[16:23], s[0:1], 0x0
	v_dual_mov_b32 v20, 0xc3e00000 :: v_dual_and_b32 v1, 31, v0
	v_lshrrev_b32_e32 v2, 3, v0
	v_and_b32_e32 v3, 15, v0
	v_dual_mov_b32 v19, 0 :: v_dual_lshlrev_b32 v16, 4, v0
	v_dual_mov_b32 v24, 0x43e00000 :: v_dual_lshlrev_b32 v17, 6, v0
	v_lshlrev_b32_e32 v18, 5, v0
	v_cmp_eq_u32_e64 s0, 0, v0
	v_lshlrev_b32_e32 v21, 2, v1
	v_cmp_eq_u32_e64 s1, 31, v1
	v_and_b32_e32 v22, 0x7c, v2
	v_lshlrev_b32_e32 v23, 2, v3
	s_mov_b32 s39, -1
	s_waitcnt lgkmcnt(0)
	s_bitcmp1_b32 s26, 8
	s_load_b32 s3, s[2:3], 0x0
	s_cselect_b32 s2, -1, 0
	s_ashr_i32 s10, s10, s11
	s_lshl_b32 s42, s8, 2
	s_xor_b32 s14, s2, -1
	s_lshl_b32 s46, s10, 2
	s_cmp_gt_i32 s10, 0
	s_cselect_b32 s26, -1, 0
	s_add_i32 s2, s8, 15
	s_add_i32 s12, s8, 3
	s_ashr_i32 s13, s2, 31
	s_ashr_i32 s27, s12, 31
	s_lshr_b32 s13, s13, 28
	s_lshl_b32 s38, s8, 1
	s_add_i32 s2, s2, s13
	s_lshr_b32 s13, s27, 30
	s_ashr_i32 s2, s2, 4
	s_add_i32 s12, s12, s13
	v_cmp_gt_u32_e64 s2, s2, v0
	s_and_b32 s50, s12, -4
	s_mov_b32 s27, 0x76543210
	s_branch .LBB216_4
.LBB216_2:                              ;   in Loop: Header=BB216_4 Depth=1
	s_mov_b32 s13, -1
.LBB216_3:                              ;   in Loop: Header=BB216_4 Depth=1
	s_add_i32 s15, s15, s7
	s_delay_alu instid0(SALU_CYCLE_1) | instskip(SKIP_1) | instid1(SALU_CYCLE_1)
	s_cmp_lt_i32 s15, s6
	s_cselect_b32 s12, -1, 0
	s_and_b32 s12, s13, s12
	s_delay_alu instid0(SALU_CYCLE_1)
	s_and_b32 vcc_lo, exec_lo, s12
	s_cbranch_vccz .LBB216_21
.LBB216_4:                              ; =>This Loop Header: Depth=1
                                        ;     Child Loop BB216_10 Depth 2
	s_mul_i32 s12, s15, s10
	s_mov_b32 s13, 0
	s_waitcnt lgkmcnt(0)
	s_cmp_ge_i32 s12, s3
	s_cbranch_scc1 .LBB216_3
; %bb.5:                                ;   in Loop: Header=BB216_4 Depth=1
	s_ashr_i32 s34, s15, s11
	s_delay_alu instid0(SALU_CYCLE_1) | instskip(NEXT) | instid1(SALU_CYCLE_1)
	s_ashr_i32 s35, s34, 31
	s_lshl_b64 s[34:35], s[34:35], 2
	s_delay_alu instid0(SALU_CYCLE_1)
	s_add_u32 s34, s30, s34
	s_addc_u32 s35, s31, s35
	s_load_b32 s33, s[34:35], 0x0
	s_waitcnt lgkmcnt(0)
	s_cmp_ge_i32 s33, s4
	s_cbranch_scc1 .LBB216_3
; %bb.6:                                ;   in Loop: Header=BB216_4 Depth=1
	s_and_not1_b32 vcc_lo, exec_lo, s26
	s_cbranch_vccnz .LBB216_2
; %bb.7:                                ;   in Loop: Header=BB216_4 Depth=1
	s_ashr_i32 s13, s12, 31
	s_mul_i32 s34, s33, s8
	s_lshl_b64 s[12:13], s[12:13], 2
	s_mov_b32 s47, s39
	s_add_u32 s44, s28, s12
	s_addc_u32 s12, s29, s13
	s_ashr_i32 s35, s34, 31
	s_and_b32 s45, s12, 0xffff
	s_lshl_b64 s[12:13], s[34:35], 2
	buffer_load_b32 v26, v21, s[44:47], 0 offen
	s_add_u32 s40, s22, s12
	s_addc_u32 s12, s23, s13
	s_mov_b32 s43, s39
	s_and_b32 s41, s12, 0xffff
	s_clause 0x3
	buffer_load_b128 v[0:3], v17, s[40:43], 48 offen
	buffer_load_b128 v[4:7], v17, s[40:43], 32 offen
	;; [unrolled: 1-line block ×4, first 2 shown]
	s_mov_b32 s33, 0
	s_waitcnt vmcnt(4)
	v_and_b32_e32 v25, 0xffffff, v26
	v_ashrrev_i32_e32 v26, 24, v26
	s_branch .LBB216_10
.LBB216_8:                              ;   in Loop: Header=BB216_10 Depth=2
	s_or_b32 exec_lo, exec_lo, s13
	s_add_i32 s33, s33, 1
	s_delay_alu instid0(SALU_CYCLE_1)
	s_cmp_eq_u32 s10, s33
	s_cselect_b32 s12, -1, 0
.LBB216_9:                              ;   in Loop: Header=BB216_10 Depth=2
	s_delay_alu instid0(SALU_CYCLE_1)
	s_and_b32 vcc_lo, exec_lo, s12
	s_cbranch_vccnz .LBB216_2
.LBB216_10:                             ;   Parent Loop BB216_4 Depth=1
                                        ; =>  This Inner Loop Header: Depth=2
	s_delay_alu instid0(VALU_DEP_2) | instskip(NEXT) | instid1(VALU_DEP_2)
	v_readlane_b32 s13, v25, s33
	v_readlane_b32 s34, v26, s33
	s_mov_b32 s12, -1
	s_delay_alu instid0(VALU_DEP_2)
	s_cmp_ge_i32 s13, s5
	s_cbranch_scc1 .LBB216_9
; %bb.11:                               ;   in Loop: Header=BB216_10 Depth=2
	s_mul_hi_i32 s37, s13, s24
	s_mul_i32 s36, s13, s24
	s_mul_i32 s40, s34, s25
	s_lshl_b64 s[36:37], s[36:37], 1
	s_ashr_i32 s41, s40, 31
	s_add_u32 s12, s20, s36
	s_addc_u32 s35, s21, s37
	s_lshl_b64 s[36:37], s[40:41], 1
	s_delay_alu instid0(SALU_CYCLE_1) | instskip(SKIP_1) | instid1(SALU_CYCLE_1)
	s_add_u32 s36, s12, s36
	s_addc_u32 s12, s35, s37
	s_and_b32 s37, s12, 0xffff
	s_clause 0x1
	buffer_load_b128 v[27:30], v18, s[36:39], 0 offen
	buffer_load_b128 v[40:43], v18, s[36:39], 16 offen
	s_waitcnt vmcnt(1)
	v_cvt_f32_f16_e32 v31, v27
	v_lshrrev_b32_e32 v27, 16, v27
	v_cvt_f32_f16_e32 v32, v28
	v_lshrrev_b32_e32 v28, 16, v28
	;; [unrolled: 2-line block ×3, first 2 shown]
	v_cvt_f32_f16_e32 v27, v27
	v_cvt_f32_f16_e32 v44, v30
	;; [unrolled: 1-line block ×3, first 2 shown]
	v_mul_f32_e32 v36, v12, v31
	v_lshrrev_b32_e32 v30, 16, v30
	v_dual_mul_f32 v37, v13, v27 :: v_dual_mul_f32 v38, v14, v32
	v_cvt_f32_f16_e32 v29, v29
	v_mul_f32_e32 v39, v15, v28
	s_waitcnt vmcnt(0)
	v_cvt_f32_f16_e32 v45, v40
	v_max3_f32 v28, |v36|, 0x2edbe6ff, |v37|
	v_lshrrev_b32_e32 v40, 16, v40
	v_cvt_f32_f16_e32 v30, v30
	v_mul_f32_e32 v34, v8, v33
	v_mul_f32_e32 v35, v9, v29
	v_max3_f32 v28, v28, |v38|, |v39|
	v_cvt_f32_f16_e32 v27, v41
	v_lshrrev_b32_e32 v31, 16, v41
	v_cvt_f32_f16_e32 v29, v40
	v_dual_mul_f32 v40, v10, v44 :: v_dual_mul_f32 v41, v11, v30
	v_max3_f32 v28, v28, |v34|, |v35|
	v_cvt_f32_f16_e32 v32, v42
	v_lshrrev_b32_e32 v30, 16, v42
	v_cvt_f32_f16_e32 v31, v31
	v_mul_f32_e32 v42, v4, v45
	v_mul_f32_e32 v33, v5, v29
	v_max3_f32 v28, v28, |v40|, |v41|
	v_lshrrev_b32_e32 v44, 16, v43
	v_cvt_f32_f16_e32 v45, v30
	v_mul_f32_e32 v30, v7, v31
	v_mul_f32_e32 v29, v6, v27
	v_max3_f32 v27, v28, |v42|, |v33|
	v_cvt_f32_f16_e32 v28, v43
	v_cvt_f32_f16_e32 v43, v44
	v_dual_mul_f32 v31, v0, v32 :: v_dual_mul_f32 v32, v1, v45
	s_delay_alu instid0(VALU_DEP_4) | instskip(NEXT) | instid1(VALU_DEP_3)
	v_max3_f32 v44, v27, |v29|, |v30|
	v_dual_mul_f32 v27, v2, v28 :: v_dual_mul_f32 v28, v3, v43
	s_delay_alu instid0(VALU_DEP_2) | instskip(NEXT) | instid1(VALU_DEP_1)
	v_max3_f32 v43, v44, |v31|, |v32|
	v_max3_f32 v43, v43, |v27|, |v28|
	s_delay_alu instid0(VALU_DEP_1) | instskip(NEXT) | instid1(VALU_DEP_1)
	v_mov_b32_dpp v44, v43 quad_perm:[1,0,3,2] row_mask:0xf bank_mask:0xf
	v_cmp_gt_f32_e32 vcc_lo, v43, v44
	v_cndmask_b32_e32 v43, v44, v43, vcc_lo
	s_delay_alu instid0(VALU_DEP_1) | instskip(NEXT) | instid1(VALU_DEP_1)
	v_mov_b32_dpp v44, v43 quad_perm:[2,3,0,1] row_mask:0xf bank_mask:0xf
	v_cmp_gt_f32_e32 vcc_lo, v43, v44
	v_cndmask_b32_e32 v43, v44, v43, vcc_lo
	s_delay_alu instid0(VALU_DEP_1) | instskip(NEXT) | instid1(VALU_DEP_1)
	v_mov_b32_dpp v44, v43 row_xmask:7 row_mask:0xf bank_mask:0xf
	v_cmp_gt_f32_e32 vcc_lo, v43, v44
	v_cndmask_b32_e32 v43, v44, v43, vcc_lo
	s_delay_alu instid0(VALU_DEP_1) | instskip(NEXT) | instid1(VALU_DEP_1)
	v_mov_b32_dpp v44, v43 row_xmask:15 row_mask:0xf bank_mask:0xf
	v_cmp_gt_f32_e32 vcc_lo, v43, v44
	s_and_saveexec_b32 s12, s1
	s_cbranch_execz .LBB216_13
; %bb.12:                               ;   in Loop: Header=BB216_10 Depth=2
	v_cndmask_b32_e32 v43, v44, v43, vcc_lo
	s_delay_alu instid0(VALU_DEP_1) | instskip(NEXT) | instid1(VALU_DEP_1)
	v_permlanex16_b32 v44, v43, s27, 0xfedcba98 op_sel:[1,1]
	v_cmp_gt_f32_e32 vcc_lo, v43, v44
	v_cndmask_b32_e32 v43, v44, v43, vcc_lo
	ds_store_b32 v22, v43
.LBB216_13:                             ;   in Loop: Header=BB216_10 Depth=2
	s_or_b32 exec_lo, exec_lo, s12
	s_waitcnt lgkmcnt(0)
	s_waitcnt_vscnt null, 0x0
	s_barrier
	buffer_gl0_inv
	ds_load_b32 v43, v23
	s_mov_b32 s35, -1
                                        ; implicit-def: $sgpr12
	s_waitcnt lgkmcnt(0)
	v_mov_b32_dpp v44, v43 quad_perm:[1,0,3,2] row_mask:0xf bank_mask:0xf
	s_delay_alu instid0(VALU_DEP_1) | instskip(SKIP_1) | instid1(VALU_DEP_1)
	v_cmp_gt_f32_e32 vcc_lo, v43, v44
	v_cndmask_b32_e32 v43, v44, v43, vcc_lo
	v_mov_b32_dpp v44, v43 quad_perm:[2,3,0,1] row_mask:0xf bank_mask:0xf
	s_delay_alu instid0(VALU_DEP_1) | instskip(SKIP_1) | instid1(VALU_DEP_1)
	v_cmp_gt_f32_e32 vcc_lo, v43, v44
	v_cndmask_b32_e32 v43, v44, v43, vcc_lo
	v_mov_b32_dpp v44, v43 row_xmask:7 row_mask:0xf bank_mask:0xf
	s_delay_alu instid0(VALU_DEP_1) | instskip(SKIP_2) | instid1(VALU_DEP_1)
	v_cmp_gt_f32_e32 vcc_lo, v43, v44
	v_cndmask_b32_e32 v43, v44, v43, vcc_lo
	s_and_b32 vcc_lo, exec_lo, s14
	v_mov_b32_dpp v44, v43 row_xmask:15 row_mask:0xf bank_mask:0xf
	s_cbranch_vccz .LBB216_15
; %bb.14:                               ;   in Loop: Header=BB216_10 Depth=2
	s_mul_i32 s12, s13, s9
	s_mov_b32 s35, 0
	s_add_i32 s12, s12, s34
.LBB216_15:                             ;   in Loop: Header=BB216_10 Depth=2
	s_and_not1_b32 vcc_lo, exec_lo, s35
	s_cbranch_vccnz .LBB216_17
; %bb.16:                               ;   in Loop: Header=BB216_10 Depth=2
	s_mul_i32 s12, s34, s5
	s_delay_alu instid0(SALU_CYCLE_1)
	s_add_i32 s12, s12, s13
.LBB216_17:                             ;   in Loop: Header=BB216_10 Depth=2
	s_delay_alu instid0(VALU_DEP_1) | instskip(SKIP_1) | instid1(VALU_DEP_1)
	v_cmp_gt_f32_e32 vcc_lo, v43, v44
	v_cndmask_b32_e32 v43, v44, v43, vcc_lo
	v_mul_f32_e32 v43, 0x3b124925, v43
	s_and_saveexec_b32 s34, s0
	s_cbranch_execz .LBB216_19
; %bb.18:                               ;   in Loop: Header=BB216_10 Depth=2
	s_ashr_i32 s13, s12, 31
	s_delay_alu instid0(SALU_CYCLE_1) | instskip(NEXT) | instid1(SALU_CYCLE_1)
	s_lshl_b64 s[36:37], s[12:13], 2
	s_add_u32 s36, s18, s36
	s_addc_u32 s37, s19, s37
	global_store_b32 v19, v43, s[36:37]
.LBB216_19:                             ;   in Loop: Header=BB216_10 Depth=2
	s_or_b32 exec_lo, exec_lo, s34
	s_and_saveexec_b32 s13, s2
	s_cbranch_execz .LBB216_8
; %bb.20:                               ;   in Loop: Header=BB216_10 Depth=2
	v_rcp_f32_e32 v43, v43
	s_mul_i32 s34, s12, s8
	s_mul_hi_i32 s12, s12, s8
	s_add_u32 s48, s16, s34
	s_addc_u32 s12, s17, s12
	s_mov_b32 s51, s39
	s_and_b32 s49, s12, 0xffff
	s_waitcnt_depctr 0xfff
	v_mul_f32_e32 v36, v36, v43
	v_mul_f32_e32 v37, v37, v43
	v_mul_f32_e32 v38, v38, v43
	v_mul_f32_e32 v39, v39, v43
	;;#ASMSTART
	v_med3_f32 v36, v36, v20, v24
v_med3_f32 v37, v37, v20, v24
v_cvt_pk_fp8_f32 v44, v36, v37
	;;#ASMEND
	;;#ASMSTART
	v_med3_f32 v38, v38, v20, v24
v_med3_f32 v39, v39, v20, v24
v_cvt_pk_fp8_f32 v36, v38, v39
	;;#ASMEND
	v_perm_b32 v37, v36, v44, 0x5040100
	v_mul_f32_e32 v34, v34, v43
	v_mul_f32_e32 v35, v35, v43
	;; [unrolled: 1-line block ×5, first 2 shown]
	;;#ASMSTART
	v_med3_f32 v34, v34, v20, v24
v_med3_f32 v35, v35, v20, v24
v_cvt_pk_fp8_f32 v33, v34, v35
	;;#ASMEND
	v_mul_f32_e32 v42, v42, v43
	;;#ASMSTART
	v_med3_f32 v40, v40, v20, v24
v_med3_f32 v41, v41, v20, v24
v_cvt_pk_fp8_f32 v34, v40, v41
	;;#ASMEND
	v_mul_f32_e32 v29, v29, v43
	v_mul_f32_e32 v30, v30, v43
	v_perm_b32 v34, v33, v34, 0x1000504
	v_perm_b32 v33, v37, v36, 0x1060504
	v_mul_f32_e32 v31, v31, v43
	v_mul_f32_e32 v32, v32, v43
	;; [unrolled: 1-line block ×4, first 2 shown]
	;;#ASMSTART
	v_med3_f32 v42, v42, v20, v24
v_med3_f32 v38, v38, v20, v24
v_cvt_pk_fp8_f32 v35, v42, v38
	;;#ASMEND
	;;#ASMSTART
	v_med3_f32 v29, v29, v20, v24
v_med3_f32 v30, v30, v20, v24
v_cvt_pk_fp8_f32 v36, v29, v30
	;;#ASMEND
	v_perm_b32 v35, v35, v36, 0x1000504
	;;#ASMSTART
	v_med3_f32 v31, v31, v20, v24
v_med3_f32 v32, v32, v20, v24
v_cvt_pk_fp8_f32 v29, v31, v32
	;;#ASMEND
	;;#ASMSTART
	v_med3_f32 v27, v27, v20, v24
v_med3_f32 v28, v28, v20, v24
v_cvt_pk_fp8_f32 v30, v27, v28
	;;#ASMEND
	v_perm_b32 v36, v29, v30, 0x1000504
	buffer_store_b128 v[33:36], v16, s[48:51], 0 offen
	;;#ASMSTART
	s_nop 0
	;;#ASMEND
	s_branch .LBB216_8
.LBB216_21:
	s_nop 0
	s_sendmsg sendmsg(MSG_DEALLOC_VGPRS)
	s_endpgm
	.section	.rodata,"a",@progbits
	.p2align	6, 0x0
	.amdhsa_kernel _ZN5aiter43moe_smooth_per_token_scaled_quant_kernel_v2IDF16_DB8_Li512ELi16EEEvPT0_PfPT_S4_PiS7_S7_iiiiiiiiiibb
		.amdhsa_group_segment_fixed_size 64
		.amdhsa_private_segment_fixed_size 0
		.amdhsa_kernarg_size 100
		.amdhsa_user_sgpr_count 15
		.amdhsa_user_sgpr_dispatch_ptr 0
		.amdhsa_user_sgpr_queue_ptr 0
		.amdhsa_user_sgpr_kernarg_segment_ptr 1
		.amdhsa_user_sgpr_dispatch_id 0
		.amdhsa_user_sgpr_private_segment_size 0
		.amdhsa_wavefront_size32 1
		.amdhsa_uses_dynamic_stack 0
		.amdhsa_enable_private_segment 0
		.amdhsa_system_sgpr_workgroup_id_x 1
		.amdhsa_system_sgpr_workgroup_id_y 0
		.amdhsa_system_sgpr_workgroup_id_z 0
		.amdhsa_system_sgpr_workgroup_info 0
		.amdhsa_system_vgpr_workitem_id 0
		.amdhsa_next_free_vgpr 46
		.amdhsa_next_free_sgpr 52
		.amdhsa_reserve_vcc 1
		.amdhsa_float_round_mode_32 0
		.amdhsa_float_round_mode_16_64 0
		.amdhsa_float_denorm_mode_32 3
		.amdhsa_float_denorm_mode_16_64 3
		.amdhsa_dx10_clamp 1
		.amdhsa_ieee_mode 1
		.amdhsa_fp16_overflow 0
		.amdhsa_workgroup_processor_mode 1
		.amdhsa_memory_ordered 1
		.amdhsa_forward_progress 0
		.amdhsa_shared_vgpr_count 0
		.amdhsa_exception_fp_ieee_invalid_op 0
		.amdhsa_exception_fp_denorm_src 0
		.amdhsa_exception_fp_ieee_div_zero 0
		.amdhsa_exception_fp_ieee_overflow 0
		.amdhsa_exception_fp_ieee_underflow 0
		.amdhsa_exception_fp_ieee_inexact 0
		.amdhsa_exception_int_div_zero 0
	.end_amdhsa_kernel
	.section	.text._ZN5aiter43moe_smooth_per_token_scaled_quant_kernel_v2IDF16_DB8_Li512ELi16EEEvPT0_PfPT_S4_PiS7_S7_iiiiiiiiiibb,"axG",@progbits,_ZN5aiter43moe_smooth_per_token_scaled_quant_kernel_v2IDF16_DB8_Li512ELi16EEEvPT0_PfPT_S4_PiS7_S7_iiiiiiiiiibb,comdat
.Lfunc_end216:
	.size	_ZN5aiter43moe_smooth_per_token_scaled_quant_kernel_v2IDF16_DB8_Li512ELi16EEEvPT0_PfPT_S4_PiS7_S7_iiiiiiiiiibb, .Lfunc_end216-_ZN5aiter43moe_smooth_per_token_scaled_quant_kernel_v2IDF16_DB8_Li512ELi16EEEvPT0_PfPT_S4_PiS7_S7_iiiiiiiiiibb
                                        ; -- End function
	.section	.AMDGPU.csdata,"",@progbits
; Kernel info:
; codeLenInByte = 1888
; NumSgprs: 54
; NumVgprs: 46
; ScratchSize: 0
; MemoryBound: 0
; FloatMode: 240
; IeeeMode: 1
; LDSByteSize: 64 bytes/workgroup (compile time only)
; SGPRBlocks: 6
; VGPRBlocks: 5
; NumSGPRsForWavesPerEU: 54
; NumVGPRsForWavesPerEU: 46
; Occupancy: 16
; WaveLimiterHint : 0
; COMPUTE_PGM_RSRC2:SCRATCH_EN: 0
; COMPUTE_PGM_RSRC2:USER_SGPR: 15
; COMPUTE_PGM_RSRC2:TRAP_HANDLER: 0
; COMPUTE_PGM_RSRC2:TGID_X_EN: 1
; COMPUTE_PGM_RSRC2:TGID_Y_EN: 0
; COMPUTE_PGM_RSRC2:TGID_Z_EN: 0
; COMPUTE_PGM_RSRC2:TIDIG_COMP_CNT: 0
	.section	.text._ZN5aiter43moe_smooth_per_token_scaled_quant_kernel_v2ItDB8_Li512ELi16EEEvPT0_PfPT_S4_PiS7_S7_iiiiiiiiiibb,"axG",@progbits,_ZN5aiter43moe_smooth_per_token_scaled_quant_kernel_v2ItDB8_Li512ELi16EEEvPT0_PfPT_S4_PiS7_S7_iiiiiiiiiibb,comdat
	.protected	_ZN5aiter43moe_smooth_per_token_scaled_quant_kernel_v2ItDB8_Li512ELi16EEEvPT0_PfPT_S4_PiS7_S7_iiiiiiiiiibb ; -- Begin function _ZN5aiter43moe_smooth_per_token_scaled_quant_kernel_v2ItDB8_Li512ELi16EEEvPT0_PfPT_S4_PiS7_S7_iiiiiiiiiibb
	.globl	_ZN5aiter43moe_smooth_per_token_scaled_quant_kernel_v2ItDB8_Li512ELi16EEEvPT0_PfPT_S4_PiS7_S7_iiiiiiiiiibb
	.p2align	8
	.type	_ZN5aiter43moe_smooth_per_token_scaled_quant_kernel_v2ItDB8_Li512ELi16EEEvPT0_PfPT_S4_PiS7_S7_iiiiiiiiiibb,@function
_ZN5aiter43moe_smooth_per_token_scaled_quant_kernel_v2ItDB8_Li512ELi16EEEvPT0_PfPT_S4_PiS7_S7_iiiiiiiiiibb: ; @_ZN5aiter43moe_smooth_per_token_scaled_quant_kernel_v2ItDB8_Li512ELi16EEEvPT0_PfPT_S4_PiS7_S7_iiiiiiiiiibb
; %bb.0:
	s_load_b256 s[4:11], s[0:1], 0x38
	s_waitcnt lgkmcnt(0)
	s_cmp_ge_i32 s15, s6
	s_cbranch_scc1 .LBB217_21
; %bb.1:
	s_clause 0x3
	s_load_b128 s[24:27], s[0:1], 0x58
	s_load_b64 s[2:3], s[0:1], 0x30
	s_load_b128 s[28:31], s[0:1], 0x20
	s_load_b256 s[16:23], s[0:1], 0x0
	v_dual_mov_b32 v20, 0xc3e00000 :: v_dual_and_b32 v1, 31, v0
	v_lshrrev_b32_e32 v2, 3, v0
	v_and_b32_e32 v3, 15, v0
	v_dual_mov_b32 v19, 0 :: v_dual_lshlrev_b32 v16, 4, v0
	v_dual_mov_b32 v24, 0x43e00000 :: v_dual_lshlrev_b32 v17, 6, v0
	v_lshlrev_b32_e32 v18, 5, v0
	v_cmp_eq_u32_e64 s0, 0, v0
	v_lshlrev_b32_e32 v21, 2, v1
	v_cmp_eq_u32_e64 s1, 31, v1
	v_and_b32_e32 v22, 0x7c, v2
	v_lshlrev_b32_e32 v23, 2, v3
	s_mov_b32 s39, -1
	s_waitcnt lgkmcnt(0)
	s_bitcmp1_b32 s26, 8
	s_load_b32 s3, s[2:3], 0x0
	s_cselect_b32 s2, -1, 0
	s_ashr_i32 s10, s10, s11
	s_lshl_b32 s42, s8, 2
	s_xor_b32 s14, s2, -1
	s_lshl_b32 s46, s10, 2
	s_cmp_gt_i32 s10, 0
	s_cselect_b32 s26, -1, 0
	s_add_i32 s2, s8, 15
	s_add_i32 s12, s8, 3
	s_ashr_i32 s13, s2, 31
	s_ashr_i32 s27, s12, 31
	s_lshr_b32 s13, s13, 28
	s_lshl_b32 s38, s8, 1
	s_add_i32 s2, s2, s13
	s_lshr_b32 s13, s27, 30
	s_ashr_i32 s2, s2, 4
	s_add_i32 s12, s12, s13
	v_cmp_gt_u32_e64 s2, s2, v0
	s_and_b32 s50, s12, -4
	s_mov_b32 s27, 0x76543210
	s_branch .LBB217_4
.LBB217_2:                              ;   in Loop: Header=BB217_4 Depth=1
	s_mov_b32 s13, -1
.LBB217_3:                              ;   in Loop: Header=BB217_4 Depth=1
	s_add_i32 s15, s15, s7
	s_delay_alu instid0(SALU_CYCLE_1) | instskip(SKIP_1) | instid1(SALU_CYCLE_1)
	s_cmp_lt_i32 s15, s6
	s_cselect_b32 s12, -1, 0
	s_and_b32 s12, s13, s12
	s_delay_alu instid0(SALU_CYCLE_1)
	s_and_b32 vcc_lo, exec_lo, s12
	s_cbranch_vccz .LBB217_21
.LBB217_4:                              ; =>This Loop Header: Depth=1
                                        ;     Child Loop BB217_10 Depth 2
	s_mul_i32 s12, s15, s10
	s_mov_b32 s13, 0
	s_waitcnt lgkmcnt(0)
	s_cmp_ge_i32 s12, s3
	s_cbranch_scc1 .LBB217_3
; %bb.5:                                ;   in Loop: Header=BB217_4 Depth=1
	s_ashr_i32 s34, s15, s11
	s_delay_alu instid0(SALU_CYCLE_1) | instskip(NEXT) | instid1(SALU_CYCLE_1)
	s_ashr_i32 s35, s34, 31
	s_lshl_b64 s[34:35], s[34:35], 2
	s_delay_alu instid0(SALU_CYCLE_1)
	s_add_u32 s34, s30, s34
	s_addc_u32 s35, s31, s35
	s_load_b32 s33, s[34:35], 0x0
	s_waitcnt lgkmcnt(0)
	s_cmp_ge_i32 s33, s4
	s_cbranch_scc1 .LBB217_3
; %bb.6:                                ;   in Loop: Header=BB217_4 Depth=1
	s_and_not1_b32 vcc_lo, exec_lo, s26
	s_cbranch_vccnz .LBB217_2
; %bb.7:                                ;   in Loop: Header=BB217_4 Depth=1
	s_ashr_i32 s13, s12, 31
	s_mul_i32 s34, s33, s8
	s_lshl_b64 s[12:13], s[12:13], 2
	s_mov_b32 s47, s39
	s_add_u32 s44, s28, s12
	s_addc_u32 s12, s29, s13
	s_ashr_i32 s35, s34, 31
	s_and_b32 s45, s12, 0xffff
	s_lshl_b64 s[12:13], s[34:35], 2
	buffer_load_b32 v26, v21, s[44:47], 0 offen
	s_add_u32 s40, s22, s12
	s_addc_u32 s12, s23, s13
	s_mov_b32 s43, s39
	s_and_b32 s41, s12, 0xffff
	s_clause 0x3
	buffer_load_b128 v[0:3], v17, s[40:43], 48 offen
	buffer_load_b128 v[4:7], v17, s[40:43], 32 offen
	buffer_load_b128 v[8:11], v17, s[40:43], 16 offen
	buffer_load_b128 v[12:15], v17, s[40:43], 0 offen
	s_mov_b32 s33, 0
	s_waitcnt vmcnt(4)
	v_and_b32_e32 v25, 0xffffff, v26
	v_ashrrev_i32_e32 v26, 24, v26
	s_branch .LBB217_10
.LBB217_8:                              ;   in Loop: Header=BB217_10 Depth=2
	s_or_b32 exec_lo, exec_lo, s13
	s_add_i32 s33, s33, 1
	s_delay_alu instid0(SALU_CYCLE_1)
	s_cmp_eq_u32 s10, s33
	s_cselect_b32 s12, -1, 0
.LBB217_9:                              ;   in Loop: Header=BB217_10 Depth=2
	s_delay_alu instid0(SALU_CYCLE_1)
	s_and_b32 vcc_lo, exec_lo, s12
	s_cbranch_vccnz .LBB217_2
.LBB217_10:                             ;   Parent Loop BB217_4 Depth=1
                                        ; =>  This Inner Loop Header: Depth=2
	s_delay_alu instid0(VALU_DEP_2) | instskip(NEXT) | instid1(VALU_DEP_2)
	v_readlane_b32 s13, v25, s33
	v_readlane_b32 s34, v26, s33
	s_mov_b32 s12, -1
	s_delay_alu instid0(VALU_DEP_2)
	s_cmp_ge_i32 s13, s5
	s_cbranch_scc1 .LBB217_9
; %bb.11:                               ;   in Loop: Header=BB217_10 Depth=2
	s_mul_hi_i32 s37, s13, s24
	s_mul_i32 s36, s13, s24
	s_mul_i32 s40, s34, s25
	s_lshl_b64 s[36:37], s[36:37], 1
	s_ashr_i32 s41, s40, 31
	s_add_u32 s12, s20, s36
	s_addc_u32 s35, s21, s37
	s_lshl_b64 s[36:37], s[40:41], 1
	s_delay_alu instid0(SALU_CYCLE_1) | instskip(SKIP_1) | instid1(SALU_CYCLE_1)
	s_add_u32 s36, s12, s36
	s_addc_u32 s12, s35, s37
	s_and_b32 s37, s12, 0xffff
	s_clause 0x1
	buffer_load_b128 v[27:30], v18, s[36:39], 0 offen
	buffer_load_b128 v[31:34], v18, s[36:39], 16 offen
	s_waitcnt vmcnt(1)
	v_and_b32_e32 v35, 0xffff, v27
	v_lshrrev_b32_e32 v27, 16, v27
	s_waitcnt vmcnt(0)
	v_lshrrev_b32_e32 v44, 16, v33
	v_and_b32_e32 v45, 0xffff, v34
	v_lshrrev_b32_e32 v46, 16, v34
	v_cvt_f32_u32_e32 v27, v27
	v_and_b32_e32 v36, 0xffff, v28
	v_lshrrev_b32_e32 v28, 16, v28
	s_delay_alu instid0(VALU_DEP_3) | instskip(NEXT) | instid1(VALU_DEP_3)
	v_mul_f32_e32 v37, v13, v27
	v_cvt_f32_u32_e32 v34, v36
	s_delay_alu instid0(VALU_DEP_3)
	v_cvt_f32_u32_e32 v28, v28
	v_and_b32_e32 v38, 0xffff, v29
	v_lshrrev_b32_e32 v29, 16, v29
	v_and_b32_e32 v41, 0xffff, v31
	v_lshrrev_b32_e32 v31, 16, v31
	v_mul_f32_e32 v39, v15, v28
	v_cvt_f32_u32_e32 v27, v38
	v_dual_mul_f32 v38, v14, v34 :: v_dual_and_b32 v43, 0xffff, v33
	v_cvt_f32_u32_e32 v33, v35
	v_cvt_f32_u32_e32 v29, v29
	s_delay_alu instid0(VALU_DEP_4)
	v_mul_f32_e32 v34, v8, v27
	v_and_b32_e32 v40, 0xffff, v30
	v_lshrrev_b32_e32 v30, 16, v30
	v_mul_f32_e32 v36, v12, v33
	v_mul_f32_e32 v35, v9, v29
	v_cvt_f32_u32_e32 v29, v31
	v_cvt_f32_u32_e32 v33, v40
	;; [unrolled: 1-line block ×3, first 2 shown]
	v_max3_f32 v28, |v36|, 0x2edbe6ff, |v37|
	v_and_b32_e32 v42, 0xffff, v32
	v_lshrrev_b32_e32 v32, 16, v32
	v_mul_f32_e32 v40, v10, v33
	v_mul_f32_e32 v33, v5, v29
	v_max3_f32 v27, v28, |v38|, |v39|
	v_cvt_f32_u32_e32 v28, v41
	v_mul_f32_e32 v41, v11, v30
	v_cvt_f32_u32_e32 v30, v42
	v_cvt_f32_u32_e32 v31, v32
	v_max3_f32 v27, v27, |v34|, |v35|
	v_mul_f32_e32 v42, v4, v28
	v_cvt_f32_u32_e32 v28, v43
	v_cvt_f32_u32_e32 v32, v44
	v_dual_mul_f32 v29, v6, v30 :: v_dual_mul_f32 v30, v7, v31
	v_max3_f32 v27, v27, |v40|, |v41|
	v_cvt_f32_u32_e32 v43, v45
	v_cvt_f32_u32_e32 v44, v46
	v_mul_f32_e32 v31, v0, v28
	v_mul_f32_e32 v32, v1, v32
	v_max3_f32 v27, v27, |v42|, |v33|
	s_delay_alu instid0(VALU_DEP_4) | instskip(NEXT) | instid1(VALU_DEP_2)
	v_mul_f32_e32 v28, v3, v44
	v_max3_f32 v45, v27, |v29|, |v30|
	v_mul_f32_e32 v27, v2, v43
	s_delay_alu instid0(VALU_DEP_2) | instskip(NEXT) | instid1(VALU_DEP_1)
	v_max3_f32 v43, v45, |v31|, |v32|
	v_max3_f32 v43, v43, |v27|, |v28|
	s_delay_alu instid0(VALU_DEP_1) | instskip(NEXT) | instid1(VALU_DEP_1)
	v_mov_b32_dpp v44, v43 quad_perm:[1,0,3,2] row_mask:0xf bank_mask:0xf
	v_cmp_gt_f32_e32 vcc_lo, v43, v44
	v_cndmask_b32_e32 v43, v44, v43, vcc_lo
	s_delay_alu instid0(VALU_DEP_1) | instskip(NEXT) | instid1(VALU_DEP_1)
	v_mov_b32_dpp v44, v43 quad_perm:[2,3,0,1] row_mask:0xf bank_mask:0xf
	v_cmp_gt_f32_e32 vcc_lo, v43, v44
	v_cndmask_b32_e32 v43, v44, v43, vcc_lo
	s_delay_alu instid0(VALU_DEP_1) | instskip(NEXT) | instid1(VALU_DEP_1)
	v_mov_b32_dpp v44, v43 row_xmask:7 row_mask:0xf bank_mask:0xf
	v_cmp_gt_f32_e32 vcc_lo, v43, v44
	v_cndmask_b32_e32 v43, v44, v43, vcc_lo
	s_delay_alu instid0(VALU_DEP_1) | instskip(NEXT) | instid1(VALU_DEP_1)
	v_mov_b32_dpp v44, v43 row_xmask:15 row_mask:0xf bank_mask:0xf
	v_cmp_gt_f32_e32 vcc_lo, v43, v44
	s_and_saveexec_b32 s12, s1
	s_cbranch_execz .LBB217_13
; %bb.12:                               ;   in Loop: Header=BB217_10 Depth=2
	v_cndmask_b32_e32 v43, v44, v43, vcc_lo
	s_delay_alu instid0(VALU_DEP_1) | instskip(NEXT) | instid1(VALU_DEP_1)
	v_permlanex16_b32 v44, v43, s27, 0xfedcba98 op_sel:[1,1]
	v_cmp_gt_f32_e32 vcc_lo, v43, v44
	v_cndmask_b32_e32 v43, v44, v43, vcc_lo
	ds_store_b32 v22, v43
.LBB217_13:                             ;   in Loop: Header=BB217_10 Depth=2
	s_or_b32 exec_lo, exec_lo, s12
	s_waitcnt lgkmcnt(0)
	s_waitcnt_vscnt null, 0x0
	s_barrier
	buffer_gl0_inv
	ds_load_b32 v43, v23
	s_mov_b32 s35, -1
                                        ; implicit-def: $sgpr12
	s_waitcnt lgkmcnt(0)
	v_mov_b32_dpp v44, v43 quad_perm:[1,0,3,2] row_mask:0xf bank_mask:0xf
	s_delay_alu instid0(VALU_DEP_1) | instskip(SKIP_1) | instid1(VALU_DEP_1)
	v_cmp_gt_f32_e32 vcc_lo, v43, v44
	v_cndmask_b32_e32 v43, v44, v43, vcc_lo
	v_mov_b32_dpp v44, v43 quad_perm:[2,3,0,1] row_mask:0xf bank_mask:0xf
	s_delay_alu instid0(VALU_DEP_1) | instskip(SKIP_1) | instid1(VALU_DEP_1)
	v_cmp_gt_f32_e32 vcc_lo, v43, v44
	v_cndmask_b32_e32 v43, v44, v43, vcc_lo
	v_mov_b32_dpp v44, v43 row_xmask:7 row_mask:0xf bank_mask:0xf
	s_delay_alu instid0(VALU_DEP_1) | instskip(SKIP_2) | instid1(VALU_DEP_1)
	v_cmp_gt_f32_e32 vcc_lo, v43, v44
	v_cndmask_b32_e32 v43, v44, v43, vcc_lo
	s_and_b32 vcc_lo, exec_lo, s14
	v_mov_b32_dpp v44, v43 row_xmask:15 row_mask:0xf bank_mask:0xf
	s_cbranch_vccz .LBB217_15
; %bb.14:                               ;   in Loop: Header=BB217_10 Depth=2
	s_mul_i32 s12, s13, s9
	s_mov_b32 s35, 0
	s_add_i32 s12, s12, s34
.LBB217_15:                             ;   in Loop: Header=BB217_10 Depth=2
	s_and_not1_b32 vcc_lo, exec_lo, s35
	s_cbranch_vccnz .LBB217_17
; %bb.16:                               ;   in Loop: Header=BB217_10 Depth=2
	s_mul_i32 s12, s34, s5
	s_delay_alu instid0(SALU_CYCLE_1)
	s_add_i32 s12, s12, s13
.LBB217_17:                             ;   in Loop: Header=BB217_10 Depth=2
	s_delay_alu instid0(VALU_DEP_1) | instskip(SKIP_1) | instid1(VALU_DEP_1)
	v_cmp_gt_f32_e32 vcc_lo, v43, v44
	v_cndmask_b32_e32 v43, v44, v43, vcc_lo
	v_mul_f32_e32 v43, 0x3b124925, v43
	s_and_saveexec_b32 s34, s0
	s_cbranch_execz .LBB217_19
; %bb.18:                               ;   in Loop: Header=BB217_10 Depth=2
	s_ashr_i32 s13, s12, 31
	s_delay_alu instid0(SALU_CYCLE_1) | instskip(NEXT) | instid1(SALU_CYCLE_1)
	s_lshl_b64 s[36:37], s[12:13], 2
	s_add_u32 s36, s18, s36
	s_addc_u32 s37, s19, s37
	global_store_b32 v19, v43, s[36:37]
.LBB217_19:                             ;   in Loop: Header=BB217_10 Depth=2
	s_or_b32 exec_lo, exec_lo, s34
	s_and_saveexec_b32 s13, s2
	s_cbranch_execz .LBB217_8
; %bb.20:                               ;   in Loop: Header=BB217_10 Depth=2
	v_rcp_f32_e32 v43, v43
	s_mul_i32 s34, s12, s8
	s_mul_hi_i32 s12, s12, s8
	s_add_u32 s48, s16, s34
	s_addc_u32 s12, s17, s12
	s_mov_b32 s51, s39
	s_and_b32 s49, s12, 0xffff
	s_waitcnt_depctr 0xfff
	v_mul_f32_e32 v36, v36, v43
	v_mul_f32_e32 v37, v37, v43
	;; [unrolled: 1-line block ×4, first 2 shown]
	;;#ASMSTART
	v_med3_f32 v36, v36, v20, v24
v_med3_f32 v37, v37, v20, v24
v_cvt_pk_fp8_f32 v44, v36, v37
	;;#ASMEND
	;;#ASMSTART
	v_med3_f32 v38, v38, v20, v24
v_med3_f32 v39, v39, v20, v24
v_cvt_pk_fp8_f32 v36, v38, v39
	;;#ASMEND
	v_perm_b32 v37, v36, v44, 0x5040100
	v_mul_f32_e32 v34, v34, v43
	v_mul_f32_e32 v35, v35, v43
	;; [unrolled: 1-line block ×5, first 2 shown]
	;;#ASMSTART
	v_med3_f32 v34, v34, v20, v24
v_med3_f32 v35, v35, v20, v24
v_cvt_pk_fp8_f32 v33, v34, v35
	;;#ASMEND
	v_mul_f32_e32 v42, v42, v43
	;;#ASMSTART
	v_med3_f32 v40, v40, v20, v24
v_med3_f32 v41, v41, v20, v24
v_cvt_pk_fp8_f32 v34, v40, v41
	;;#ASMEND
	v_mul_f32_e32 v29, v29, v43
	v_mul_f32_e32 v30, v30, v43
	v_perm_b32 v34, v33, v34, 0x1000504
	v_perm_b32 v33, v37, v36, 0x1060504
	v_mul_f32_e32 v31, v31, v43
	v_mul_f32_e32 v32, v32, v43
	;; [unrolled: 1-line block ×4, first 2 shown]
	;;#ASMSTART
	v_med3_f32 v42, v42, v20, v24
v_med3_f32 v38, v38, v20, v24
v_cvt_pk_fp8_f32 v35, v42, v38
	;;#ASMEND
	;;#ASMSTART
	v_med3_f32 v29, v29, v20, v24
v_med3_f32 v30, v30, v20, v24
v_cvt_pk_fp8_f32 v36, v29, v30
	;;#ASMEND
	v_perm_b32 v35, v35, v36, 0x1000504
	;;#ASMSTART
	v_med3_f32 v31, v31, v20, v24
v_med3_f32 v32, v32, v20, v24
v_cvt_pk_fp8_f32 v29, v31, v32
	;;#ASMEND
	;;#ASMSTART
	v_med3_f32 v27, v27, v20, v24
v_med3_f32 v28, v28, v20, v24
v_cvt_pk_fp8_f32 v30, v27, v28
	;;#ASMEND
	v_perm_b32 v36, v29, v30, 0x1000504
	buffer_store_b128 v[33:36], v16, s[48:51], 0 offen
	;;#ASMSTART
	s_nop 0
	;;#ASMEND
	s_branch .LBB217_8
.LBB217_21:
	s_nop 0
	s_sendmsg sendmsg(MSG_DEALLOC_VGPRS)
	s_endpgm
	.section	.rodata,"a",@progbits
	.p2align	6, 0x0
	.amdhsa_kernel _ZN5aiter43moe_smooth_per_token_scaled_quant_kernel_v2ItDB8_Li512ELi16EEEvPT0_PfPT_S4_PiS7_S7_iiiiiiiiiibb
		.amdhsa_group_segment_fixed_size 64
		.amdhsa_private_segment_fixed_size 0
		.amdhsa_kernarg_size 100
		.amdhsa_user_sgpr_count 15
		.amdhsa_user_sgpr_dispatch_ptr 0
		.amdhsa_user_sgpr_queue_ptr 0
		.amdhsa_user_sgpr_kernarg_segment_ptr 1
		.amdhsa_user_sgpr_dispatch_id 0
		.amdhsa_user_sgpr_private_segment_size 0
		.amdhsa_wavefront_size32 1
		.amdhsa_uses_dynamic_stack 0
		.amdhsa_enable_private_segment 0
		.amdhsa_system_sgpr_workgroup_id_x 1
		.amdhsa_system_sgpr_workgroup_id_y 0
		.amdhsa_system_sgpr_workgroup_id_z 0
		.amdhsa_system_sgpr_workgroup_info 0
		.amdhsa_system_vgpr_workitem_id 0
		.amdhsa_next_free_vgpr 47
		.amdhsa_next_free_sgpr 52
		.amdhsa_reserve_vcc 1
		.amdhsa_float_round_mode_32 0
		.amdhsa_float_round_mode_16_64 0
		.amdhsa_float_denorm_mode_32 3
		.amdhsa_float_denorm_mode_16_64 3
		.amdhsa_dx10_clamp 1
		.amdhsa_ieee_mode 1
		.amdhsa_fp16_overflow 0
		.amdhsa_workgroup_processor_mode 1
		.amdhsa_memory_ordered 1
		.amdhsa_forward_progress 0
		.amdhsa_shared_vgpr_count 0
		.amdhsa_exception_fp_ieee_invalid_op 0
		.amdhsa_exception_fp_denorm_src 0
		.amdhsa_exception_fp_ieee_div_zero 0
		.amdhsa_exception_fp_ieee_overflow 0
		.amdhsa_exception_fp_ieee_underflow 0
		.amdhsa_exception_fp_ieee_inexact 0
		.amdhsa_exception_int_div_zero 0
	.end_amdhsa_kernel
	.section	.text._ZN5aiter43moe_smooth_per_token_scaled_quant_kernel_v2ItDB8_Li512ELi16EEEvPT0_PfPT_S4_PiS7_S7_iiiiiiiiiibb,"axG",@progbits,_ZN5aiter43moe_smooth_per_token_scaled_quant_kernel_v2ItDB8_Li512ELi16EEEvPT0_PfPT_S4_PiS7_S7_iiiiiiiiiibb,comdat
.Lfunc_end217:
	.size	_ZN5aiter43moe_smooth_per_token_scaled_quant_kernel_v2ItDB8_Li512ELi16EEEvPT0_PfPT_S4_PiS7_S7_iiiiiiiiiibb, .Lfunc_end217-_ZN5aiter43moe_smooth_per_token_scaled_quant_kernel_v2ItDB8_Li512ELi16EEEvPT0_PfPT_S4_PiS7_S7_iiiiiiiiiibb
                                        ; -- End function
	.section	.AMDGPU.csdata,"",@progbits
; Kernel info:
; codeLenInByte = 1964
; NumSgprs: 54
; NumVgprs: 47
; ScratchSize: 0
; MemoryBound: 0
; FloatMode: 240
; IeeeMode: 1
; LDSByteSize: 64 bytes/workgroup (compile time only)
; SGPRBlocks: 6
; VGPRBlocks: 5
; NumSGPRsForWavesPerEU: 54
; NumVGPRsForWavesPerEU: 47
; Occupancy: 16
; WaveLimiterHint : 0
; COMPUTE_PGM_RSRC2:SCRATCH_EN: 0
; COMPUTE_PGM_RSRC2:USER_SGPR: 15
; COMPUTE_PGM_RSRC2:TRAP_HANDLER: 0
; COMPUTE_PGM_RSRC2:TGID_X_EN: 1
; COMPUTE_PGM_RSRC2:TGID_Y_EN: 0
; COMPUTE_PGM_RSRC2:TGID_Z_EN: 0
; COMPUTE_PGM_RSRC2:TIDIG_COMP_CNT: 0
	.section	.text._ZN5aiter43moe_smooth_per_token_scaled_quant_kernel_v2IDF16_aLi128ELi8EEEvPT0_PfPT_S3_PiS6_S6_iiiiiiiiiibb,"axG",@progbits,_ZN5aiter43moe_smooth_per_token_scaled_quant_kernel_v2IDF16_aLi128ELi8EEEvPT0_PfPT_S3_PiS6_S6_iiiiiiiiiibb,comdat
	.protected	_ZN5aiter43moe_smooth_per_token_scaled_quant_kernel_v2IDF16_aLi128ELi8EEEvPT0_PfPT_S3_PiS6_S6_iiiiiiiiiibb ; -- Begin function _ZN5aiter43moe_smooth_per_token_scaled_quant_kernel_v2IDF16_aLi128ELi8EEEvPT0_PfPT_S3_PiS6_S6_iiiiiiiiiibb
	.globl	_ZN5aiter43moe_smooth_per_token_scaled_quant_kernel_v2IDF16_aLi128ELi8EEEvPT0_PfPT_S3_PiS6_S6_iiiiiiiiiibb
	.p2align	8
	.type	_ZN5aiter43moe_smooth_per_token_scaled_quant_kernel_v2IDF16_aLi128ELi8EEEvPT0_PfPT_S3_PiS6_S6_iiiiiiiiiibb,@function
_ZN5aiter43moe_smooth_per_token_scaled_quant_kernel_v2IDF16_aLi128ELi8EEEvPT0_PfPT_S3_PiS6_S6_iiiiiiiiiibb: ; @_ZN5aiter43moe_smooth_per_token_scaled_quant_kernel_v2IDF16_aLi128ELi8EEEvPT0_PfPT_S3_PiS6_S6_iiiiiiiiiibb
; %bb.0:
	s_load_b256 s[4:11], s[0:1], 0x38
	s_waitcnt lgkmcnt(0)
	s_cmp_ge_i32 s15, s6
	s_cbranch_scc1 .LBB218_21
; %bb.1:
	s_clause 0x3
	s_load_b128 s[24:27], s[0:1], 0x58
	s_load_b64 s[2:3], s[0:1], 0x30
	s_load_b128 s[28:31], s[0:1], 0x20
	s_load_b256 s[16:23], s[0:1], 0x0
	v_dual_mov_b32 v14, 0 :: v_dual_and_b32 v1, 31, v0
	v_lshrrev_b32_e32 v2, 3, v0
	v_and_b32_e32 v3, 3, v0
	v_lshlrev_b32_e32 v8, 3, v0
	v_lshlrev_b32_e32 v9, 5, v0
	;; [unrolled: 1-line block ×3, first 2 shown]
	v_cmp_eq_u32_e64 s0, 0, v0
	v_lshlrev_b32_e32 v11, 2, v1
	v_cmp_eq_u32_e64 s1, 31, v1
	v_and_b32_e32 v12, 0x7c, v2
	v_lshlrev_b32_e32 v13, 2, v3
	s_mov_b32 s39, -1
	s_waitcnt lgkmcnt(0)
	s_bitcmp1_b32 s26, 8
	s_load_b32 s3, s[2:3], 0x0
	s_cselect_b32 s2, -1, 0
	s_ashr_i32 s10, s10, s11
	s_lshl_b32 s42, s8, 2
	s_xor_b32 s14, s2, -1
	s_lshl_b32 s46, s10, 2
	s_cmp_gt_i32 s10, 0
	s_cselect_b32 s26, -1, 0
	s_add_i32 s2, s8, 7
	s_add_i32 s12, s8, 3
	s_ashr_i32 s13, s2, 31
	s_ashr_i32 s27, s12, 31
	s_lshr_b32 s13, s13, 29
	s_lshl_b32 s38, s8, 1
	s_add_i32 s2, s2, s13
	s_lshr_b32 s13, s27, 30
	s_ashr_i32 s2, s2, 3
	s_add_i32 s12, s12, s13
	v_cmp_gt_u32_e64 s2, s2, v0
	s_and_b32 s50, s12, -4
	s_mov_b32 s27, 0x76543210
	s_branch .LBB218_4
.LBB218_2:                              ;   in Loop: Header=BB218_4 Depth=1
	s_mov_b32 s13, -1
.LBB218_3:                              ;   in Loop: Header=BB218_4 Depth=1
	s_add_i32 s15, s15, s7
	s_delay_alu instid0(SALU_CYCLE_1) | instskip(SKIP_1) | instid1(SALU_CYCLE_1)
	s_cmp_lt_i32 s15, s6
	s_cselect_b32 s12, -1, 0
	s_and_b32 s12, s13, s12
	s_delay_alu instid0(SALU_CYCLE_1)
	s_and_b32 vcc_lo, exec_lo, s12
	s_cbranch_vccz .LBB218_21
.LBB218_4:                              ; =>This Loop Header: Depth=1
                                        ;     Child Loop BB218_10 Depth 2
	s_mul_i32 s12, s15, s10
	s_mov_b32 s13, 0
	s_waitcnt lgkmcnt(0)
	s_cmp_ge_i32 s12, s3
	s_cbranch_scc1 .LBB218_3
; %bb.5:                                ;   in Loop: Header=BB218_4 Depth=1
	s_ashr_i32 s34, s15, s11
	s_delay_alu instid0(SALU_CYCLE_1) | instskip(NEXT) | instid1(SALU_CYCLE_1)
	s_ashr_i32 s35, s34, 31
	s_lshl_b64 s[34:35], s[34:35], 2
	s_delay_alu instid0(SALU_CYCLE_1)
	s_add_u32 s34, s30, s34
	s_addc_u32 s35, s31, s35
	s_load_b32 s33, s[34:35], 0x0
	s_waitcnt lgkmcnt(0)
	s_cmp_ge_i32 s33, s4
	s_cbranch_scc1 .LBB218_3
; %bb.6:                                ;   in Loop: Header=BB218_4 Depth=1
	s_and_not1_b32 vcc_lo, exec_lo, s26
	s_cbranch_vccnz .LBB218_2
; %bb.7:                                ;   in Loop: Header=BB218_4 Depth=1
	s_ashr_i32 s13, s12, 31
	s_mul_i32 s34, s33, s8
	s_lshl_b64 s[12:13], s[12:13], 2
	s_mov_b32 s47, s39
	s_add_u32 s44, s28, s12
	s_addc_u32 s12, s29, s13
	s_ashr_i32 s35, s34, 31
	s_and_b32 s45, s12, 0xffff
	s_lshl_b64 s[12:13], s[34:35], 2
	buffer_load_b32 v16, v11, s[44:47], 0 offen
	s_add_u32 s40, s22, s12
	s_addc_u32 s12, s23, s13
	s_mov_b32 s43, s39
	s_and_b32 s41, s12, 0xffff
	s_clause 0x1
	buffer_load_b128 v[0:3], v9, s[40:43], 16 offen
	buffer_load_b128 v[4:7], v9, s[40:43], 0 offen
	s_mov_b32 s33, 0
	s_waitcnt vmcnt(2)
	v_and_b32_e32 v15, 0xffffff, v16
	v_ashrrev_i32_e32 v16, 24, v16
	s_branch .LBB218_10
.LBB218_8:                              ;   in Loop: Header=BB218_10 Depth=2
	s_or_b32 exec_lo, exec_lo, s13
	s_add_i32 s33, s33, 1
	s_delay_alu instid0(SALU_CYCLE_1)
	s_cmp_eq_u32 s10, s33
	s_cselect_b32 s12, -1, 0
.LBB218_9:                              ;   in Loop: Header=BB218_10 Depth=2
	s_delay_alu instid0(SALU_CYCLE_1)
	s_and_b32 vcc_lo, exec_lo, s12
	s_cbranch_vccnz .LBB218_2
.LBB218_10:                             ;   Parent Loop BB218_4 Depth=1
                                        ; =>  This Inner Loop Header: Depth=2
	s_delay_alu instid0(VALU_DEP_2) | instskip(NEXT) | instid1(VALU_DEP_2)
	v_readlane_b32 s13, v15, s33
	v_readlane_b32 s34, v16, s33
	s_mov_b32 s12, -1
	s_delay_alu instid0(VALU_DEP_2)
	s_cmp_ge_i32 s13, s5
	s_cbranch_scc1 .LBB218_9
; %bb.11:                               ;   in Loop: Header=BB218_10 Depth=2
	s_mul_hi_i32 s37, s13, s24
	s_mul_i32 s36, s13, s24
	s_mul_i32 s40, s34, s25
	s_lshl_b64 s[36:37], s[36:37], 1
	s_ashr_i32 s41, s40, 31
	s_add_u32 s12, s20, s36
	s_addc_u32 s35, s21, s37
	s_lshl_b64 s[36:37], s[40:41], 1
	s_delay_alu instid0(SALU_CYCLE_1) | instskip(SKIP_1) | instid1(SALU_CYCLE_1)
	s_add_u32 s36, s12, s36
	s_addc_u32 s12, s35, s37
	s_and_b32 s37, s12, 0xffff
	buffer_load_b128 v[18:21], v10, s[36:39], 0 offen
	s_waitcnt vmcnt(0)
	v_lshrrev_b32_e32 v17, 16, v18
	v_cvt_f32_f16_e32 v18, v18
	v_lshrrev_b32_e32 v22, 16, v19
	v_cvt_f32_f16_e32 v19, v19
	v_cvt_f32_f16_e32 v24, v20
	;; [unrolled: 1-line block ×3, first 2 shown]
	v_lshrrev_b32_e32 v20, 16, v20
	v_cvt_f32_f16_e32 v22, v22
	v_mul_f32_e32 v17, v4, v18
	v_mul_f32_e32 v19, v6, v19
	;; [unrolled: 1-line block ×3, first 2 shown]
	v_lshrrev_b32_e32 v23, 16, v21
	v_cvt_f32_f16_e32 v25, v20
	v_mul_f32_e32 v20, v7, v22
	v_cvt_f32_f16_e32 v27, v21
	v_max3_f32 v26, |v17|, 0x2edbe6ff, |v18|
	v_cvt_f32_f16_e32 v28, v23
	v_dual_mul_f32 v21, v0, v24 :: v_dual_mul_f32 v22, v1, v25
	s_delay_alu instid0(VALU_DEP_4) | instskip(NEXT) | instid1(VALU_DEP_4)
	v_mul_f32_e32 v23, v2, v27
	v_max3_f32 v25, v26, |v19|, |v20|
	s_delay_alu instid0(VALU_DEP_4) | instskip(NEXT) | instid1(VALU_DEP_2)
	v_mul_f32_e32 v24, v3, v28
	v_max3_f32 v25, v25, |v21|, |v22|
	s_delay_alu instid0(VALU_DEP_1) | instskip(NEXT) | instid1(VALU_DEP_1)
	v_max3_f32 v25, v25, |v23|, |v24|
	v_mov_b32_dpp v26, v25 quad_perm:[1,0,3,2] row_mask:0xf bank_mask:0xf
	s_delay_alu instid0(VALU_DEP_1) | instskip(SKIP_1) | instid1(VALU_DEP_1)
	v_cmp_gt_f32_e32 vcc_lo, v25, v26
	v_cndmask_b32_e32 v25, v26, v25, vcc_lo
	v_mov_b32_dpp v26, v25 quad_perm:[2,3,0,1] row_mask:0xf bank_mask:0xf
	s_delay_alu instid0(VALU_DEP_1) | instskip(SKIP_1) | instid1(VALU_DEP_1)
	v_cmp_gt_f32_e32 vcc_lo, v25, v26
	v_cndmask_b32_e32 v25, v26, v25, vcc_lo
	v_mov_b32_dpp v26, v25 row_xmask:7 row_mask:0xf bank_mask:0xf
	s_delay_alu instid0(VALU_DEP_1) | instskip(SKIP_1) | instid1(VALU_DEP_1)
	v_cmp_gt_f32_e32 vcc_lo, v25, v26
	v_cndmask_b32_e32 v25, v26, v25, vcc_lo
	v_mov_b32_dpp v26, v25 row_xmask:15 row_mask:0xf bank_mask:0xf
	s_delay_alu instid0(VALU_DEP_1)
	v_cmp_gt_f32_e32 vcc_lo, v25, v26
	s_and_saveexec_b32 s12, s1
	s_cbranch_execz .LBB218_13
; %bb.12:                               ;   in Loop: Header=BB218_10 Depth=2
	v_cndmask_b32_e32 v25, v26, v25, vcc_lo
	s_delay_alu instid0(VALU_DEP_1) | instskip(NEXT) | instid1(VALU_DEP_1)
	v_permlanex16_b32 v26, v25, s27, 0xfedcba98 op_sel:[1,1]
	v_cmp_gt_f32_e32 vcc_lo, v25, v26
	v_cndmask_b32_e32 v25, v26, v25, vcc_lo
	ds_store_b32 v12, v25
.LBB218_13:                             ;   in Loop: Header=BB218_10 Depth=2
	s_or_b32 exec_lo, exec_lo, s12
	s_waitcnt lgkmcnt(0)
	s_waitcnt_vscnt null, 0x0
	s_barrier
	buffer_gl0_inv
	ds_load_b32 v25, v13
	s_mov_b32 s35, -1
                                        ; implicit-def: $sgpr12
	s_waitcnt lgkmcnt(0)
	v_mov_b32_dpp v26, v25 quad_perm:[1,0,3,2] row_mask:0xf bank_mask:0xf
	s_delay_alu instid0(VALU_DEP_1) | instskip(SKIP_2) | instid1(VALU_DEP_1)
	v_cmp_gt_f32_e32 vcc_lo, v25, v26
	v_cndmask_b32_e32 v25, v26, v25, vcc_lo
	s_and_b32 vcc_lo, exec_lo, s14
	v_mov_b32_dpp v26, v25 quad_perm:[2,3,0,1] row_mask:0xf bank_mask:0xf
	s_cbranch_vccz .LBB218_15
; %bb.14:                               ;   in Loop: Header=BB218_10 Depth=2
	s_mul_i32 s12, s13, s9
	s_mov_b32 s35, 0
	s_add_i32 s12, s12, s34
.LBB218_15:                             ;   in Loop: Header=BB218_10 Depth=2
	s_and_not1_b32 vcc_lo, exec_lo, s35
	s_cbranch_vccnz .LBB218_17
; %bb.16:                               ;   in Loop: Header=BB218_10 Depth=2
	s_mul_i32 s12, s34, s5
	s_delay_alu instid0(SALU_CYCLE_1)
	s_add_i32 s12, s12, s13
.LBB218_17:                             ;   in Loop: Header=BB218_10 Depth=2
	s_delay_alu instid0(VALU_DEP_1) | instskip(SKIP_1) | instid1(VALU_DEP_1)
	v_cmp_gt_f32_e32 vcc_lo, v25, v26
	v_cndmask_b32_e32 v25, v26, v25, vcc_lo
	v_mul_f32_e32 v25, 0x3c010204, v25
	s_and_saveexec_b32 s34, s0
	s_cbranch_execz .LBB218_19
; %bb.18:                               ;   in Loop: Header=BB218_10 Depth=2
	s_ashr_i32 s13, s12, 31
	s_delay_alu instid0(SALU_CYCLE_1) | instskip(NEXT) | instid1(SALU_CYCLE_1)
	s_lshl_b64 s[36:37], s[12:13], 2
	s_add_u32 s36, s18, s36
	s_addc_u32 s37, s19, s37
	global_store_b32 v14, v25, s[36:37]
.LBB218_19:                             ;   in Loop: Header=BB218_10 Depth=2
	s_or_b32 exec_lo, exec_lo, s34
	s_and_saveexec_b32 s13, s2
	s_cbranch_execz .LBB218_8
; %bb.20:                               ;   in Loop: Header=BB218_10 Depth=2
	v_rcp_f32_e32 v25, v25
	s_mul_i32 s34, s12, s8
	s_mul_hi_i32 s12, s12, s8
	s_add_u32 s48, s16, s34
	s_addc_u32 s12, s17, s12
	s_mov_b32 s51, s39
	s_and_b32 s49, s12, 0xffff
	s_waitcnt_depctr 0xfff
	v_mul_f32_e32 v21, v21, v25
	v_mul_f32_e32 v22, v22, v25
	;; [unrolled: 1-line block ×5, first 2 shown]
	v_cvt_i32_f32_e32 v21, v21
	v_cvt_i32_f32_e32 v22, v22
	;; [unrolled: 1-line block ×4, first 2 shown]
	v_mul_f32_e32 v18, v18, v25
	v_and_b32_e32 v21, 0xff, v21
	v_lshlrev_b16 v22, 8, v22
	v_and_b32_e32 v23, 0xff, v23
	v_lshlrev_b16 v24, 8, v24
	v_cvt_i32_f32_e32 v19, v19
	v_mul_f32_e32 v20, v20, v25
	v_or_b32_e32 v21, v21, v22
	v_cvt_i32_f32_e32 v18, v18
	v_or_b32_e32 v22, v23, v24
	v_and_b32_e32 v19, 0xff, v19
	v_mul_f32_e32 v17, v17, v25
	v_cvt_i32_f32_e32 v20, v20
	v_lshlrev_b16 v18, 8, v18
	s_delay_alu instid0(VALU_DEP_3) | instskip(NEXT) | instid1(VALU_DEP_3)
	v_cvt_i32_f32_e32 v17, v17
	v_lshlrev_b16 v20, 8, v20
	s_delay_alu instid0(VALU_DEP_2) | instskip(NEXT) | instid1(VALU_DEP_1)
	v_and_b32_e32 v17, 0xff, v17
	v_or_b32_e32 v17, v17, v18
	s_delay_alu instid0(VALU_DEP_3) | instskip(SKIP_2) | instid1(VALU_DEP_4)
	v_or_b32_e32 v18, v19, v20
	v_lshlrev_b32_e32 v20, 16, v22
	v_and_b32_e32 v19, 0xffff, v21
	v_and_b32_e32 v17, 0xffff, v17
	s_delay_alu instid0(VALU_DEP_4) | instskip(NEXT) | instid1(VALU_DEP_3)
	v_lshlrev_b32_e32 v21, 16, v18
	v_or_b32_e32 v18, v19, v20
	s_delay_alu instid0(VALU_DEP_2)
	v_or_b32_e32 v17, v17, v21
	buffer_store_b64 v[17:18], v8, s[48:51], 0 offen
	;;#ASMSTART
	s_nop 0
	;;#ASMEND
	s_branch .LBB218_8
.LBB218_21:
	s_nop 0
	s_sendmsg sendmsg(MSG_DEALLOC_VGPRS)
	s_endpgm
	.section	.rodata,"a",@progbits
	.p2align	6, 0x0
	.amdhsa_kernel _ZN5aiter43moe_smooth_per_token_scaled_quant_kernel_v2IDF16_aLi128ELi8EEEvPT0_PfPT_S3_PiS6_S6_iiiiiiiiiibb
		.amdhsa_group_segment_fixed_size 16
		.amdhsa_private_segment_fixed_size 0
		.amdhsa_kernarg_size 100
		.amdhsa_user_sgpr_count 15
		.amdhsa_user_sgpr_dispatch_ptr 0
		.amdhsa_user_sgpr_queue_ptr 0
		.amdhsa_user_sgpr_kernarg_segment_ptr 1
		.amdhsa_user_sgpr_dispatch_id 0
		.amdhsa_user_sgpr_private_segment_size 0
		.amdhsa_wavefront_size32 1
		.amdhsa_uses_dynamic_stack 0
		.amdhsa_enable_private_segment 0
		.amdhsa_system_sgpr_workgroup_id_x 1
		.amdhsa_system_sgpr_workgroup_id_y 0
		.amdhsa_system_sgpr_workgroup_id_z 0
		.amdhsa_system_sgpr_workgroup_info 0
		.amdhsa_system_vgpr_workitem_id 0
		.amdhsa_next_free_vgpr 29
		.amdhsa_next_free_sgpr 52
		.amdhsa_reserve_vcc 1
		.amdhsa_float_round_mode_32 0
		.amdhsa_float_round_mode_16_64 0
		.amdhsa_float_denorm_mode_32 3
		.amdhsa_float_denorm_mode_16_64 3
		.amdhsa_dx10_clamp 1
		.amdhsa_ieee_mode 1
		.amdhsa_fp16_overflow 0
		.amdhsa_workgroup_processor_mode 1
		.amdhsa_memory_ordered 1
		.amdhsa_forward_progress 0
		.amdhsa_shared_vgpr_count 0
		.amdhsa_exception_fp_ieee_invalid_op 0
		.amdhsa_exception_fp_denorm_src 0
		.amdhsa_exception_fp_ieee_div_zero 0
		.amdhsa_exception_fp_ieee_overflow 0
		.amdhsa_exception_fp_ieee_underflow 0
		.amdhsa_exception_fp_ieee_inexact 0
		.amdhsa_exception_int_div_zero 0
	.end_amdhsa_kernel
	.section	.text._ZN5aiter43moe_smooth_per_token_scaled_quant_kernel_v2IDF16_aLi128ELi8EEEvPT0_PfPT_S3_PiS6_S6_iiiiiiiiiibb,"axG",@progbits,_ZN5aiter43moe_smooth_per_token_scaled_quant_kernel_v2IDF16_aLi128ELi8EEEvPT0_PfPT_S3_PiS6_S6_iiiiiiiiiibb,comdat
.Lfunc_end218:
	.size	_ZN5aiter43moe_smooth_per_token_scaled_quant_kernel_v2IDF16_aLi128ELi8EEEvPT0_PfPT_S3_PiS6_S6_iiiiiiiiiibb, .Lfunc_end218-_ZN5aiter43moe_smooth_per_token_scaled_quant_kernel_v2IDF16_aLi128ELi8EEEvPT0_PfPT_S3_PiS6_S6_iiiiiiiiiibb
                                        ; -- End function
	.section	.AMDGPU.csdata,"",@progbits
; Kernel info:
; codeLenInByte = 1284
; NumSgprs: 54
; NumVgprs: 29
; ScratchSize: 0
; MemoryBound: 0
; FloatMode: 240
; IeeeMode: 1
; LDSByteSize: 16 bytes/workgroup (compile time only)
; SGPRBlocks: 6
; VGPRBlocks: 3
; NumSGPRsForWavesPerEU: 54
; NumVGPRsForWavesPerEU: 29
; Occupancy: 16
; WaveLimiterHint : 0
; COMPUTE_PGM_RSRC2:SCRATCH_EN: 0
; COMPUTE_PGM_RSRC2:USER_SGPR: 15
; COMPUTE_PGM_RSRC2:TRAP_HANDLER: 0
; COMPUTE_PGM_RSRC2:TGID_X_EN: 1
; COMPUTE_PGM_RSRC2:TGID_Y_EN: 0
; COMPUTE_PGM_RSRC2:TGID_Z_EN: 0
; COMPUTE_PGM_RSRC2:TIDIG_COMP_CNT: 0
	.section	.text._ZN5aiter43moe_smooth_per_token_scaled_quant_kernel_v2ItaLi128ELi8EEEvPT0_PfPT_S3_PiS6_S6_iiiiiiiiiibb,"axG",@progbits,_ZN5aiter43moe_smooth_per_token_scaled_quant_kernel_v2ItaLi128ELi8EEEvPT0_PfPT_S3_PiS6_S6_iiiiiiiiiibb,comdat
	.protected	_ZN5aiter43moe_smooth_per_token_scaled_quant_kernel_v2ItaLi128ELi8EEEvPT0_PfPT_S3_PiS6_S6_iiiiiiiiiibb ; -- Begin function _ZN5aiter43moe_smooth_per_token_scaled_quant_kernel_v2ItaLi128ELi8EEEvPT0_PfPT_S3_PiS6_S6_iiiiiiiiiibb
	.globl	_ZN5aiter43moe_smooth_per_token_scaled_quant_kernel_v2ItaLi128ELi8EEEvPT0_PfPT_S3_PiS6_S6_iiiiiiiiiibb
	.p2align	8
	.type	_ZN5aiter43moe_smooth_per_token_scaled_quant_kernel_v2ItaLi128ELi8EEEvPT0_PfPT_S3_PiS6_S6_iiiiiiiiiibb,@function
_ZN5aiter43moe_smooth_per_token_scaled_quant_kernel_v2ItaLi128ELi8EEEvPT0_PfPT_S3_PiS6_S6_iiiiiiiiiibb: ; @_ZN5aiter43moe_smooth_per_token_scaled_quant_kernel_v2ItaLi128ELi8EEEvPT0_PfPT_S3_PiS6_S6_iiiiiiiiiibb
; %bb.0:
	s_load_b256 s[4:11], s[0:1], 0x38
	s_waitcnt lgkmcnt(0)
	s_cmp_ge_i32 s15, s6
	s_cbranch_scc1 .LBB219_21
; %bb.1:
	s_clause 0x3
	s_load_b128 s[24:27], s[0:1], 0x58
	s_load_b64 s[2:3], s[0:1], 0x30
	s_load_b128 s[28:31], s[0:1], 0x20
	s_load_b256 s[16:23], s[0:1], 0x0
	v_dual_mov_b32 v14, 0 :: v_dual_and_b32 v1, 31, v0
	v_lshrrev_b32_e32 v2, 3, v0
	v_and_b32_e32 v3, 3, v0
	v_lshlrev_b32_e32 v8, 3, v0
	v_lshlrev_b32_e32 v9, 5, v0
	;; [unrolled: 1-line block ×3, first 2 shown]
	v_cmp_eq_u32_e64 s0, 0, v0
	v_lshlrev_b32_e32 v11, 2, v1
	v_cmp_eq_u32_e64 s1, 31, v1
	v_and_b32_e32 v12, 0x7c, v2
	v_lshlrev_b32_e32 v13, 2, v3
	s_mov_b32 s39, -1
	s_waitcnt lgkmcnt(0)
	s_bitcmp1_b32 s26, 8
	s_load_b32 s3, s[2:3], 0x0
	s_cselect_b32 s2, -1, 0
	s_ashr_i32 s10, s10, s11
	s_lshl_b32 s42, s8, 2
	s_xor_b32 s14, s2, -1
	s_lshl_b32 s46, s10, 2
	s_cmp_gt_i32 s10, 0
	s_cselect_b32 s26, -1, 0
	s_add_i32 s2, s8, 7
	s_add_i32 s12, s8, 3
	s_ashr_i32 s13, s2, 31
	s_ashr_i32 s27, s12, 31
	s_lshr_b32 s13, s13, 29
	s_lshl_b32 s38, s8, 1
	s_add_i32 s2, s2, s13
	s_lshr_b32 s13, s27, 30
	s_ashr_i32 s2, s2, 3
	s_add_i32 s12, s12, s13
	v_cmp_gt_u32_e64 s2, s2, v0
	s_and_b32 s50, s12, -4
	s_mov_b32 s27, 0x76543210
	s_branch .LBB219_4
.LBB219_2:                              ;   in Loop: Header=BB219_4 Depth=1
	s_mov_b32 s13, -1
.LBB219_3:                              ;   in Loop: Header=BB219_4 Depth=1
	s_add_i32 s15, s15, s7
	s_delay_alu instid0(SALU_CYCLE_1) | instskip(SKIP_1) | instid1(SALU_CYCLE_1)
	s_cmp_lt_i32 s15, s6
	s_cselect_b32 s12, -1, 0
	s_and_b32 s12, s13, s12
	s_delay_alu instid0(SALU_CYCLE_1)
	s_and_b32 vcc_lo, exec_lo, s12
	s_cbranch_vccz .LBB219_21
.LBB219_4:                              ; =>This Loop Header: Depth=1
                                        ;     Child Loop BB219_10 Depth 2
	s_mul_i32 s12, s15, s10
	s_mov_b32 s13, 0
	s_waitcnt lgkmcnt(0)
	s_cmp_ge_i32 s12, s3
	s_cbranch_scc1 .LBB219_3
; %bb.5:                                ;   in Loop: Header=BB219_4 Depth=1
	s_ashr_i32 s34, s15, s11
	s_delay_alu instid0(SALU_CYCLE_1) | instskip(NEXT) | instid1(SALU_CYCLE_1)
	s_ashr_i32 s35, s34, 31
	s_lshl_b64 s[34:35], s[34:35], 2
	s_delay_alu instid0(SALU_CYCLE_1)
	s_add_u32 s34, s30, s34
	s_addc_u32 s35, s31, s35
	s_load_b32 s33, s[34:35], 0x0
	s_waitcnt lgkmcnt(0)
	s_cmp_ge_i32 s33, s4
	s_cbranch_scc1 .LBB219_3
; %bb.6:                                ;   in Loop: Header=BB219_4 Depth=1
	s_and_not1_b32 vcc_lo, exec_lo, s26
	s_cbranch_vccnz .LBB219_2
; %bb.7:                                ;   in Loop: Header=BB219_4 Depth=1
	s_ashr_i32 s13, s12, 31
	s_mul_i32 s34, s33, s8
	s_lshl_b64 s[12:13], s[12:13], 2
	s_mov_b32 s47, s39
	s_add_u32 s44, s28, s12
	s_addc_u32 s12, s29, s13
	s_ashr_i32 s35, s34, 31
	s_and_b32 s45, s12, 0xffff
	s_lshl_b64 s[12:13], s[34:35], 2
	buffer_load_b32 v16, v11, s[44:47], 0 offen
	s_add_u32 s40, s22, s12
	s_addc_u32 s12, s23, s13
	s_mov_b32 s43, s39
	s_and_b32 s41, s12, 0xffff
	s_clause 0x1
	buffer_load_b128 v[0:3], v9, s[40:43], 16 offen
	buffer_load_b128 v[4:7], v9, s[40:43], 0 offen
	s_mov_b32 s33, 0
	s_waitcnt vmcnt(2)
	v_and_b32_e32 v15, 0xffffff, v16
	v_ashrrev_i32_e32 v16, 24, v16
	s_branch .LBB219_10
.LBB219_8:                              ;   in Loop: Header=BB219_10 Depth=2
	s_or_b32 exec_lo, exec_lo, s13
	s_add_i32 s33, s33, 1
	s_delay_alu instid0(SALU_CYCLE_1)
	s_cmp_eq_u32 s10, s33
	s_cselect_b32 s12, -1, 0
.LBB219_9:                              ;   in Loop: Header=BB219_10 Depth=2
	s_delay_alu instid0(SALU_CYCLE_1)
	s_and_b32 vcc_lo, exec_lo, s12
	s_cbranch_vccnz .LBB219_2
.LBB219_10:                             ;   Parent Loop BB219_4 Depth=1
                                        ; =>  This Inner Loop Header: Depth=2
	s_delay_alu instid0(VALU_DEP_2) | instskip(NEXT) | instid1(VALU_DEP_2)
	v_readlane_b32 s13, v15, s33
	v_readlane_b32 s34, v16, s33
	s_mov_b32 s12, -1
	s_delay_alu instid0(VALU_DEP_2)
	s_cmp_ge_i32 s13, s5
	s_cbranch_scc1 .LBB219_9
; %bb.11:                               ;   in Loop: Header=BB219_10 Depth=2
	s_mul_hi_i32 s37, s13, s24
	s_mul_i32 s36, s13, s24
	s_mul_i32 s40, s34, s25
	s_lshl_b64 s[36:37], s[36:37], 1
	s_ashr_i32 s41, s40, 31
	s_add_u32 s12, s20, s36
	s_addc_u32 s35, s21, s37
	s_lshl_b64 s[36:37], s[40:41], 1
	s_delay_alu instid0(SALU_CYCLE_1) | instskip(SKIP_1) | instid1(SALU_CYCLE_1)
	s_add_u32 s36, s12, s36
	s_addc_u32 s12, s35, s37
	s_and_b32 s37, s12, 0xffff
	buffer_load_b128 v[17:20], v10, s[36:39], 0 offen
	s_waitcnt vmcnt(0)
	v_and_b32_e32 v22, 0xffff, v18
	v_lshrrev_b32_e32 v18, 16, v18
	v_and_b32_e32 v24, 0xffff, v20
	v_lshrrev_b32_e32 v26, 16, v20
	s_delay_alu instid0(VALU_DEP_4) | instskip(NEXT) | instid1(VALU_DEP_4)
	v_cvt_f32_u32_e32 v20, v22
	v_cvt_f32_u32_e32 v22, v18
	v_and_b32_e32 v21, 0xffff, v17
	v_lshrrev_b32_e32 v17, 16, v17
	v_cvt_f32_u32_e32 v26, v26
	s_delay_alu instid0(VALU_DEP_3) | instskip(NEXT) | instid1(VALU_DEP_3)
	v_cvt_f32_u32_e32 v21, v21
	v_cvt_f32_u32_e32 v25, v17
	v_and_b32_e32 v23, 0xffff, v19
	v_lshrrev_b32_e32 v19, 16, v19
	s_delay_alu instid0(VALU_DEP_4) | instskip(NEXT) | instid1(VALU_DEP_4)
	v_mul_f32_e32 v17, v4, v21
	v_mul_f32_e32 v18, v5, v25
	s_delay_alu instid0(VALU_DEP_4) | instskip(NEXT) | instid1(VALU_DEP_4)
	v_cvt_f32_u32_e32 v21, v23
	v_cvt_f32_u32_e32 v23, v19
	v_dual_mul_f32 v19, v6, v20 :: v_dual_mul_f32 v20, v7, v22
	s_delay_alu instid0(VALU_DEP_4) | instskip(NEXT) | instid1(VALU_DEP_3)
	v_max3_f32 v25, |v17|, 0x2edbe6ff, |v18|
	v_dual_mul_f32 v21, v0, v21 :: v_dual_mul_f32 v22, v1, v23
	v_cvt_f32_u32_e32 v24, v24
	s_delay_alu instid0(VALU_DEP_3) | instskip(NEXT) | instid1(VALU_DEP_2)
	v_max3_f32 v25, v25, |v19|, |v20|
	v_dual_mul_f32 v23, v2, v24 :: v_dual_mul_f32 v24, v3, v26
	s_delay_alu instid0(VALU_DEP_2) | instskip(NEXT) | instid1(VALU_DEP_1)
	v_max3_f32 v25, v25, |v21|, |v22|
	v_max3_f32 v25, v25, |v23|, |v24|
	s_delay_alu instid0(VALU_DEP_1) | instskip(NEXT) | instid1(VALU_DEP_1)
	v_mov_b32_dpp v26, v25 quad_perm:[1,0,3,2] row_mask:0xf bank_mask:0xf
	v_cmp_gt_f32_e32 vcc_lo, v25, v26
	v_cndmask_b32_e32 v25, v26, v25, vcc_lo
	s_delay_alu instid0(VALU_DEP_1) | instskip(NEXT) | instid1(VALU_DEP_1)
	v_mov_b32_dpp v26, v25 quad_perm:[2,3,0,1] row_mask:0xf bank_mask:0xf
	v_cmp_gt_f32_e32 vcc_lo, v25, v26
	v_cndmask_b32_e32 v25, v26, v25, vcc_lo
	s_delay_alu instid0(VALU_DEP_1) | instskip(NEXT) | instid1(VALU_DEP_1)
	v_mov_b32_dpp v26, v25 row_xmask:7 row_mask:0xf bank_mask:0xf
	v_cmp_gt_f32_e32 vcc_lo, v25, v26
	v_cndmask_b32_e32 v25, v26, v25, vcc_lo
	s_delay_alu instid0(VALU_DEP_1) | instskip(NEXT) | instid1(VALU_DEP_1)
	v_mov_b32_dpp v26, v25 row_xmask:15 row_mask:0xf bank_mask:0xf
	v_cmp_gt_f32_e32 vcc_lo, v25, v26
	s_and_saveexec_b32 s12, s1
	s_cbranch_execz .LBB219_13
; %bb.12:                               ;   in Loop: Header=BB219_10 Depth=2
	v_cndmask_b32_e32 v25, v26, v25, vcc_lo
	s_delay_alu instid0(VALU_DEP_1) | instskip(NEXT) | instid1(VALU_DEP_1)
	v_permlanex16_b32 v26, v25, s27, 0xfedcba98 op_sel:[1,1]
	v_cmp_gt_f32_e32 vcc_lo, v25, v26
	v_cndmask_b32_e32 v25, v26, v25, vcc_lo
	ds_store_b32 v12, v25
.LBB219_13:                             ;   in Loop: Header=BB219_10 Depth=2
	s_or_b32 exec_lo, exec_lo, s12
	s_waitcnt lgkmcnt(0)
	s_waitcnt_vscnt null, 0x0
	s_barrier
	buffer_gl0_inv
	ds_load_b32 v25, v13
	s_mov_b32 s35, -1
                                        ; implicit-def: $sgpr12
	s_waitcnt lgkmcnt(0)
	v_mov_b32_dpp v26, v25 quad_perm:[1,0,3,2] row_mask:0xf bank_mask:0xf
	s_delay_alu instid0(VALU_DEP_1) | instskip(SKIP_2) | instid1(VALU_DEP_1)
	v_cmp_gt_f32_e32 vcc_lo, v25, v26
	v_cndmask_b32_e32 v25, v26, v25, vcc_lo
	s_and_b32 vcc_lo, exec_lo, s14
	v_mov_b32_dpp v26, v25 quad_perm:[2,3,0,1] row_mask:0xf bank_mask:0xf
	s_cbranch_vccz .LBB219_15
; %bb.14:                               ;   in Loop: Header=BB219_10 Depth=2
	s_mul_i32 s12, s13, s9
	s_mov_b32 s35, 0
	s_add_i32 s12, s12, s34
.LBB219_15:                             ;   in Loop: Header=BB219_10 Depth=2
	s_and_not1_b32 vcc_lo, exec_lo, s35
	s_cbranch_vccnz .LBB219_17
; %bb.16:                               ;   in Loop: Header=BB219_10 Depth=2
	s_mul_i32 s12, s34, s5
	s_delay_alu instid0(SALU_CYCLE_1)
	s_add_i32 s12, s12, s13
.LBB219_17:                             ;   in Loop: Header=BB219_10 Depth=2
	s_delay_alu instid0(VALU_DEP_1) | instskip(SKIP_1) | instid1(VALU_DEP_1)
	v_cmp_gt_f32_e32 vcc_lo, v25, v26
	v_cndmask_b32_e32 v25, v26, v25, vcc_lo
	v_mul_f32_e32 v25, 0x3c010204, v25
	s_and_saveexec_b32 s34, s0
	s_cbranch_execz .LBB219_19
; %bb.18:                               ;   in Loop: Header=BB219_10 Depth=2
	s_ashr_i32 s13, s12, 31
	s_delay_alu instid0(SALU_CYCLE_1) | instskip(NEXT) | instid1(SALU_CYCLE_1)
	s_lshl_b64 s[36:37], s[12:13], 2
	s_add_u32 s36, s18, s36
	s_addc_u32 s37, s19, s37
	global_store_b32 v14, v25, s[36:37]
.LBB219_19:                             ;   in Loop: Header=BB219_10 Depth=2
	s_or_b32 exec_lo, exec_lo, s34
	s_and_saveexec_b32 s13, s2
	s_cbranch_execz .LBB219_8
; %bb.20:                               ;   in Loop: Header=BB219_10 Depth=2
	v_rcp_f32_e32 v25, v25
	s_mul_i32 s34, s12, s8
	s_mul_hi_i32 s12, s12, s8
	s_add_u32 s48, s16, s34
	s_addc_u32 s12, s17, s12
	s_mov_b32 s51, s39
	s_and_b32 s49, s12, 0xffff
	s_waitcnt_depctr 0xfff
	v_mul_f32_e32 v21, v21, v25
	v_mul_f32_e32 v22, v22, v25
	;; [unrolled: 1-line block ×5, first 2 shown]
	v_cvt_i32_f32_e32 v21, v21
	v_cvt_i32_f32_e32 v22, v22
	;; [unrolled: 1-line block ×4, first 2 shown]
	v_mul_f32_e32 v18, v18, v25
	v_and_b32_e32 v21, 0xff, v21
	v_lshlrev_b16 v22, 8, v22
	v_and_b32_e32 v23, 0xff, v23
	v_lshlrev_b16 v24, 8, v24
	v_cvt_i32_f32_e32 v19, v19
	v_mul_f32_e32 v20, v20, v25
	v_or_b32_e32 v21, v21, v22
	v_cvt_i32_f32_e32 v18, v18
	v_or_b32_e32 v22, v23, v24
	v_and_b32_e32 v19, 0xff, v19
	v_mul_f32_e32 v17, v17, v25
	v_cvt_i32_f32_e32 v20, v20
	v_lshlrev_b16 v18, 8, v18
	s_delay_alu instid0(VALU_DEP_3) | instskip(NEXT) | instid1(VALU_DEP_3)
	v_cvt_i32_f32_e32 v17, v17
	v_lshlrev_b16 v20, 8, v20
	s_delay_alu instid0(VALU_DEP_2) | instskip(NEXT) | instid1(VALU_DEP_1)
	v_and_b32_e32 v17, 0xff, v17
	v_or_b32_e32 v17, v17, v18
	s_delay_alu instid0(VALU_DEP_3) | instskip(SKIP_2) | instid1(VALU_DEP_4)
	v_or_b32_e32 v18, v19, v20
	v_lshlrev_b32_e32 v20, 16, v22
	v_and_b32_e32 v19, 0xffff, v21
	v_and_b32_e32 v17, 0xffff, v17
	s_delay_alu instid0(VALU_DEP_4) | instskip(NEXT) | instid1(VALU_DEP_3)
	v_lshlrev_b32_e32 v21, 16, v18
	v_or_b32_e32 v18, v19, v20
	s_delay_alu instid0(VALU_DEP_2)
	v_or_b32_e32 v17, v17, v21
	buffer_store_b64 v[17:18], v8, s[48:51], 0 offen
	;;#ASMSTART
	s_nop 0
	;;#ASMEND
	s_branch .LBB219_8
.LBB219_21:
	s_nop 0
	s_sendmsg sendmsg(MSG_DEALLOC_VGPRS)
	s_endpgm
	.section	.rodata,"a",@progbits
	.p2align	6, 0x0
	.amdhsa_kernel _ZN5aiter43moe_smooth_per_token_scaled_quant_kernel_v2ItaLi128ELi8EEEvPT0_PfPT_S3_PiS6_S6_iiiiiiiiiibb
		.amdhsa_group_segment_fixed_size 16
		.amdhsa_private_segment_fixed_size 0
		.amdhsa_kernarg_size 100
		.amdhsa_user_sgpr_count 15
		.amdhsa_user_sgpr_dispatch_ptr 0
		.amdhsa_user_sgpr_queue_ptr 0
		.amdhsa_user_sgpr_kernarg_segment_ptr 1
		.amdhsa_user_sgpr_dispatch_id 0
		.amdhsa_user_sgpr_private_segment_size 0
		.amdhsa_wavefront_size32 1
		.amdhsa_uses_dynamic_stack 0
		.amdhsa_enable_private_segment 0
		.amdhsa_system_sgpr_workgroup_id_x 1
		.amdhsa_system_sgpr_workgroup_id_y 0
		.amdhsa_system_sgpr_workgroup_id_z 0
		.amdhsa_system_sgpr_workgroup_info 0
		.amdhsa_system_vgpr_workitem_id 0
		.amdhsa_next_free_vgpr 27
		.amdhsa_next_free_sgpr 52
		.amdhsa_reserve_vcc 1
		.amdhsa_float_round_mode_32 0
		.amdhsa_float_round_mode_16_64 0
		.amdhsa_float_denorm_mode_32 3
		.amdhsa_float_denorm_mode_16_64 3
		.amdhsa_dx10_clamp 1
		.amdhsa_ieee_mode 1
		.amdhsa_fp16_overflow 0
		.amdhsa_workgroup_processor_mode 1
		.amdhsa_memory_ordered 1
		.amdhsa_forward_progress 0
		.amdhsa_shared_vgpr_count 0
		.amdhsa_exception_fp_ieee_invalid_op 0
		.amdhsa_exception_fp_denorm_src 0
		.amdhsa_exception_fp_ieee_div_zero 0
		.amdhsa_exception_fp_ieee_overflow 0
		.amdhsa_exception_fp_ieee_underflow 0
		.amdhsa_exception_fp_ieee_inexact 0
		.amdhsa_exception_int_div_zero 0
	.end_amdhsa_kernel
	.section	.text._ZN5aiter43moe_smooth_per_token_scaled_quant_kernel_v2ItaLi128ELi8EEEvPT0_PfPT_S3_PiS6_S6_iiiiiiiiiibb,"axG",@progbits,_ZN5aiter43moe_smooth_per_token_scaled_quant_kernel_v2ItaLi128ELi8EEEvPT0_PfPT_S3_PiS6_S6_iiiiiiiiiibb,comdat
.Lfunc_end219:
	.size	_ZN5aiter43moe_smooth_per_token_scaled_quant_kernel_v2ItaLi128ELi8EEEvPT0_PfPT_S3_PiS6_S6_iiiiiiiiiibb, .Lfunc_end219-_ZN5aiter43moe_smooth_per_token_scaled_quant_kernel_v2ItaLi128ELi8EEEvPT0_PfPT_S3_PiS6_S6_iiiiiiiiiibb
                                        ; -- End function
	.section	.AMDGPU.csdata,"",@progbits
; Kernel info:
; codeLenInByte = 1332
; NumSgprs: 54
; NumVgprs: 27
; ScratchSize: 0
; MemoryBound: 0
; FloatMode: 240
; IeeeMode: 1
; LDSByteSize: 16 bytes/workgroup (compile time only)
; SGPRBlocks: 6
; VGPRBlocks: 3
; NumSGPRsForWavesPerEU: 54
; NumVGPRsForWavesPerEU: 27
; Occupancy: 16
; WaveLimiterHint : 0
; COMPUTE_PGM_RSRC2:SCRATCH_EN: 0
; COMPUTE_PGM_RSRC2:USER_SGPR: 15
; COMPUTE_PGM_RSRC2:TRAP_HANDLER: 0
; COMPUTE_PGM_RSRC2:TGID_X_EN: 1
; COMPUTE_PGM_RSRC2:TGID_Y_EN: 0
; COMPUTE_PGM_RSRC2:TGID_Z_EN: 0
; COMPUTE_PGM_RSRC2:TIDIG_COMP_CNT: 0
	.section	.text._ZN5aiter43moe_smooth_per_token_scaled_quant_kernel_v2IDF16_aLi256ELi8EEEvPT0_PfPT_S3_PiS6_S6_iiiiiiiiiibb,"axG",@progbits,_ZN5aiter43moe_smooth_per_token_scaled_quant_kernel_v2IDF16_aLi256ELi8EEEvPT0_PfPT_S3_PiS6_S6_iiiiiiiiiibb,comdat
	.protected	_ZN5aiter43moe_smooth_per_token_scaled_quant_kernel_v2IDF16_aLi256ELi8EEEvPT0_PfPT_S3_PiS6_S6_iiiiiiiiiibb ; -- Begin function _ZN5aiter43moe_smooth_per_token_scaled_quant_kernel_v2IDF16_aLi256ELi8EEEvPT0_PfPT_S3_PiS6_S6_iiiiiiiiiibb
	.globl	_ZN5aiter43moe_smooth_per_token_scaled_quant_kernel_v2IDF16_aLi256ELi8EEEvPT0_PfPT_S3_PiS6_S6_iiiiiiiiiibb
	.p2align	8
	.type	_ZN5aiter43moe_smooth_per_token_scaled_quant_kernel_v2IDF16_aLi256ELi8EEEvPT0_PfPT_S3_PiS6_S6_iiiiiiiiiibb,@function
_ZN5aiter43moe_smooth_per_token_scaled_quant_kernel_v2IDF16_aLi256ELi8EEEvPT0_PfPT_S3_PiS6_S6_iiiiiiiiiibb: ; @_ZN5aiter43moe_smooth_per_token_scaled_quant_kernel_v2IDF16_aLi256ELi8EEEvPT0_PfPT_S3_PiS6_S6_iiiiiiiiiibb
; %bb.0:
	s_load_b256 s[4:11], s[0:1], 0x38
	s_waitcnt lgkmcnt(0)
	s_cmp_ge_i32 s15, s6
	s_cbranch_scc1 .LBB220_21
; %bb.1:
	s_clause 0x3
	s_load_b128 s[24:27], s[0:1], 0x58
	s_load_b64 s[2:3], s[0:1], 0x30
	s_load_b128 s[28:31], s[0:1], 0x20
	s_load_b256 s[16:23], s[0:1], 0x0
	v_dual_mov_b32 v14, 0 :: v_dual_and_b32 v1, 31, v0
	v_lshrrev_b32_e32 v2, 3, v0
	v_and_b32_e32 v3, 7, v0
	v_lshlrev_b32_e32 v8, 3, v0
	v_lshlrev_b32_e32 v9, 5, v0
	;; [unrolled: 1-line block ×3, first 2 shown]
	v_cmp_eq_u32_e64 s0, 0, v0
	v_lshlrev_b32_e32 v11, 2, v1
	v_cmp_eq_u32_e64 s1, 31, v1
	v_and_b32_e32 v12, 0x7c, v2
	v_lshlrev_b32_e32 v13, 2, v3
	s_mov_b32 s39, -1
	s_waitcnt lgkmcnt(0)
	s_bitcmp1_b32 s26, 8
	s_load_b32 s3, s[2:3], 0x0
	s_cselect_b32 s2, -1, 0
	s_ashr_i32 s10, s10, s11
	s_lshl_b32 s42, s8, 2
	s_xor_b32 s14, s2, -1
	s_lshl_b32 s46, s10, 2
	s_cmp_gt_i32 s10, 0
	s_cselect_b32 s26, -1, 0
	s_add_i32 s2, s8, 7
	s_add_i32 s12, s8, 3
	s_ashr_i32 s13, s2, 31
	s_ashr_i32 s27, s12, 31
	s_lshr_b32 s13, s13, 29
	s_lshl_b32 s38, s8, 1
	s_add_i32 s2, s2, s13
	s_lshr_b32 s13, s27, 30
	s_ashr_i32 s2, s2, 3
	s_add_i32 s12, s12, s13
	v_cmp_gt_u32_e64 s2, s2, v0
	s_and_b32 s50, s12, -4
	s_mov_b32 s27, 0x76543210
	s_branch .LBB220_4
.LBB220_2:                              ;   in Loop: Header=BB220_4 Depth=1
	s_mov_b32 s13, -1
.LBB220_3:                              ;   in Loop: Header=BB220_4 Depth=1
	s_add_i32 s15, s15, s7
	s_delay_alu instid0(SALU_CYCLE_1) | instskip(SKIP_1) | instid1(SALU_CYCLE_1)
	s_cmp_lt_i32 s15, s6
	s_cselect_b32 s12, -1, 0
	s_and_b32 s12, s13, s12
	s_delay_alu instid0(SALU_CYCLE_1)
	s_and_b32 vcc_lo, exec_lo, s12
	s_cbranch_vccz .LBB220_21
.LBB220_4:                              ; =>This Loop Header: Depth=1
                                        ;     Child Loop BB220_10 Depth 2
	s_mul_i32 s12, s15, s10
	s_mov_b32 s13, 0
	s_waitcnt lgkmcnt(0)
	s_cmp_ge_i32 s12, s3
	s_cbranch_scc1 .LBB220_3
; %bb.5:                                ;   in Loop: Header=BB220_4 Depth=1
	s_ashr_i32 s34, s15, s11
	s_delay_alu instid0(SALU_CYCLE_1) | instskip(NEXT) | instid1(SALU_CYCLE_1)
	s_ashr_i32 s35, s34, 31
	s_lshl_b64 s[34:35], s[34:35], 2
	s_delay_alu instid0(SALU_CYCLE_1)
	s_add_u32 s34, s30, s34
	s_addc_u32 s35, s31, s35
	s_load_b32 s33, s[34:35], 0x0
	s_waitcnt lgkmcnt(0)
	s_cmp_ge_i32 s33, s4
	s_cbranch_scc1 .LBB220_3
; %bb.6:                                ;   in Loop: Header=BB220_4 Depth=1
	s_and_not1_b32 vcc_lo, exec_lo, s26
	s_cbranch_vccnz .LBB220_2
; %bb.7:                                ;   in Loop: Header=BB220_4 Depth=1
	s_ashr_i32 s13, s12, 31
	s_mul_i32 s34, s33, s8
	s_lshl_b64 s[12:13], s[12:13], 2
	s_mov_b32 s47, s39
	s_add_u32 s44, s28, s12
	s_addc_u32 s12, s29, s13
	s_ashr_i32 s35, s34, 31
	s_and_b32 s45, s12, 0xffff
	s_lshl_b64 s[12:13], s[34:35], 2
	buffer_load_b32 v16, v11, s[44:47], 0 offen
	s_add_u32 s40, s22, s12
	s_addc_u32 s12, s23, s13
	s_mov_b32 s43, s39
	s_and_b32 s41, s12, 0xffff
	s_clause 0x1
	buffer_load_b128 v[0:3], v9, s[40:43], 16 offen
	buffer_load_b128 v[4:7], v9, s[40:43], 0 offen
	s_mov_b32 s33, 0
	s_waitcnt vmcnt(2)
	v_and_b32_e32 v15, 0xffffff, v16
	v_ashrrev_i32_e32 v16, 24, v16
	s_branch .LBB220_10
.LBB220_8:                              ;   in Loop: Header=BB220_10 Depth=2
	s_or_b32 exec_lo, exec_lo, s13
	s_add_i32 s33, s33, 1
	s_delay_alu instid0(SALU_CYCLE_1)
	s_cmp_eq_u32 s10, s33
	s_cselect_b32 s12, -1, 0
.LBB220_9:                              ;   in Loop: Header=BB220_10 Depth=2
	s_delay_alu instid0(SALU_CYCLE_1)
	s_and_b32 vcc_lo, exec_lo, s12
	s_cbranch_vccnz .LBB220_2
.LBB220_10:                             ;   Parent Loop BB220_4 Depth=1
                                        ; =>  This Inner Loop Header: Depth=2
	s_delay_alu instid0(VALU_DEP_2) | instskip(NEXT) | instid1(VALU_DEP_2)
	v_readlane_b32 s13, v15, s33
	v_readlane_b32 s34, v16, s33
	s_mov_b32 s12, -1
	s_delay_alu instid0(VALU_DEP_2)
	s_cmp_ge_i32 s13, s5
	s_cbranch_scc1 .LBB220_9
; %bb.11:                               ;   in Loop: Header=BB220_10 Depth=2
	s_mul_hi_i32 s37, s13, s24
	s_mul_i32 s36, s13, s24
	s_mul_i32 s40, s34, s25
	s_lshl_b64 s[36:37], s[36:37], 1
	s_ashr_i32 s41, s40, 31
	s_add_u32 s12, s20, s36
	s_addc_u32 s35, s21, s37
	s_lshl_b64 s[36:37], s[40:41], 1
	s_delay_alu instid0(SALU_CYCLE_1) | instskip(SKIP_1) | instid1(SALU_CYCLE_1)
	s_add_u32 s36, s12, s36
	s_addc_u32 s12, s35, s37
	s_and_b32 s37, s12, 0xffff
	buffer_load_b128 v[18:21], v10, s[36:39], 0 offen
	s_waitcnt vmcnt(0)
	v_lshrrev_b32_e32 v17, 16, v18
	v_cvt_f32_f16_e32 v18, v18
	v_lshrrev_b32_e32 v22, 16, v19
	v_cvt_f32_f16_e32 v19, v19
	v_cvt_f32_f16_e32 v24, v20
	;; [unrolled: 1-line block ×3, first 2 shown]
	v_lshrrev_b32_e32 v20, 16, v20
	v_cvt_f32_f16_e32 v22, v22
	v_mul_f32_e32 v17, v4, v18
	v_mul_f32_e32 v19, v6, v19
	;; [unrolled: 1-line block ×3, first 2 shown]
	v_lshrrev_b32_e32 v23, 16, v21
	v_cvt_f32_f16_e32 v25, v20
	v_mul_f32_e32 v20, v7, v22
	v_cvt_f32_f16_e32 v27, v21
	v_max3_f32 v26, |v17|, 0x2edbe6ff, |v18|
	v_cvt_f32_f16_e32 v28, v23
	v_dual_mul_f32 v21, v0, v24 :: v_dual_mul_f32 v22, v1, v25
	s_delay_alu instid0(VALU_DEP_4) | instskip(NEXT) | instid1(VALU_DEP_4)
	v_mul_f32_e32 v23, v2, v27
	v_max3_f32 v25, v26, |v19|, |v20|
	s_delay_alu instid0(VALU_DEP_4) | instskip(NEXT) | instid1(VALU_DEP_2)
	v_mul_f32_e32 v24, v3, v28
	v_max3_f32 v25, v25, |v21|, |v22|
	s_delay_alu instid0(VALU_DEP_1) | instskip(NEXT) | instid1(VALU_DEP_1)
	v_max3_f32 v25, v25, |v23|, |v24|
	v_mov_b32_dpp v26, v25 quad_perm:[1,0,3,2] row_mask:0xf bank_mask:0xf
	s_delay_alu instid0(VALU_DEP_1) | instskip(SKIP_1) | instid1(VALU_DEP_1)
	v_cmp_gt_f32_e32 vcc_lo, v25, v26
	v_cndmask_b32_e32 v25, v26, v25, vcc_lo
	v_mov_b32_dpp v26, v25 quad_perm:[2,3,0,1] row_mask:0xf bank_mask:0xf
	s_delay_alu instid0(VALU_DEP_1) | instskip(SKIP_1) | instid1(VALU_DEP_1)
	v_cmp_gt_f32_e32 vcc_lo, v25, v26
	v_cndmask_b32_e32 v25, v26, v25, vcc_lo
	v_mov_b32_dpp v26, v25 row_xmask:7 row_mask:0xf bank_mask:0xf
	s_delay_alu instid0(VALU_DEP_1) | instskip(SKIP_1) | instid1(VALU_DEP_1)
	v_cmp_gt_f32_e32 vcc_lo, v25, v26
	v_cndmask_b32_e32 v25, v26, v25, vcc_lo
	v_mov_b32_dpp v26, v25 row_xmask:15 row_mask:0xf bank_mask:0xf
	s_delay_alu instid0(VALU_DEP_1)
	v_cmp_gt_f32_e32 vcc_lo, v25, v26
	s_and_saveexec_b32 s12, s1
	s_cbranch_execz .LBB220_13
; %bb.12:                               ;   in Loop: Header=BB220_10 Depth=2
	v_cndmask_b32_e32 v25, v26, v25, vcc_lo
	s_delay_alu instid0(VALU_DEP_1) | instskip(NEXT) | instid1(VALU_DEP_1)
	v_permlanex16_b32 v26, v25, s27, 0xfedcba98 op_sel:[1,1]
	v_cmp_gt_f32_e32 vcc_lo, v25, v26
	v_cndmask_b32_e32 v25, v26, v25, vcc_lo
	ds_store_b32 v12, v25
.LBB220_13:                             ;   in Loop: Header=BB220_10 Depth=2
	s_or_b32 exec_lo, exec_lo, s12
	s_waitcnt lgkmcnt(0)
	s_waitcnt_vscnt null, 0x0
	s_barrier
	buffer_gl0_inv
	ds_load_b32 v25, v13
	s_mov_b32 s35, -1
                                        ; implicit-def: $sgpr12
	s_waitcnt lgkmcnt(0)
	v_mov_b32_dpp v26, v25 quad_perm:[1,0,3,2] row_mask:0xf bank_mask:0xf
	s_delay_alu instid0(VALU_DEP_1) | instskip(SKIP_1) | instid1(VALU_DEP_1)
	v_cmp_gt_f32_e32 vcc_lo, v25, v26
	v_cndmask_b32_e32 v25, v26, v25, vcc_lo
	v_mov_b32_dpp v26, v25 quad_perm:[2,3,0,1] row_mask:0xf bank_mask:0xf
	s_delay_alu instid0(VALU_DEP_1) | instskip(SKIP_2) | instid1(VALU_DEP_1)
	v_cmp_gt_f32_e32 vcc_lo, v25, v26
	v_cndmask_b32_e32 v25, v26, v25, vcc_lo
	s_and_b32 vcc_lo, exec_lo, s14
	v_mov_b32_dpp v26, v25 row_xmask:7 row_mask:0xf bank_mask:0xf
	s_cbranch_vccz .LBB220_15
; %bb.14:                               ;   in Loop: Header=BB220_10 Depth=2
	s_mul_i32 s12, s13, s9
	s_mov_b32 s35, 0
	s_add_i32 s12, s12, s34
.LBB220_15:                             ;   in Loop: Header=BB220_10 Depth=2
	s_and_not1_b32 vcc_lo, exec_lo, s35
	s_cbranch_vccnz .LBB220_17
; %bb.16:                               ;   in Loop: Header=BB220_10 Depth=2
	s_mul_i32 s12, s34, s5
	s_delay_alu instid0(SALU_CYCLE_1)
	s_add_i32 s12, s12, s13
.LBB220_17:                             ;   in Loop: Header=BB220_10 Depth=2
	s_delay_alu instid0(VALU_DEP_1) | instskip(SKIP_1) | instid1(VALU_DEP_1)
	v_cmp_gt_f32_e32 vcc_lo, v25, v26
	v_cndmask_b32_e32 v25, v26, v25, vcc_lo
	v_mul_f32_e32 v25, 0x3c010204, v25
	s_and_saveexec_b32 s34, s0
	s_cbranch_execz .LBB220_19
; %bb.18:                               ;   in Loop: Header=BB220_10 Depth=2
	s_ashr_i32 s13, s12, 31
	s_delay_alu instid0(SALU_CYCLE_1) | instskip(NEXT) | instid1(SALU_CYCLE_1)
	s_lshl_b64 s[36:37], s[12:13], 2
	s_add_u32 s36, s18, s36
	s_addc_u32 s37, s19, s37
	global_store_b32 v14, v25, s[36:37]
.LBB220_19:                             ;   in Loop: Header=BB220_10 Depth=2
	s_or_b32 exec_lo, exec_lo, s34
	s_and_saveexec_b32 s13, s2
	s_cbranch_execz .LBB220_8
; %bb.20:                               ;   in Loop: Header=BB220_10 Depth=2
	v_rcp_f32_e32 v25, v25
	s_mul_i32 s34, s12, s8
	s_mul_hi_i32 s12, s12, s8
	s_add_u32 s48, s16, s34
	s_addc_u32 s12, s17, s12
	s_mov_b32 s51, s39
	s_and_b32 s49, s12, 0xffff
	s_waitcnt_depctr 0xfff
	v_mul_f32_e32 v21, v21, v25
	v_mul_f32_e32 v22, v22, v25
	;; [unrolled: 1-line block ×5, first 2 shown]
	v_cvt_i32_f32_e32 v21, v21
	v_cvt_i32_f32_e32 v22, v22
	;; [unrolled: 1-line block ×4, first 2 shown]
	v_mul_f32_e32 v18, v18, v25
	v_and_b32_e32 v21, 0xff, v21
	v_lshlrev_b16 v22, 8, v22
	v_and_b32_e32 v23, 0xff, v23
	v_lshlrev_b16 v24, 8, v24
	v_cvt_i32_f32_e32 v19, v19
	v_mul_f32_e32 v20, v20, v25
	v_or_b32_e32 v21, v21, v22
	v_cvt_i32_f32_e32 v18, v18
	v_or_b32_e32 v22, v23, v24
	v_and_b32_e32 v19, 0xff, v19
	v_mul_f32_e32 v17, v17, v25
	v_cvt_i32_f32_e32 v20, v20
	v_lshlrev_b16 v18, 8, v18
	s_delay_alu instid0(VALU_DEP_3) | instskip(NEXT) | instid1(VALU_DEP_3)
	v_cvt_i32_f32_e32 v17, v17
	v_lshlrev_b16 v20, 8, v20
	s_delay_alu instid0(VALU_DEP_2) | instskip(NEXT) | instid1(VALU_DEP_1)
	v_and_b32_e32 v17, 0xff, v17
	v_or_b32_e32 v17, v17, v18
	s_delay_alu instid0(VALU_DEP_3) | instskip(SKIP_2) | instid1(VALU_DEP_4)
	v_or_b32_e32 v18, v19, v20
	v_lshlrev_b32_e32 v20, 16, v22
	v_and_b32_e32 v19, 0xffff, v21
	v_and_b32_e32 v17, 0xffff, v17
	s_delay_alu instid0(VALU_DEP_4) | instskip(NEXT) | instid1(VALU_DEP_3)
	v_lshlrev_b32_e32 v21, 16, v18
	v_or_b32_e32 v18, v19, v20
	s_delay_alu instid0(VALU_DEP_2)
	v_or_b32_e32 v17, v17, v21
	buffer_store_b64 v[17:18], v8, s[48:51], 0 offen
	;;#ASMSTART
	s_nop 0
	;;#ASMEND
	s_branch .LBB220_8
.LBB220_21:
	s_nop 0
	s_sendmsg sendmsg(MSG_DEALLOC_VGPRS)
	s_endpgm
	.section	.rodata,"a",@progbits
	.p2align	6, 0x0
	.amdhsa_kernel _ZN5aiter43moe_smooth_per_token_scaled_quant_kernel_v2IDF16_aLi256ELi8EEEvPT0_PfPT_S3_PiS6_S6_iiiiiiiiiibb
		.amdhsa_group_segment_fixed_size 32
		.amdhsa_private_segment_fixed_size 0
		.amdhsa_kernarg_size 100
		.amdhsa_user_sgpr_count 15
		.amdhsa_user_sgpr_dispatch_ptr 0
		.amdhsa_user_sgpr_queue_ptr 0
		.amdhsa_user_sgpr_kernarg_segment_ptr 1
		.amdhsa_user_sgpr_dispatch_id 0
		.amdhsa_user_sgpr_private_segment_size 0
		.amdhsa_wavefront_size32 1
		.amdhsa_uses_dynamic_stack 0
		.amdhsa_enable_private_segment 0
		.amdhsa_system_sgpr_workgroup_id_x 1
		.amdhsa_system_sgpr_workgroup_id_y 0
		.amdhsa_system_sgpr_workgroup_id_z 0
		.amdhsa_system_sgpr_workgroup_info 0
		.amdhsa_system_vgpr_workitem_id 0
		.amdhsa_next_free_vgpr 29
		.amdhsa_next_free_sgpr 52
		.amdhsa_reserve_vcc 1
		.amdhsa_float_round_mode_32 0
		.amdhsa_float_round_mode_16_64 0
		.amdhsa_float_denorm_mode_32 3
		.amdhsa_float_denorm_mode_16_64 3
		.amdhsa_dx10_clamp 1
		.amdhsa_ieee_mode 1
		.amdhsa_fp16_overflow 0
		.amdhsa_workgroup_processor_mode 1
		.amdhsa_memory_ordered 1
		.amdhsa_forward_progress 0
		.amdhsa_shared_vgpr_count 0
		.amdhsa_exception_fp_ieee_invalid_op 0
		.amdhsa_exception_fp_denorm_src 0
		.amdhsa_exception_fp_ieee_div_zero 0
		.amdhsa_exception_fp_ieee_overflow 0
		.amdhsa_exception_fp_ieee_underflow 0
		.amdhsa_exception_fp_ieee_inexact 0
		.amdhsa_exception_int_div_zero 0
	.end_amdhsa_kernel
	.section	.text._ZN5aiter43moe_smooth_per_token_scaled_quant_kernel_v2IDF16_aLi256ELi8EEEvPT0_PfPT_S3_PiS6_S6_iiiiiiiiiibb,"axG",@progbits,_ZN5aiter43moe_smooth_per_token_scaled_quant_kernel_v2IDF16_aLi256ELi8EEEvPT0_PfPT_S3_PiS6_S6_iiiiiiiiiibb,comdat
.Lfunc_end220:
	.size	_ZN5aiter43moe_smooth_per_token_scaled_quant_kernel_v2IDF16_aLi256ELi8EEEvPT0_PfPT_S3_PiS6_S6_iiiiiiiiiibb, .Lfunc_end220-_ZN5aiter43moe_smooth_per_token_scaled_quant_kernel_v2IDF16_aLi256ELi8EEEvPT0_PfPT_S3_PiS6_S6_iiiiiiiiiibb
                                        ; -- End function
	.section	.AMDGPU.csdata,"",@progbits
; Kernel info:
; codeLenInByte = 1304
; NumSgprs: 54
; NumVgprs: 29
; ScratchSize: 0
; MemoryBound: 0
; FloatMode: 240
; IeeeMode: 1
; LDSByteSize: 32 bytes/workgroup (compile time only)
; SGPRBlocks: 6
; VGPRBlocks: 3
; NumSGPRsForWavesPerEU: 54
; NumVGPRsForWavesPerEU: 29
; Occupancy: 16
; WaveLimiterHint : 0
; COMPUTE_PGM_RSRC2:SCRATCH_EN: 0
; COMPUTE_PGM_RSRC2:USER_SGPR: 15
; COMPUTE_PGM_RSRC2:TRAP_HANDLER: 0
; COMPUTE_PGM_RSRC2:TGID_X_EN: 1
; COMPUTE_PGM_RSRC2:TGID_Y_EN: 0
; COMPUTE_PGM_RSRC2:TGID_Z_EN: 0
; COMPUTE_PGM_RSRC2:TIDIG_COMP_CNT: 0
	.section	.text._ZN5aiter43moe_smooth_per_token_scaled_quant_kernel_v2ItaLi256ELi8EEEvPT0_PfPT_S3_PiS6_S6_iiiiiiiiiibb,"axG",@progbits,_ZN5aiter43moe_smooth_per_token_scaled_quant_kernel_v2ItaLi256ELi8EEEvPT0_PfPT_S3_PiS6_S6_iiiiiiiiiibb,comdat
	.protected	_ZN5aiter43moe_smooth_per_token_scaled_quant_kernel_v2ItaLi256ELi8EEEvPT0_PfPT_S3_PiS6_S6_iiiiiiiiiibb ; -- Begin function _ZN5aiter43moe_smooth_per_token_scaled_quant_kernel_v2ItaLi256ELi8EEEvPT0_PfPT_S3_PiS6_S6_iiiiiiiiiibb
	.globl	_ZN5aiter43moe_smooth_per_token_scaled_quant_kernel_v2ItaLi256ELi8EEEvPT0_PfPT_S3_PiS6_S6_iiiiiiiiiibb
	.p2align	8
	.type	_ZN5aiter43moe_smooth_per_token_scaled_quant_kernel_v2ItaLi256ELi8EEEvPT0_PfPT_S3_PiS6_S6_iiiiiiiiiibb,@function
_ZN5aiter43moe_smooth_per_token_scaled_quant_kernel_v2ItaLi256ELi8EEEvPT0_PfPT_S3_PiS6_S6_iiiiiiiiiibb: ; @_ZN5aiter43moe_smooth_per_token_scaled_quant_kernel_v2ItaLi256ELi8EEEvPT0_PfPT_S3_PiS6_S6_iiiiiiiiiibb
; %bb.0:
	s_load_b256 s[4:11], s[0:1], 0x38
	s_waitcnt lgkmcnt(0)
	s_cmp_ge_i32 s15, s6
	s_cbranch_scc1 .LBB221_21
; %bb.1:
	s_clause 0x3
	s_load_b128 s[24:27], s[0:1], 0x58
	s_load_b64 s[2:3], s[0:1], 0x30
	s_load_b128 s[28:31], s[0:1], 0x20
	s_load_b256 s[16:23], s[0:1], 0x0
	v_dual_mov_b32 v14, 0 :: v_dual_and_b32 v1, 31, v0
	v_lshrrev_b32_e32 v2, 3, v0
	v_and_b32_e32 v3, 7, v0
	v_lshlrev_b32_e32 v8, 3, v0
	v_lshlrev_b32_e32 v9, 5, v0
	;; [unrolled: 1-line block ×3, first 2 shown]
	v_cmp_eq_u32_e64 s0, 0, v0
	v_lshlrev_b32_e32 v11, 2, v1
	v_cmp_eq_u32_e64 s1, 31, v1
	v_and_b32_e32 v12, 0x7c, v2
	v_lshlrev_b32_e32 v13, 2, v3
	s_mov_b32 s39, -1
	s_waitcnt lgkmcnt(0)
	s_bitcmp1_b32 s26, 8
	s_load_b32 s3, s[2:3], 0x0
	s_cselect_b32 s2, -1, 0
	s_ashr_i32 s10, s10, s11
	s_lshl_b32 s42, s8, 2
	s_xor_b32 s14, s2, -1
	s_lshl_b32 s46, s10, 2
	s_cmp_gt_i32 s10, 0
	s_cselect_b32 s26, -1, 0
	s_add_i32 s2, s8, 7
	s_add_i32 s12, s8, 3
	s_ashr_i32 s13, s2, 31
	s_ashr_i32 s27, s12, 31
	s_lshr_b32 s13, s13, 29
	s_lshl_b32 s38, s8, 1
	s_add_i32 s2, s2, s13
	s_lshr_b32 s13, s27, 30
	s_ashr_i32 s2, s2, 3
	s_add_i32 s12, s12, s13
	v_cmp_gt_u32_e64 s2, s2, v0
	s_and_b32 s50, s12, -4
	s_mov_b32 s27, 0x76543210
	s_branch .LBB221_4
.LBB221_2:                              ;   in Loop: Header=BB221_4 Depth=1
	s_mov_b32 s13, -1
.LBB221_3:                              ;   in Loop: Header=BB221_4 Depth=1
	s_add_i32 s15, s15, s7
	s_delay_alu instid0(SALU_CYCLE_1) | instskip(SKIP_1) | instid1(SALU_CYCLE_1)
	s_cmp_lt_i32 s15, s6
	s_cselect_b32 s12, -1, 0
	s_and_b32 s12, s13, s12
	s_delay_alu instid0(SALU_CYCLE_1)
	s_and_b32 vcc_lo, exec_lo, s12
	s_cbranch_vccz .LBB221_21
.LBB221_4:                              ; =>This Loop Header: Depth=1
                                        ;     Child Loop BB221_10 Depth 2
	s_mul_i32 s12, s15, s10
	s_mov_b32 s13, 0
	s_waitcnt lgkmcnt(0)
	s_cmp_ge_i32 s12, s3
	s_cbranch_scc1 .LBB221_3
; %bb.5:                                ;   in Loop: Header=BB221_4 Depth=1
	s_ashr_i32 s34, s15, s11
	s_delay_alu instid0(SALU_CYCLE_1) | instskip(NEXT) | instid1(SALU_CYCLE_1)
	s_ashr_i32 s35, s34, 31
	s_lshl_b64 s[34:35], s[34:35], 2
	s_delay_alu instid0(SALU_CYCLE_1)
	s_add_u32 s34, s30, s34
	s_addc_u32 s35, s31, s35
	s_load_b32 s33, s[34:35], 0x0
	s_waitcnt lgkmcnt(0)
	s_cmp_ge_i32 s33, s4
	s_cbranch_scc1 .LBB221_3
; %bb.6:                                ;   in Loop: Header=BB221_4 Depth=1
	s_and_not1_b32 vcc_lo, exec_lo, s26
	s_cbranch_vccnz .LBB221_2
; %bb.7:                                ;   in Loop: Header=BB221_4 Depth=1
	s_ashr_i32 s13, s12, 31
	s_mul_i32 s34, s33, s8
	s_lshl_b64 s[12:13], s[12:13], 2
	s_mov_b32 s47, s39
	s_add_u32 s44, s28, s12
	s_addc_u32 s12, s29, s13
	s_ashr_i32 s35, s34, 31
	s_and_b32 s45, s12, 0xffff
	s_lshl_b64 s[12:13], s[34:35], 2
	buffer_load_b32 v16, v11, s[44:47], 0 offen
	s_add_u32 s40, s22, s12
	s_addc_u32 s12, s23, s13
	s_mov_b32 s43, s39
	s_and_b32 s41, s12, 0xffff
	s_clause 0x1
	buffer_load_b128 v[0:3], v9, s[40:43], 16 offen
	buffer_load_b128 v[4:7], v9, s[40:43], 0 offen
	s_mov_b32 s33, 0
	s_waitcnt vmcnt(2)
	v_and_b32_e32 v15, 0xffffff, v16
	v_ashrrev_i32_e32 v16, 24, v16
	s_branch .LBB221_10
.LBB221_8:                              ;   in Loop: Header=BB221_10 Depth=2
	s_or_b32 exec_lo, exec_lo, s13
	s_add_i32 s33, s33, 1
	s_delay_alu instid0(SALU_CYCLE_1)
	s_cmp_eq_u32 s10, s33
	s_cselect_b32 s12, -1, 0
.LBB221_9:                              ;   in Loop: Header=BB221_10 Depth=2
	s_delay_alu instid0(SALU_CYCLE_1)
	s_and_b32 vcc_lo, exec_lo, s12
	s_cbranch_vccnz .LBB221_2
.LBB221_10:                             ;   Parent Loop BB221_4 Depth=1
                                        ; =>  This Inner Loop Header: Depth=2
	s_delay_alu instid0(VALU_DEP_2) | instskip(NEXT) | instid1(VALU_DEP_2)
	v_readlane_b32 s13, v15, s33
	v_readlane_b32 s34, v16, s33
	s_mov_b32 s12, -1
	s_delay_alu instid0(VALU_DEP_2)
	s_cmp_ge_i32 s13, s5
	s_cbranch_scc1 .LBB221_9
; %bb.11:                               ;   in Loop: Header=BB221_10 Depth=2
	s_mul_hi_i32 s37, s13, s24
	s_mul_i32 s36, s13, s24
	s_mul_i32 s40, s34, s25
	s_lshl_b64 s[36:37], s[36:37], 1
	s_ashr_i32 s41, s40, 31
	s_add_u32 s12, s20, s36
	s_addc_u32 s35, s21, s37
	s_lshl_b64 s[36:37], s[40:41], 1
	s_delay_alu instid0(SALU_CYCLE_1) | instskip(SKIP_1) | instid1(SALU_CYCLE_1)
	s_add_u32 s36, s12, s36
	s_addc_u32 s12, s35, s37
	s_and_b32 s37, s12, 0xffff
	buffer_load_b128 v[17:20], v10, s[36:39], 0 offen
	s_waitcnt vmcnt(0)
	v_and_b32_e32 v22, 0xffff, v18
	v_lshrrev_b32_e32 v18, 16, v18
	v_and_b32_e32 v24, 0xffff, v20
	v_lshrrev_b32_e32 v26, 16, v20
	s_delay_alu instid0(VALU_DEP_4) | instskip(NEXT) | instid1(VALU_DEP_4)
	v_cvt_f32_u32_e32 v20, v22
	v_cvt_f32_u32_e32 v22, v18
	v_and_b32_e32 v21, 0xffff, v17
	v_lshrrev_b32_e32 v17, 16, v17
	v_cvt_f32_u32_e32 v26, v26
	s_delay_alu instid0(VALU_DEP_3) | instskip(NEXT) | instid1(VALU_DEP_3)
	v_cvt_f32_u32_e32 v21, v21
	v_cvt_f32_u32_e32 v25, v17
	v_and_b32_e32 v23, 0xffff, v19
	v_lshrrev_b32_e32 v19, 16, v19
	s_delay_alu instid0(VALU_DEP_4) | instskip(NEXT) | instid1(VALU_DEP_4)
	v_mul_f32_e32 v17, v4, v21
	v_mul_f32_e32 v18, v5, v25
	s_delay_alu instid0(VALU_DEP_4) | instskip(NEXT) | instid1(VALU_DEP_4)
	v_cvt_f32_u32_e32 v21, v23
	v_cvt_f32_u32_e32 v23, v19
	v_dual_mul_f32 v19, v6, v20 :: v_dual_mul_f32 v20, v7, v22
	s_delay_alu instid0(VALU_DEP_4) | instskip(NEXT) | instid1(VALU_DEP_3)
	v_max3_f32 v25, |v17|, 0x2edbe6ff, |v18|
	v_dual_mul_f32 v21, v0, v21 :: v_dual_mul_f32 v22, v1, v23
	v_cvt_f32_u32_e32 v24, v24
	s_delay_alu instid0(VALU_DEP_3) | instskip(NEXT) | instid1(VALU_DEP_2)
	v_max3_f32 v25, v25, |v19|, |v20|
	v_dual_mul_f32 v23, v2, v24 :: v_dual_mul_f32 v24, v3, v26
	s_delay_alu instid0(VALU_DEP_2) | instskip(NEXT) | instid1(VALU_DEP_1)
	v_max3_f32 v25, v25, |v21|, |v22|
	v_max3_f32 v25, v25, |v23|, |v24|
	s_delay_alu instid0(VALU_DEP_1) | instskip(NEXT) | instid1(VALU_DEP_1)
	v_mov_b32_dpp v26, v25 quad_perm:[1,0,3,2] row_mask:0xf bank_mask:0xf
	v_cmp_gt_f32_e32 vcc_lo, v25, v26
	v_cndmask_b32_e32 v25, v26, v25, vcc_lo
	s_delay_alu instid0(VALU_DEP_1) | instskip(NEXT) | instid1(VALU_DEP_1)
	v_mov_b32_dpp v26, v25 quad_perm:[2,3,0,1] row_mask:0xf bank_mask:0xf
	v_cmp_gt_f32_e32 vcc_lo, v25, v26
	v_cndmask_b32_e32 v25, v26, v25, vcc_lo
	s_delay_alu instid0(VALU_DEP_1) | instskip(NEXT) | instid1(VALU_DEP_1)
	v_mov_b32_dpp v26, v25 row_xmask:7 row_mask:0xf bank_mask:0xf
	v_cmp_gt_f32_e32 vcc_lo, v25, v26
	v_cndmask_b32_e32 v25, v26, v25, vcc_lo
	s_delay_alu instid0(VALU_DEP_1) | instskip(NEXT) | instid1(VALU_DEP_1)
	v_mov_b32_dpp v26, v25 row_xmask:15 row_mask:0xf bank_mask:0xf
	v_cmp_gt_f32_e32 vcc_lo, v25, v26
	s_and_saveexec_b32 s12, s1
	s_cbranch_execz .LBB221_13
; %bb.12:                               ;   in Loop: Header=BB221_10 Depth=2
	v_cndmask_b32_e32 v25, v26, v25, vcc_lo
	s_delay_alu instid0(VALU_DEP_1) | instskip(NEXT) | instid1(VALU_DEP_1)
	v_permlanex16_b32 v26, v25, s27, 0xfedcba98 op_sel:[1,1]
	v_cmp_gt_f32_e32 vcc_lo, v25, v26
	v_cndmask_b32_e32 v25, v26, v25, vcc_lo
	ds_store_b32 v12, v25
.LBB221_13:                             ;   in Loop: Header=BB221_10 Depth=2
	s_or_b32 exec_lo, exec_lo, s12
	s_waitcnt lgkmcnt(0)
	s_waitcnt_vscnt null, 0x0
	s_barrier
	buffer_gl0_inv
	ds_load_b32 v25, v13
	s_mov_b32 s35, -1
                                        ; implicit-def: $sgpr12
	s_waitcnt lgkmcnt(0)
	v_mov_b32_dpp v26, v25 quad_perm:[1,0,3,2] row_mask:0xf bank_mask:0xf
	s_delay_alu instid0(VALU_DEP_1) | instskip(SKIP_1) | instid1(VALU_DEP_1)
	v_cmp_gt_f32_e32 vcc_lo, v25, v26
	v_cndmask_b32_e32 v25, v26, v25, vcc_lo
	v_mov_b32_dpp v26, v25 quad_perm:[2,3,0,1] row_mask:0xf bank_mask:0xf
	s_delay_alu instid0(VALU_DEP_1) | instskip(SKIP_2) | instid1(VALU_DEP_1)
	v_cmp_gt_f32_e32 vcc_lo, v25, v26
	v_cndmask_b32_e32 v25, v26, v25, vcc_lo
	s_and_b32 vcc_lo, exec_lo, s14
	v_mov_b32_dpp v26, v25 row_xmask:7 row_mask:0xf bank_mask:0xf
	s_cbranch_vccz .LBB221_15
; %bb.14:                               ;   in Loop: Header=BB221_10 Depth=2
	s_mul_i32 s12, s13, s9
	s_mov_b32 s35, 0
	s_add_i32 s12, s12, s34
.LBB221_15:                             ;   in Loop: Header=BB221_10 Depth=2
	s_and_not1_b32 vcc_lo, exec_lo, s35
	s_cbranch_vccnz .LBB221_17
; %bb.16:                               ;   in Loop: Header=BB221_10 Depth=2
	s_mul_i32 s12, s34, s5
	s_delay_alu instid0(SALU_CYCLE_1)
	s_add_i32 s12, s12, s13
.LBB221_17:                             ;   in Loop: Header=BB221_10 Depth=2
	s_delay_alu instid0(VALU_DEP_1) | instskip(SKIP_1) | instid1(VALU_DEP_1)
	v_cmp_gt_f32_e32 vcc_lo, v25, v26
	v_cndmask_b32_e32 v25, v26, v25, vcc_lo
	v_mul_f32_e32 v25, 0x3c010204, v25
	s_and_saveexec_b32 s34, s0
	s_cbranch_execz .LBB221_19
; %bb.18:                               ;   in Loop: Header=BB221_10 Depth=2
	s_ashr_i32 s13, s12, 31
	s_delay_alu instid0(SALU_CYCLE_1) | instskip(NEXT) | instid1(SALU_CYCLE_1)
	s_lshl_b64 s[36:37], s[12:13], 2
	s_add_u32 s36, s18, s36
	s_addc_u32 s37, s19, s37
	global_store_b32 v14, v25, s[36:37]
.LBB221_19:                             ;   in Loop: Header=BB221_10 Depth=2
	s_or_b32 exec_lo, exec_lo, s34
	s_and_saveexec_b32 s13, s2
	s_cbranch_execz .LBB221_8
; %bb.20:                               ;   in Loop: Header=BB221_10 Depth=2
	v_rcp_f32_e32 v25, v25
	s_mul_i32 s34, s12, s8
	s_mul_hi_i32 s12, s12, s8
	s_add_u32 s48, s16, s34
	s_addc_u32 s12, s17, s12
	s_mov_b32 s51, s39
	s_and_b32 s49, s12, 0xffff
	s_waitcnt_depctr 0xfff
	v_mul_f32_e32 v21, v21, v25
	v_mul_f32_e32 v22, v22, v25
	;; [unrolled: 1-line block ×5, first 2 shown]
	v_cvt_i32_f32_e32 v21, v21
	v_cvt_i32_f32_e32 v22, v22
	v_cvt_i32_f32_e32 v23, v23
	v_cvt_i32_f32_e32 v24, v24
	v_mul_f32_e32 v18, v18, v25
	v_and_b32_e32 v21, 0xff, v21
	v_lshlrev_b16 v22, 8, v22
	v_and_b32_e32 v23, 0xff, v23
	v_lshlrev_b16 v24, 8, v24
	v_cvt_i32_f32_e32 v19, v19
	v_mul_f32_e32 v20, v20, v25
	v_or_b32_e32 v21, v21, v22
	v_cvt_i32_f32_e32 v18, v18
	v_or_b32_e32 v22, v23, v24
	v_and_b32_e32 v19, 0xff, v19
	v_mul_f32_e32 v17, v17, v25
	v_cvt_i32_f32_e32 v20, v20
	v_lshlrev_b16 v18, 8, v18
	s_delay_alu instid0(VALU_DEP_3) | instskip(NEXT) | instid1(VALU_DEP_3)
	v_cvt_i32_f32_e32 v17, v17
	v_lshlrev_b16 v20, 8, v20
	s_delay_alu instid0(VALU_DEP_2) | instskip(NEXT) | instid1(VALU_DEP_1)
	v_and_b32_e32 v17, 0xff, v17
	v_or_b32_e32 v17, v17, v18
	s_delay_alu instid0(VALU_DEP_3) | instskip(SKIP_2) | instid1(VALU_DEP_4)
	v_or_b32_e32 v18, v19, v20
	v_lshlrev_b32_e32 v20, 16, v22
	v_and_b32_e32 v19, 0xffff, v21
	v_and_b32_e32 v17, 0xffff, v17
	s_delay_alu instid0(VALU_DEP_4) | instskip(NEXT) | instid1(VALU_DEP_3)
	v_lshlrev_b32_e32 v21, 16, v18
	v_or_b32_e32 v18, v19, v20
	s_delay_alu instid0(VALU_DEP_2)
	v_or_b32_e32 v17, v17, v21
	buffer_store_b64 v[17:18], v8, s[48:51], 0 offen
	;;#ASMSTART
	s_nop 0
	;;#ASMEND
	s_branch .LBB221_8
.LBB221_21:
	s_nop 0
	s_sendmsg sendmsg(MSG_DEALLOC_VGPRS)
	s_endpgm
	.section	.rodata,"a",@progbits
	.p2align	6, 0x0
	.amdhsa_kernel _ZN5aiter43moe_smooth_per_token_scaled_quant_kernel_v2ItaLi256ELi8EEEvPT0_PfPT_S3_PiS6_S6_iiiiiiiiiibb
		.amdhsa_group_segment_fixed_size 32
		.amdhsa_private_segment_fixed_size 0
		.amdhsa_kernarg_size 100
		.amdhsa_user_sgpr_count 15
		.amdhsa_user_sgpr_dispatch_ptr 0
		.amdhsa_user_sgpr_queue_ptr 0
		.amdhsa_user_sgpr_kernarg_segment_ptr 1
		.amdhsa_user_sgpr_dispatch_id 0
		.amdhsa_user_sgpr_private_segment_size 0
		.amdhsa_wavefront_size32 1
		.amdhsa_uses_dynamic_stack 0
		.amdhsa_enable_private_segment 0
		.amdhsa_system_sgpr_workgroup_id_x 1
		.amdhsa_system_sgpr_workgroup_id_y 0
		.amdhsa_system_sgpr_workgroup_id_z 0
		.amdhsa_system_sgpr_workgroup_info 0
		.amdhsa_system_vgpr_workitem_id 0
		.amdhsa_next_free_vgpr 27
		.amdhsa_next_free_sgpr 52
		.amdhsa_reserve_vcc 1
		.amdhsa_float_round_mode_32 0
		.amdhsa_float_round_mode_16_64 0
		.amdhsa_float_denorm_mode_32 3
		.amdhsa_float_denorm_mode_16_64 3
		.amdhsa_dx10_clamp 1
		.amdhsa_ieee_mode 1
		.amdhsa_fp16_overflow 0
		.amdhsa_workgroup_processor_mode 1
		.amdhsa_memory_ordered 1
		.amdhsa_forward_progress 0
		.amdhsa_shared_vgpr_count 0
		.amdhsa_exception_fp_ieee_invalid_op 0
		.amdhsa_exception_fp_denorm_src 0
		.amdhsa_exception_fp_ieee_div_zero 0
		.amdhsa_exception_fp_ieee_overflow 0
		.amdhsa_exception_fp_ieee_underflow 0
		.amdhsa_exception_fp_ieee_inexact 0
		.amdhsa_exception_int_div_zero 0
	.end_amdhsa_kernel
	.section	.text._ZN5aiter43moe_smooth_per_token_scaled_quant_kernel_v2ItaLi256ELi8EEEvPT0_PfPT_S3_PiS6_S6_iiiiiiiiiibb,"axG",@progbits,_ZN5aiter43moe_smooth_per_token_scaled_quant_kernel_v2ItaLi256ELi8EEEvPT0_PfPT_S3_PiS6_S6_iiiiiiiiiibb,comdat
.Lfunc_end221:
	.size	_ZN5aiter43moe_smooth_per_token_scaled_quant_kernel_v2ItaLi256ELi8EEEvPT0_PfPT_S3_PiS6_S6_iiiiiiiiiibb, .Lfunc_end221-_ZN5aiter43moe_smooth_per_token_scaled_quant_kernel_v2ItaLi256ELi8EEEvPT0_PfPT_S3_PiS6_S6_iiiiiiiiiibb
                                        ; -- End function
	.section	.AMDGPU.csdata,"",@progbits
; Kernel info:
; codeLenInByte = 1352
; NumSgprs: 54
; NumVgprs: 27
; ScratchSize: 0
; MemoryBound: 0
; FloatMode: 240
; IeeeMode: 1
; LDSByteSize: 32 bytes/workgroup (compile time only)
; SGPRBlocks: 6
; VGPRBlocks: 3
; NumSGPRsForWavesPerEU: 54
; NumVGPRsForWavesPerEU: 27
; Occupancy: 16
; WaveLimiterHint : 0
; COMPUTE_PGM_RSRC2:SCRATCH_EN: 0
; COMPUTE_PGM_RSRC2:USER_SGPR: 15
; COMPUTE_PGM_RSRC2:TRAP_HANDLER: 0
; COMPUTE_PGM_RSRC2:TGID_X_EN: 1
; COMPUTE_PGM_RSRC2:TGID_Y_EN: 0
; COMPUTE_PGM_RSRC2:TGID_Z_EN: 0
; COMPUTE_PGM_RSRC2:TIDIG_COMP_CNT: 0
	.section	.text._ZN5aiter43moe_smooth_per_token_scaled_quant_kernel_v2IDF16_aLi256ELi16EEEvPT0_PfPT_S3_PiS6_S6_iiiiiiiiiibb,"axG",@progbits,_ZN5aiter43moe_smooth_per_token_scaled_quant_kernel_v2IDF16_aLi256ELi16EEEvPT0_PfPT_S3_PiS6_S6_iiiiiiiiiibb,comdat
	.protected	_ZN5aiter43moe_smooth_per_token_scaled_quant_kernel_v2IDF16_aLi256ELi16EEEvPT0_PfPT_S3_PiS6_S6_iiiiiiiiiibb ; -- Begin function _ZN5aiter43moe_smooth_per_token_scaled_quant_kernel_v2IDF16_aLi256ELi16EEEvPT0_PfPT_S3_PiS6_S6_iiiiiiiiiibb
	.globl	_ZN5aiter43moe_smooth_per_token_scaled_quant_kernel_v2IDF16_aLi256ELi16EEEvPT0_PfPT_S3_PiS6_S6_iiiiiiiiiibb
	.p2align	8
	.type	_ZN5aiter43moe_smooth_per_token_scaled_quant_kernel_v2IDF16_aLi256ELi16EEEvPT0_PfPT_S3_PiS6_S6_iiiiiiiiiibb,@function
_ZN5aiter43moe_smooth_per_token_scaled_quant_kernel_v2IDF16_aLi256ELi16EEEvPT0_PfPT_S3_PiS6_S6_iiiiiiiiiibb: ; @_ZN5aiter43moe_smooth_per_token_scaled_quant_kernel_v2IDF16_aLi256ELi16EEEvPT0_PfPT_S3_PiS6_S6_iiiiiiiiiibb
; %bb.0:
	s_load_b256 s[4:11], s[0:1], 0x38
	s_waitcnt lgkmcnt(0)
	s_cmp_ge_i32 s15, s6
	s_cbranch_scc1 .LBB222_21
; %bb.1:
	s_clause 0x3
	s_load_b128 s[24:27], s[0:1], 0x58
	s_load_b64 s[2:3], s[0:1], 0x30
	s_load_b128 s[28:31], s[0:1], 0x20
	s_load_b256 s[16:23], s[0:1], 0x0
	v_dual_mov_b32 v22, 0 :: v_dual_and_b32 v1, 31, v0
	v_lshrrev_b32_e32 v2, 3, v0
	v_and_b32_e32 v3, 7, v0
	v_lshlrev_b32_e32 v16, 4, v0
	v_lshlrev_b32_e32 v17, 6, v0
	v_lshlrev_b32_e32 v18, 5, v0
	v_cmp_eq_u32_e64 s0, 0, v0
	v_lshlrev_b32_e32 v19, 2, v1
	v_cmp_eq_u32_e64 s1, 31, v1
	v_and_b32_e32 v20, 0x7c, v2
	v_lshlrev_b32_e32 v21, 2, v3
	s_mov_b32 s39, -1
	s_waitcnt lgkmcnt(0)
	s_bitcmp1_b32 s26, 8
	s_load_b32 s3, s[2:3], 0x0
	s_cselect_b32 s2, -1, 0
	s_ashr_i32 s10, s10, s11
	s_lshl_b32 s42, s8, 2
	s_xor_b32 s14, s2, -1
	s_lshl_b32 s46, s10, 2
	s_cmp_gt_i32 s10, 0
	s_cselect_b32 s26, -1, 0
	s_add_i32 s2, s8, 15
	s_add_i32 s12, s8, 3
	s_ashr_i32 s13, s2, 31
	s_ashr_i32 s27, s12, 31
	s_lshr_b32 s13, s13, 28
	s_lshl_b32 s38, s8, 1
	s_add_i32 s2, s2, s13
	s_lshr_b32 s13, s27, 30
	s_ashr_i32 s2, s2, 4
	s_add_i32 s12, s12, s13
	v_cmp_gt_u32_e64 s2, s2, v0
	s_and_b32 s50, s12, -4
	s_mov_b32 s27, 0x76543210
	s_branch .LBB222_4
.LBB222_2:                              ;   in Loop: Header=BB222_4 Depth=1
	s_mov_b32 s13, -1
.LBB222_3:                              ;   in Loop: Header=BB222_4 Depth=1
	s_add_i32 s15, s15, s7
	s_delay_alu instid0(SALU_CYCLE_1) | instskip(SKIP_1) | instid1(SALU_CYCLE_1)
	s_cmp_lt_i32 s15, s6
	s_cselect_b32 s12, -1, 0
	s_and_b32 s12, s13, s12
	s_delay_alu instid0(SALU_CYCLE_1)
	s_and_b32 vcc_lo, exec_lo, s12
	s_cbranch_vccz .LBB222_21
.LBB222_4:                              ; =>This Loop Header: Depth=1
                                        ;     Child Loop BB222_10 Depth 2
	s_mul_i32 s12, s15, s10
	s_mov_b32 s13, 0
	s_waitcnt lgkmcnt(0)
	s_cmp_ge_i32 s12, s3
	s_cbranch_scc1 .LBB222_3
; %bb.5:                                ;   in Loop: Header=BB222_4 Depth=1
	s_ashr_i32 s34, s15, s11
	s_delay_alu instid0(SALU_CYCLE_1) | instskip(NEXT) | instid1(SALU_CYCLE_1)
	s_ashr_i32 s35, s34, 31
	s_lshl_b64 s[34:35], s[34:35], 2
	s_delay_alu instid0(SALU_CYCLE_1)
	s_add_u32 s34, s30, s34
	s_addc_u32 s35, s31, s35
	s_load_b32 s33, s[34:35], 0x0
	s_waitcnt lgkmcnt(0)
	s_cmp_ge_i32 s33, s4
	s_cbranch_scc1 .LBB222_3
; %bb.6:                                ;   in Loop: Header=BB222_4 Depth=1
	s_and_not1_b32 vcc_lo, exec_lo, s26
	s_cbranch_vccnz .LBB222_2
; %bb.7:                                ;   in Loop: Header=BB222_4 Depth=1
	s_ashr_i32 s13, s12, 31
	s_mul_i32 s34, s33, s8
	s_lshl_b64 s[12:13], s[12:13], 2
	s_mov_b32 s47, s39
	s_add_u32 s44, s28, s12
	s_addc_u32 s12, s29, s13
	s_ashr_i32 s35, s34, 31
	s_and_b32 s45, s12, 0xffff
	s_lshl_b64 s[12:13], s[34:35], 2
	buffer_load_b32 v24, v19, s[44:47], 0 offen
	s_add_u32 s40, s22, s12
	s_addc_u32 s12, s23, s13
	s_mov_b32 s43, s39
	s_and_b32 s41, s12, 0xffff
	s_clause 0x3
	buffer_load_b128 v[0:3], v17, s[40:43], 48 offen
	buffer_load_b128 v[4:7], v17, s[40:43], 32 offen
	;; [unrolled: 1-line block ×4, first 2 shown]
	s_mov_b32 s33, 0
	s_waitcnt vmcnt(4)
	v_and_b32_e32 v23, 0xffffff, v24
	v_ashrrev_i32_e32 v24, 24, v24
	s_branch .LBB222_10
.LBB222_8:                              ;   in Loop: Header=BB222_10 Depth=2
	s_or_b32 exec_lo, exec_lo, s13
	s_add_i32 s33, s33, 1
	s_delay_alu instid0(SALU_CYCLE_1)
	s_cmp_eq_u32 s10, s33
	s_cselect_b32 s12, -1, 0
.LBB222_9:                              ;   in Loop: Header=BB222_10 Depth=2
	s_delay_alu instid0(SALU_CYCLE_1)
	s_and_b32 vcc_lo, exec_lo, s12
	s_cbranch_vccnz .LBB222_2
.LBB222_10:                             ;   Parent Loop BB222_4 Depth=1
                                        ; =>  This Inner Loop Header: Depth=2
	s_delay_alu instid0(VALU_DEP_2) | instskip(NEXT) | instid1(VALU_DEP_2)
	v_readlane_b32 s13, v23, s33
	v_readlane_b32 s34, v24, s33
	s_mov_b32 s12, -1
	s_delay_alu instid0(VALU_DEP_2)
	s_cmp_ge_i32 s13, s5
	s_cbranch_scc1 .LBB222_9
; %bb.11:                               ;   in Loop: Header=BB222_10 Depth=2
	s_mul_hi_i32 s37, s13, s24
	s_mul_i32 s36, s13, s24
	s_mul_i32 s40, s34, s25
	s_lshl_b64 s[36:37], s[36:37], 1
	s_ashr_i32 s41, s40, 31
	s_add_u32 s12, s20, s36
	s_addc_u32 s35, s21, s37
	s_lshl_b64 s[36:37], s[40:41], 1
	s_delay_alu instid0(SALU_CYCLE_1) | instskip(SKIP_1) | instid1(SALU_CYCLE_1)
	s_add_u32 s36, s12, s36
	s_addc_u32 s12, s35, s37
	s_and_b32 s37, s12, 0xffff
	s_clause 0x1
	buffer_load_b128 v[25:28], v18, s[36:39], 0 offen
	buffer_load_b128 v[30:33], v18, s[36:39], 16 offen
	s_waitcnt vmcnt(1)
	v_cvt_f32_f16_e32 v29, v25
	v_lshrrev_b32_e32 v25, 16, v25
	v_cvt_f32_f16_e32 v34, v26
	v_lshrrev_b32_e32 v26, 16, v26
	;; [unrolled: 2-line block ×3, first 2 shown]
	v_cvt_f32_f16_e32 v25, v25
	v_cvt_f32_f16_e32 v37, v28
	v_lshrrev_b32_e32 v38, 16, v28
	v_cvt_f32_f16_e32 v26, v26
	v_mul_f32_e32 v27, v12, v29
	v_dual_mul_f32 v28, v13, v25 :: v_dual_mul_f32 v29, v14, v34
	s_waitcnt vmcnt(0)
	v_cvt_f32_f16_e32 v40, v30
	v_lshrrev_b32_e32 v39, 16, v30
	v_cvt_f32_f16_e32 v36, v36
	v_mul_f32_e32 v30, v15, v26
	v_max3_f32 v26, |v27|, 0x2edbe6ff, |v28|
	v_cvt_f32_f16_e32 v41, v38
	s_delay_alu instid0(VALU_DEP_4) | instskip(SKIP_1) | instid1(VALU_DEP_4)
	v_dual_mul_f32 v34, v8, v35 :: v_dual_mul_f32 v35, v9, v36
	v_cvt_f32_f16_e32 v25, v31
	v_max3_f32 v26, v26, |v29|, |v30|
	v_lshrrev_b32_e32 v31, 16, v31
	v_cvt_f32_f16_e32 v42, v39
	v_mul_f32_e32 v38, v10, v37
	v_mul_f32_e32 v39, v11, v41
	v_max3_f32 v26, v26, |v34|, |v35|
	v_cvt_f32_f16_e32 v36, v32
	v_lshrrev_b32_e32 v37, 16, v32
	v_mul_f32_e32 v32, v5, v42
	v_cvt_f32_f16_e32 v41, v31
	v_mul_f32_e32 v31, v4, v40
	v_max3_f32 v40, v26, |v38|, |v39|
	v_lshrrev_b32_e32 v42, 16, v33
	v_cvt_f32_f16_e32 v37, v37
	v_dual_mul_f32 v25, v6, v25 :: v_dual_mul_f32 v36, v0, v36
	v_mul_f32_e32 v26, v7, v41
	v_max3_f32 v41, v40, |v31|, |v32|
	v_cvt_f32_f16_e32 v33, v33
	v_cvt_f32_f16_e32 v42, v42
	v_mul_f32_e32 v40, v1, v37
	s_delay_alu instid0(VALU_DEP_4) | instskip(NEXT) | instid1(VALU_DEP_4)
	v_max3_f32 v41, v41, |v25|, |v26|
	v_mul_f32_e32 v33, v2, v33
	s_delay_alu instid0(VALU_DEP_4) | instskip(NEXT) | instid1(VALU_DEP_3)
	v_mul_f32_e32 v37, v3, v42
	v_max3_f32 v41, v41, |v36|, |v40|
	s_delay_alu instid0(VALU_DEP_1) | instskip(NEXT) | instid1(VALU_DEP_1)
	v_max3_f32 v41, v41, |v33|, |v37|
	v_mov_b32_dpp v42, v41 quad_perm:[1,0,3,2] row_mask:0xf bank_mask:0xf
	s_delay_alu instid0(VALU_DEP_1) | instskip(SKIP_1) | instid1(VALU_DEP_1)
	v_cmp_gt_f32_e32 vcc_lo, v41, v42
	v_cndmask_b32_e32 v41, v42, v41, vcc_lo
	v_mov_b32_dpp v42, v41 quad_perm:[2,3,0,1] row_mask:0xf bank_mask:0xf
	s_delay_alu instid0(VALU_DEP_1) | instskip(SKIP_1) | instid1(VALU_DEP_1)
	v_cmp_gt_f32_e32 vcc_lo, v41, v42
	v_cndmask_b32_e32 v41, v42, v41, vcc_lo
	v_mov_b32_dpp v42, v41 row_xmask:7 row_mask:0xf bank_mask:0xf
	s_delay_alu instid0(VALU_DEP_1) | instskip(SKIP_1) | instid1(VALU_DEP_1)
	v_cmp_gt_f32_e32 vcc_lo, v41, v42
	v_cndmask_b32_e32 v41, v42, v41, vcc_lo
	v_mov_b32_dpp v42, v41 row_xmask:15 row_mask:0xf bank_mask:0xf
	s_delay_alu instid0(VALU_DEP_1)
	v_cmp_gt_f32_e32 vcc_lo, v41, v42
	s_and_saveexec_b32 s12, s1
	s_cbranch_execz .LBB222_13
; %bb.12:                               ;   in Loop: Header=BB222_10 Depth=2
	v_cndmask_b32_e32 v41, v42, v41, vcc_lo
	s_delay_alu instid0(VALU_DEP_1) | instskip(NEXT) | instid1(VALU_DEP_1)
	v_permlanex16_b32 v42, v41, s27, 0xfedcba98 op_sel:[1,1]
	v_cmp_gt_f32_e32 vcc_lo, v41, v42
	v_cndmask_b32_e32 v41, v42, v41, vcc_lo
	ds_store_b32 v20, v41
.LBB222_13:                             ;   in Loop: Header=BB222_10 Depth=2
	s_or_b32 exec_lo, exec_lo, s12
	s_waitcnt lgkmcnt(0)
	s_waitcnt_vscnt null, 0x0
	s_barrier
	buffer_gl0_inv
	ds_load_b32 v41, v21
	s_mov_b32 s35, -1
                                        ; implicit-def: $sgpr12
	s_waitcnt lgkmcnt(0)
	v_mov_b32_dpp v42, v41 quad_perm:[1,0,3,2] row_mask:0xf bank_mask:0xf
	s_delay_alu instid0(VALU_DEP_1) | instskip(SKIP_1) | instid1(VALU_DEP_1)
	v_cmp_gt_f32_e32 vcc_lo, v41, v42
	v_cndmask_b32_e32 v41, v42, v41, vcc_lo
	v_mov_b32_dpp v42, v41 quad_perm:[2,3,0,1] row_mask:0xf bank_mask:0xf
	s_delay_alu instid0(VALU_DEP_1) | instskip(SKIP_2) | instid1(VALU_DEP_1)
	v_cmp_gt_f32_e32 vcc_lo, v41, v42
	v_cndmask_b32_e32 v41, v42, v41, vcc_lo
	s_and_b32 vcc_lo, exec_lo, s14
	v_mov_b32_dpp v42, v41 row_xmask:7 row_mask:0xf bank_mask:0xf
	s_cbranch_vccz .LBB222_15
; %bb.14:                               ;   in Loop: Header=BB222_10 Depth=2
	s_mul_i32 s12, s13, s9
	s_mov_b32 s35, 0
	s_add_i32 s12, s12, s34
.LBB222_15:                             ;   in Loop: Header=BB222_10 Depth=2
	s_and_not1_b32 vcc_lo, exec_lo, s35
	s_cbranch_vccnz .LBB222_17
; %bb.16:                               ;   in Loop: Header=BB222_10 Depth=2
	s_mul_i32 s12, s34, s5
	s_delay_alu instid0(SALU_CYCLE_1)
	s_add_i32 s12, s12, s13
.LBB222_17:                             ;   in Loop: Header=BB222_10 Depth=2
	s_delay_alu instid0(VALU_DEP_1) | instskip(SKIP_1) | instid1(VALU_DEP_1)
	v_cmp_gt_f32_e32 vcc_lo, v41, v42
	v_cndmask_b32_e32 v41, v42, v41, vcc_lo
	v_mul_f32_e32 v41, 0x3c010204, v41
	s_and_saveexec_b32 s34, s0
	s_cbranch_execz .LBB222_19
; %bb.18:                               ;   in Loop: Header=BB222_10 Depth=2
	s_ashr_i32 s13, s12, 31
	s_delay_alu instid0(SALU_CYCLE_1) | instskip(NEXT) | instid1(SALU_CYCLE_1)
	s_lshl_b64 s[36:37], s[12:13], 2
	s_add_u32 s36, s18, s36
	s_addc_u32 s37, s19, s37
	global_store_b32 v22, v41, s[36:37]
.LBB222_19:                             ;   in Loop: Header=BB222_10 Depth=2
	s_or_b32 exec_lo, exec_lo, s34
	s_and_saveexec_b32 s13, s2
	s_cbranch_execz .LBB222_8
; %bb.20:                               ;   in Loop: Header=BB222_10 Depth=2
	v_rcp_f32_e32 v41, v41
	s_mul_i32 s34, s12, s8
	s_mul_hi_i32 s12, s12, s8
	s_add_u32 s48, s16, s34
	s_addc_u32 s12, s17, s12
	s_mov_b32 s51, s39
	s_and_b32 s49, s12, 0xffff
	s_waitcnt_depctr 0xfff
	v_mul_f32_e32 v31, v31, v41
	v_mul_f32_e32 v32, v32, v41
	;; [unrolled: 1-line block ×5, first 2 shown]
	v_cvt_i32_f32_e32 v31, v31
	v_cvt_i32_f32_e32 v32, v32
	;; [unrolled: 1-line block ×4, first 2 shown]
	v_mul_f32_e32 v27, v27, v41
	v_dual_mul_f32 v28, v28, v41 :: v_dual_and_b32 v31, 0xff, v31
	s_delay_alu instid0(VALU_DEP_4) | instskip(NEXT) | instid1(VALU_DEP_4)
	v_lshlrev_b16 v40, 8, v40
	v_and_b32_e32 v36, 0xff, v36
	v_lshlrev_b16 v32, 8, v32
	v_cvt_i32_f32_e32 v27, v27
	v_cvt_i32_f32_e32 v28, v28
	v_mul_f32_e32 v38, v38, v41
	v_or_b32_e32 v36, v36, v40
	v_mul_f32_e32 v29, v29, v41
	v_or_b32_e32 v31, v31, v32
	v_mul_f32_e32 v30, v30, v41
	v_lshlrev_b16 v28, 8, v28
	v_and_b32_e32 v32, 0xffff, v36
	v_cvt_i32_f32_e32 v29, v29
	v_and_b32_e32 v31, 0xffff, v31
	v_cvt_i32_f32_e32 v30, v30
	;; [unrolled: 2-line block ×4, first 2 shown]
	v_lshlrev_b16 v30, 8, v30
	v_or_b32_e32 v27, v27, v28
	v_mul_f32_e32 v34, v34, v41
	v_and_b32_e32 v33, 0xff, v33
	v_mul_f32_e32 v26, v26, v41
	v_or_b32_e32 v28, v29, v30
	v_mul_f32_e32 v37, v37, v41
	v_dual_mul_f32 v25, v25, v41 :: v_dual_and_b32 v30, 0xffff, v27
	s_delay_alu instid0(VALU_DEP_4) | instskip(NEXT) | instid1(VALU_DEP_3)
	v_cvt_i32_f32_e32 v26, v26
	v_cvt_i32_f32_e32 v37, v37
	s_delay_alu instid0(VALU_DEP_3) | instskip(NEXT) | instid1(VALU_DEP_3)
	v_cvt_i32_f32_e32 v25, v25
	v_lshlrev_b16 v26, 8, v26
	s_delay_alu instid0(VALU_DEP_3) | instskip(NEXT) | instid1(VALU_DEP_3)
	v_lshlrev_b16 v37, 8, v37
	v_and_b32_e32 v25, 0xff, v25
	s_delay_alu instid0(VALU_DEP_2)
	v_or_b32_e32 v33, v33, v37
	v_and_b32_e32 v37, 0xff, v38
	v_cvt_i32_f32_e32 v34, v34
	v_mul_f32_e32 v35, v35, v41
	v_or_b32_e32 v25, v25, v26
	v_lshlrev_b32_e32 v33, 16, v33
	s_delay_alu instid0(VALU_DEP_4) | instskip(NEXT) | instid1(VALU_DEP_4)
	v_and_b32_e32 v34, 0xff, v34
	v_cvt_i32_f32_e32 v35, v35
	s_delay_alu instid0(VALU_DEP_4) | instskip(NEXT) | instid1(VALU_DEP_2)
	v_lshlrev_b32_e32 v25, 16, v25
	v_lshlrev_b16 v35, 8, v35
	s_delay_alu instid0(VALU_DEP_2) | instskip(NEXT) | instid1(VALU_DEP_2)
	v_or_b32_e32 v27, v31, v25
	v_or_b32_e32 v26, v34, v35
	s_delay_alu instid0(VALU_DEP_1) | instskip(NEXT) | instid1(VALU_DEP_1)
	v_dual_mul_f32 v39, v39, v41 :: v_dual_and_b32 v26, 0xffff, v26
	v_cvt_i32_f32_e32 v39, v39
	s_delay_alu instid0(VALU_DEP_1) | instskip(NEXT) | instid1(VALU_DEP_1)
	v_lshlrev_b16 v36, 8, v39
	v_or_b32_e32 v34, v37, v36
	s_delay_alu instid0(VALU_DEP_1) | instskip(SKIP_2) | instid1(VALU_DEP_3)
	v_lshlrev_b32_e32 v29, 16, v34
	v_lshlrev_b32_e32 v34, 16, v28
	v_or_b32_e32 v28, v32, v33
	v_or_b32_e32 v26, v26, v29
	s_delay_alu instid0(VALU_DEP_3)
	v_or_b32_e32 v25, v30, v34
	buffer_store_b128 v[25:28], v16, s[48:51], 0 offen
	;;#ASMSTART
	s_nop 0
	;;#ASMEND
	s_branch .LBB222_8
.LBB222_21:
	s_nop 0
	s_sendmsg sendmsg(MSG_DEALLOC_VGPRS)
	s_endpgm
	.section	.rodata,"a",@progbits
	.p2align	6, 0x0
	.amdhsa_kernel _ZN5aiter43moe_smooth_per_token_scaled_quant_kernel_v2IDF16_aLi256ELi16EEEvPT0_PfPT_S3_PiS6_S6_iiiiiiiiiibb
		.amdhsa_group_segment_fixed_size 32
		.amdhsa_private_segment_fixed_size 0
		.amdhsa_kernarg_size 100
		.amdhsa_user_sgpr_count 15
		.amdhsa_user_sgpr_dispatch_ptr 0
		.amdhsa_user_sgpr_queue_ptr 0
		.amdhsa_user_sgpr_kernarg_segment_ptr 1
		.amdhsa_user_sgpr_dispatch_id 0
		.amdhsa_user_sgpr_private_segment_size 0
		.amdhsa_wavefront_size32 1
		.amdhsa_uses_dynamic_stack 0
		.amdhsa_enable_private_segment 0
		.amdhsa_system_sgpr_workgroup_id_x 1
		.amdhsa_system_sgpr_workgroup_id_y 0
		.amdhsa_system_sgpr_workgroup_id_z 0
		.amdhsa_system_sgpr_workgroup_info 0
		.amdhsa_system_vgpr_workitem_id 0
		.amdhsa_next_free_vgpr 43
		.amdhsa_next_free_sgpr 52
		.amdhsa_reserve_vcc 1
		.amdhsa_float_round_mode_32 0
		.amdhsa_float_round_mode_16_64 0
		.amdhsa_float_denorm_mode_32 3
		.amdhsa_float_denorm_mode_16_64 3
		.amdhsa_dx10_clamp 1
		.amdhsa_ieee_mode 1
		.amdhsa_fp16_overflow 0
		.amdhsa_workgroup_processor_mode 1
		.amdhsa_memory_ordered 1
		.amdhsa_forward_progress 0
		.amdhsa_shared_vgpr_count 0
		.amdhsa_exception_fp_ieee_invalid_op 0
		.amdhsa_exception_fp_denorm_src 0
		.amdhsa_exception_fp_ieee_div_zero 0
		.amdhsa_exception_fp_ieee_overflow 0
		.amdhsa_exception_fp_ieee_underflow 0
		.amdhsa_exception_fp_ieee_inexact 0
		.amdhsa_exception_int_div_zero 0
	.end_amdhsa_kernel
	.section	.text._ZN5aiter43moe_smooth_per_token_scaled_quant_kernel_v2IDF16_aLi256ELi16EEEvPT0_PfPT_S3_PiS6_S6_iiiiiiiiiibb,"axG",@progbits,_ZN5aiter43moe_smooth_per_token_scaled_quant_kernel_v2IDF16_aLi256ELi16EEEvPT0_PfPT_S3_PiS6_S6_iiiiiiiiiibb,comdat
.Lfunc_end222:
	.size	_ZN5aiter43moe_smooth_per_token_scaled_quant_kernel_v2IDF16_aLi256ELi16EEEvPT0_PfPT_S3_PiS6_S6_iiiiiiiiiibb, .Lfunc_end222-_ZN5aiter43moe_smooth_per_token_scaled_quant_kernel_v2IDF16_aLi256ELi16EEEvPT0_PfPT_S3_PiS6_S6_iiiiiiiiiibb
                                        ; -- End function
	.section	.AMDGPU.csdata,"",@progbits
; Kernel info:
; codeLenInByte = 1656
; NumSgprs: 54
; NumVgprs: 43
; ScratchSize: 0
; MemoryBound: 0
; FloatMode: 240
; IeeeMode: 1
; LDSByteSize: 32 bytes/workgroup (compile time only)
; SGPRBlocks: 6
; VGPRBlocks: 5
; NumSGPRsForWavesPerEU: 54
; NumVGPRsForWavesPerEU: 43
; Occupancy: 16
; WaveLimiterHint : 0
; COMPUTE_PGM_RSRC2:SCRATCH_EN: 0
; COMPUTE_PGM_RSRC2:USER_SGPR: 15
; COMPUTE_PGM_RSRC2:TRAP_HANDLER: 0
; COMPUTE_PGM_RSRC2:TGID_X_EN: 1
; COMPUTE_PGM_RSRC2:TGID_Y_EN: 0
; COMPUTE_PGM_RSRC2:TGID_Z_EN: 0
; COMPUTE_PGM_RSRC2:TIDIG_COMP_CNT: 0
	.section	.text._ZN5aiter43moe_smooth_per_token_scaled_quant_kernel_v2ItaLi256ELi16EEEvPT0_PfPT_S3_PiS6_S6_iiiiiiiiiibb,"axG",@progbits,_ZN5aiter43moe_smooth_per_token_scaled_quant_kernel_v2ItaLi256ELi16EEEvPT0_PfPT_S3_PiS6_S6_iiiiiiiiiibb,comdat
	.protected	_ZN5aiter43moe_smooth_per_token_scaled_quant_kernel_v2ItaLi256ELi16EEEvPT0_PfPT_S3_PiS6_S6_iiiiiiiiiibb ; -- Begin function _ZN5aiter43moe_smooth_per_token_scaled_quant_kernel_v2ItaLi256ELi16EEEvPT0_PfPT_S3_PiS6_S6_iiiiiiiiiibb
	.globl	_ZN5aiter43moe_smooth_per_token_scaled_quant_kernel_v2ItaLi256ELi16EEEvPT0_PfPT_S3_PiS6_S6_iiiiiiiiiibb
	.p2align	8
	.type	_ZN5aiter43moe_smooth_per_token_scaled_quant_kernel_v2ItaLi256ELi16EEEvPT0_PfPT_S3_PiS6_S6_iiiiiiiiiibb,@function
_ZN5aiter43moe_smooth_per_token_scaled_quant_kernel_v2ItaLi256ELi16EEEvPT0_PfPT_S3_PiS6_S6_iiiiiiiiiibb: ; @_ZN5aiter43moe_smooth_per_token_scaled_quant_kernel_v2ItaLi256ELi16EEEvPT0_PfPT_S3_PiS6_S6_iiiiiiiiiibb
; %bb.0:
	s_load_b256 s[4:11], s[0:1], 0x38
	s_waitcnt lgkmcnt(0)
	s_cmp_ge_i32 s15, s6
	s_cbranch_scc1 .LBB223_21
; %bb.1:
	s_clause 0x3
	s_load_b128 s[24:27], s[0:1], 0x58
	s_load_b64 s[2:3], s[0:1], 0x30
	s_load_b128 s[28:31], s[0:1], 0x20
	s_load_b256 s[16:23], s[0:1], 0x0
	v_dual_mov_b32 v22, 0 :: v_dual_and_b32 v1, 31, v0
	v_lshrrev_b32_e32 v2, 3, v0
	v_and_b32_e32 v3, 7, v0
	v_lshlrev_b32_e32 v16, 4, v0
	v_lshlrev_b32_e32 v17, 6, v0
	v_lshlrev_b32_e32 v18, 5, v0
	v_cmp_eq_u32_e64 s0, 0, v0
	v_lshlrev_b32_e32 v19, 2, v1
	v_cmp_eq_u32_e64 s1, 31, v1
	v_and_b32_e32 v20, 0x7c, v2
	v_lshlrev_b32_e32 v21, 2, v3
	s_mov_b32 s39, -1
	s_waitcnt lgkmcnt(0)
	s_bitcmp1_b32 s26, 8
	s_load_b32 s3, s[2:3], 0x0
	s_cselect_b32 s2, -1, 0
	s_ashr_i32 s10, s10, s11
	s_lshl_b32 s42, s8, 2
	s_xor_b32 s14, s2, -1
	s_lshl_b32 s46, s10, 2
	s_cmp_gt_i32 s10, 0
	s_cselect_b32 s26, -1, 0
	s_add_i32 s2, s8, 15
	s_add_i32 s12, s8, 3
	s_ashr_i32 s13, s2, 31
	s_ashr_i32 s27, s12, 31
	s_lshr_b32 s13, s13, 28
	s_lshl_b32 s38, s8, 1
	s_add_i32 s2, s2, s13
	s_lshr_b32 s13, s27, 30
	s_ashr_i32 s2, s2, 4
	s_add_i32 s12, s12, s13
	v_cmp_gt_u32_e64 s2, s2, v0
	s_and_b32 s50, s12, -4
	s_mov_b32 s27, 0x76543210
	s_branch .LBB223_4
.LBB223_2:                              ;   in Loop: Header=BB223_4 Depth=1
	s_mov_b32 s13, -1
.LBB223_3:                              ;   in Loop: Header=BB223_4 Depth=1
	s_add_i32 s15, s15, s7
	s_delay_alu instid0(SALU_CYCLE_1) | instskip(SKIP_1) | instid1(SALU_CYCLE_1)
	s_cmp_lt_i32 s15, s6
	s_cselect_b32 s12, -1, 0
	s_and_b32 s12, s13, s12
	s_delay_alu instid0(SALU_CYCLE_1)
	s_and_b32 vcc_lo, exec_lo, s12
	s_cbranch_vccz .LBB223_21
.LBB223_4:                              ; =>This Loop Header: Depth=1
                                        ;     Child Loop BB223_10 Depth 2
	s_mul_i32 s12, s15, s10
	s_mov_b32 s13, 0
	s_waitcnt lgkmcnt(0)
	s_cmp_ge_i32 s12, s3
	s_cbranch_scc1 .LBB223_3
; %bb.5:                                ;   in Loop: Header=BB223_4 Depth=1
	s_ashr_i32 s34, s15, s11
	s_delay_alu instid0(SALU_CYCLE_1) | instskip(NEXT) | instid1(SALU_CYCLE_1)
	s_ashr_i32 s35, s34, 31
	s_lshl_b64 s[34:35], s[34:35], 2
	s_delay_alu instid0(SALU_CYCLE_1)
	s_add_u32 s34, s30, s34
	s_addc_u32 s35, s31, s35
	s_load_b32 s33, s[34:35], 0x0
	s_waitcnt lgkmcnt(0)
	s_cmp_ge_i32 s33, s4
	s_cbranch_scc1 .LBB223_3
; %bb.6:                                ;   in Loop: Header=BB223_4 Depth=1
	s_and_not1_b32 vcc_lo, exec_lo, s26
	s_cbranch_vccnz .LBB223_2
; %bb.7:                                ;   in Loop: Header=BB223_4 Depth=1
	s_ashr_i32 s13, s12, 31
	s_mul_i32 s34, s33, s8
	s_lshl_b64 s[12:13], s[12:13], 2
	s_mov_b32 s47, s39
	s_add_u32 s44, s28, s12
	s_addc_u32 s12, s29, s13
	s_ashr_i32 s35, s34, 31
	s_and_b32 s45, s12, 0xffff
	s_lshl_b64 s[12:13], s[34:35], 2
	buffer_load_b32 v24, v19, s[44:47], 0 offen
	s_add_u32 s40, s22, s12
	s_addc_u32 s12, s23, s13
	s_mov_b32 s43, s39
	s_and_b32 s41, s12, 0xffff
	s_clause 0x3
	buffer_load_b128 v[0:3], v17, s[40:43], 48 offen
	buffer_load_b128 v[4:7], v17, s[40:43], 32 offen
	;; [unrolled: 1-line block ×4, first 2 shown]
	s_mov_b32 s33, 0
	s_waitcnt vmcnt(4)
	v_and_b32_e32 v23, 0xffffff, v24
	v_ashrrev_i32_e32 v24, 24, v24
	s_branch .LBB223_10
.LBB223_8:                              ;   in Loop: Header=BB223_10 Depth=2
	s_or_b32 exec_lo, exec_lo, s13
	s_add_i32 s33, s33, 1
	s_delay_alu instid0(SALU_CYCLE_1)
	s_cmp_eq_u32 s10, s33
	s_cselect_b32 s12, -1, 0
.LBB223_9:                              ;   in Loop: Header=BB223_10 Depth=2
	s_delay_alu instid0(SALU_CYCLE_1)
	s_and_b32 vcc_lo, exec_lo, s12
	s_cbranch_vccnz .LBB223_2
.LBB223_10:                             ;   Parent Loop BB223_4 Depth=1
                                        ; =>  This Inner Loop Header: Depth=2
	s_delay_alu instid0(VALU_DEP_2) | instskip(NEXT) | instid1(VALU_DEP_2)
	v_readlane_b32 s13, v23, s33
	v_readlane_b32 s34, v24, s33
	s_mov_b32 s12, -1
	s_delay_alu instid0(VALU_DEP_2)
	s_cmp_ge_i32 s13, s5
	s_cbranch_scc1 .LBB223_9
; %bb.11:                               ;   in Loop: Header=BB223_10 Depth=2
	s_mul_hi_i32 s37, s13, s24
	s_mul_i32 s36, s13, s24
	s_mul_i32 s40, s34, s25
	s_lshl_b64 s[36:37], s[36:37], 1
	s_ashr_i32 s41, s40, 31
	s_add_u32 s12, s20, s36
	s_addc_u32 s35, s21, s37
	s_lshl_b64 s[36:37], s[40:41], 1
	s_delay_alu instid0(SALU_CYCLE_1) | instskip(SKIP_1) | instid1(SALU_CYCLE_1)
	s_add_u32 s36, s12, s36
	s_addc_u32 s12, s35, s37
	s_and_b32 s37, s12, 0xffff
	s_clause 0x1
	buffer_load_b128 v[25:28], v18, s[36:39], 0 offen
	buffer_load_b128 v[29:32], v18, s[36:39], 16 offen
	s_waitcnt vmcnt(1)
	v_and_b32_e32 v34, 0xffff, v26
	v_lshrrev_b32_e32 v26, 16, v26
	v_lshrrev_b32_e32 v36, 16, v27
	s_waitcnt vmcnt(0)
	v_and_b32_e32 v41, 0xffff, v30
	v_lshrrev_b32_e32 v42, 16, v30
	v_and_b32_e32 v37, 0xffff, v28
	v_cvt_f32_u32_e32 v26, v26
	v_and_b32_e32 v33, 0xffff, v25
	v_lshrrev_b32_e32 v25, 16, v25
	v_lshrrev_b32_e32 v38, 16, v28
	s_delay_alu instid0(VALU_DEP_4) | instskip(SKIP_1) | instid1(VALU_DEP_4)
	v_dual_mul_f32 v30, v15, v26 :: v_dual_and_b32 v39, 0xffff, v29
	v_lshrrev_b32_e32 v40, 16, v29
	v_cvt_f32_u32_e32 v25, v25
	v_and_b32_e32 v35, 0xffff, v27
	v_cvt_f32_u32_e32 v27, v33
	v_lshrrev_b32_e32 v44, 16, v31
	s_delay_alu instid0(VALU_DEP_4) | instskip(NEXT) | instid1(VALU_DEP_4)
	v_dual_mul_f32 v28, v13, v25 :: v_dual_and_b32 v45, 0xffff, v32
	v_cvt_f32_u32_e32 v25, v35
	s_delay_alu instid0(VALU_DEP_4) | instskip(SKIP_2) | instid1(VALU_DEP_4)
	v_mul_f32_e32 v27, v12, v27
	v_cvt_f32_u32_e32 v29, v34
	v_lshrrev_b32_e32 v33, 16, v32
	v_mul_f32_e32 v34, v8, v25
	s_delay_alu instid0(VALU_DEP_4)
	v_max3_f32 v26, |v27|, 0x2edbe6ff, |v28|
	v_cvt_f32_u32_e32 v32, v37
	v_cvt_f32_u32_e32 v37, v40
	;; [unrolled: 1-line block ×3, first 2 shown]
	v_and_b32_e32 v43, 0xffff, v31
	v_cvt_f32_u32_e32 v31, v36
	v_cvt_f32_u32_e32 v42, v44
	v_mul_f32_e32 v29, v14, v29
	v_cvt_f32_u32_e32 v36, v38
	s_delay_alu instid0(VALU_DEP_4) | instskip(SKIP_1) | instid1(VALU_DEP_4)
	v_dual_mul_f32 v38, v10, v32 :: v_dual_mul_f32 v35, v9, v31
	v_mul_f32_e32 v32, v5, v37
	v_max3_f32 v25, v26, |v29|, |v30|
	v_cvt_f32_u32_e32 v26, v39
	v_mul_f32_e32 v39, v11, v36
	v_cvt_f32_u32_e32 v36, v41
	v_cvt_f32_u32_e32 v44, v33
	v_max3_f32 v25, v25, |v34|, |v35|
	v_dual_mul_f32 v31, v4, v26 :: v_dual_mul_f32 v26, v7, v40
	v_mul_f32_e32 v40, v1, v42
	v_cvt_f32_u32_e32 v41, v43
	s_delay_alu instid0(VALU_DEP_4) | instskip(NEXT) | instid1(VALU_DEP_2)
	v_max3_f32 v37, v25, |v38|, |v39|
	v_dual_mul_f32 v25, v6, v36 :: v_dual_mul_f32 v36, v0, v41
	s_delay_alu instid0(VALU_DEP_2) | instskip(SKIP_1) | instid1(VALU_DEP_2)
	v_max3_f32 v37, v37, |v31|, |v32|
	v_cvt_f32_u32_e32 v43, v45
	v_max3_f32 v41, v37, |v25|, |v26|
	s_delay_alu instid0(VALU_DEP_2) | instskip(SKIP_1) | instid1(VALU_DEP_3)
	v_mul_f32_e32 v33, v2, v43
	v_mul_f32_e32 v37, v3, v44
	v_max3_f32 v41, v41, |v36|, |v40|
	s_delay_alu instid0(VALU_DEP_1) | instskip(NEXT) | instid1(VALU_DEP_1)
	v_max3_f32 v41, v41, |v33|, |v37|
	v_mov_b32_dpp v42, v41 quad_perm:[1,0,3,2] row_mask:0xf bank_mask:0xf
	s_delay_alu instid0(VALU_DEP_1) | instskip(SKIP_1) | instid1(VALU_DEP_1)
	v_cmp_gt_f32_e32 vcc_lo, v41, v42
	v_cndmask_b32_e32 v41, v42, v41, vcc_lo
	v_mov_b32_dpp v42, v41 quad_perm:[2,3,0,1] row_mask:0xf bank_mask:0xf
	s_delay_alu instid0(VALU_DEP_1) | instskip(SKIP_1) | instid1(VALU_DEP_1)
	v_cmp_gt_f32_e32 vcc_lo, v41, v42
	v_cndmask_b32_e32 v41, v42, v41, vcc_lo
	v_mov_b32_dpp v42, v41 row_xmask:7 row_mask:0xf bank_mask:0xf
	s_delay_alu instid0(VALU_DEP_1) | instskip(SKIP_1) | instid1(VALU_DEP_1)
	v_cmp_gt_f32_e32 vcc_lo, v41, v42
	v_cndmask_b32_e32 v41, v42, v41, vcc_lo
	v_mov_b32_dpp v42, v41 row_xmask:15 row_mask:0xf bank_mask:0xf
	s_delay_alu instid0(VALU_DEP_1)
	v_cmp_gt_f32_e32 vcc_lo, v41, v42
	s_and_saveexec_b32 s12, s1
	s_cbranch_execz .LBB223_13
; %bb.12:                               ;   in Loop: Header=BB223_10 Depth=2
	v_cndmask_b32_e32 v41, v42, v41, vcc_lo
	s_delay_alu instid0(VALU_DEP_1) | instskip(NEXT) | instid1(VALU_DEP_1)
	v_permlanex16_b32 v42, v41, s27, 0xfedcba98 op_sel:[1,1]
	v_cmp_gt_f32_e32 vcc_lo, v41, v42
	v_cndmask_b32_e32 v41, v42, v41, vcc_lo
	ds_store_b32 v20, v41
.LBB223_13:                             ;   in Loop: Header=BB223_10 Depth=2
	s_or_b32 exec_lo, exec_lo, s12
	s_waitcnt lgkmcnt(0)
	s_waitcnt_vscnt null, 0x0
	s_barrier
	buffer_gl0_inv
	ds_load_b32 v41, v21
	s_mov_b32 s35, -1
                                        ; implicit-def: $sgpr12
	s_waitcnt lgkmcnt(0)
	v_mov_b32_dpp v42, v41 quad_perm:[1,0,3,2] row_mask:0xf bank_mask:0xf
	s_delay_alu instid0(VALU_DEP_1) | instskip(SKIP_1) | instid1(VALU_DEP_1)
	v_cmp_gt_f32_e32 vcc_lo, v41, v42
	v_cndmask_b32_e32 v41, v42, v41, vcc_lo
	v_mov_b32_dpp v42, v41 quad_perm:[2,3,0,1] row_mask:0xf bank_mask:0xf
	s_delay_alu instid0(VALU_DEP_1) | instskip(SKIP_2) | instid1(VALU_DEP_1)
	v_cmp_gt_f32_e32 vcc_lo, v41, v42
	v_cndmask_b32_e32 v41, v42, v41, vcc_lo
	s_and_b32 vcc_lo, exec_lo, s14
	v_mov_b32_dpp v42, v41 row_xmask:7 row_mask:0xf bank_mask:0xf
	s_cbranch_vccz .LBB223_15
; %bb.14:                               ;   in Loop: Header=BB223_10 Depth=2
	s_mul_i32 s12, s13, s9
	s_mov_b32 s35, 0
	s_add_i32 s12, s12, s34
.LBB223_15:                             ;   in Loop: Header=BB223_10 Depth=2
	s_and_not1_b32 vcc_lo, exec_lo, s35
	s_cbranch_vccnz .LBB223_17
; %bb.16:                               ;   in Loop: Header=BB223_10 Depth=2
	s_mul_i32 s12, s34, s5
	s_delay_alu instid0(SALU_CYCLE_1)
	s_add_i32 s12, s12, s13
.LBB223_17:                             ;   in Loop: Header=BB223_10 Depth=2
	s_delay_alu instid0(VALU_DEP_1) | instskip(SKIP_1) | instid1(VALU_DEP_1)
	v_cmp_gt_f32_e32 vcc_lo, v41, v42
	v_cndmask_b32_e32 v41, v42, v41, vcc_lo
	v_mul_f32_e32 v41, 0x3c010204, v41
	s_and_saveexec_b32 s34, s0
	s_cbranch_execz .LBB223_19
; %bb.18:                               ;   in Loop: Header=BB223_10 Depth=2
	s_ashr_i32 s13, s12, 31
	s_delay_alu instid0(SALU_CYCLE_1) | instskip(NEXT) | instid1(SALU_CYCLE_1)
	s_lshl_b64 s[36:37], s[12:13], 2
	s_add_u32 s36, s18, s36
	s_addc_u32 s37, s19, s37
	global_store_b32 v22, v41, s[36:37]
.LBB223_19:                             ;   in Loop: Header=BB223_10 Depth=2
	s_or_b32 exec_lo, exec_lo, s34
	s_and_saveexec_b32 s13, s2
	s_cbranch_execz .LBB223_8
; %bb.20:                               ;   in Loop: Header=BB223_10 Depth=2
	v_rcp_f32_e32 v41, v41
	s_mul_i32 s34, s12, s8
	s_mul_hi_i32 s12, s12, s8
	s_add_u32 s48, s16, s34
	s_addc_u32 s12, s17, s12
	s_mov_b32 s51, s39
	s_and_b32 s49, s12, 0xffff
	s_waitcnt_depctr 0xfff
	v_mul_f32_e32 v31, v31, v41
	v_mul_f32_e32 v32, v32, v41
	;; [unrolled: 1-line block ×5, first 2 shown]
	v_cvt_i32_f32_e32 v31, v31
	v_cvt_i32_f32_e32 v32, v32
	;; [unrolled: 1-line block ×4, first 2 shown]
	v_mul_f32_e32 v27, v27, v41
	v_dual_mul_f32 v28, v28, v41 :: v_dual_and_b32 v31, 0xff, v31
	s_delay_alu instid0(VALU_DEP_4) | instskip(NEXT) | instid1(VALU_DEP_4)
	v_lshlrev_b16 v40, 8, v40
	v_and_b32_e32 v36, 0xff, v36
	v_lshlrev_b16 v32, 8, v32
	v_cvt_i32_f32_e32 v27, v27
	v_cvt_i32_f32_e32 v28, v28
	v_mul_f32_e32 v38, v38, v41
	v_or_b32_e32 v36, v36, v40
	v_mul_f32_e32 v29, v29, v41
	v_or_b32_e32 v31, v31, v32
	v_mul_f32_e32 v30, v30, v41
	v_lshlrev_b16 v28, 8, v28
	v_and_b32_e32 v32, 0xffff, v36
	v_cvt_i32_f32_e32 v29, v29
	v_and_b32_e32 v31, 0xffff, v31
	v_cvt_i32_f32_e32 v30, v30
	;; [unrolled: 2-line block ×4, first 2 shown]
	v_lshlrev_b16 v30, 8, v30
	v_or_b32_e32 v27, v27, v28
	v_mul_f32_e32 v34, v34, v41
	v_and_b32_e32 v33, 0xff, v33
	v_mul_f32_e32 v26, v26, v41
	v_or_b32_e32 v28, v29, v30
	v_mul_f32_e32 v37, v37, v41
	v_dual_mul_f32 v25, v25, v41 :: v_dual_and_b32 v30, 0xffff, v27
	s_delay_alu instid0(VALU_DEP_4) | instskip(NEXT) | instid1(VALU_DEP_3)
	v_cvt_i32_f32_e32 v26, v26
	v_cvt_i32_f32_e32 v37, v37
	s_delay_alu instid0(VALU_DEP_3) | instskip(NEXT) | instid1(VALU_DEP_3)
	v_cvt_i32_f32_e32 v25, v25
	v_lshlrev_b16 v26, 8, v26
	s_delay_alu instid0(VALU_DEP_3) | instskip(NEXT) | instid1(VALU_DEP_3)
	v_lshlrev_b16 v37, 8, v37
	v_and_b32_e32 v25, 0xff, v25
	s_delay_alu instid0(VALU_DEP_2)
	v_or_b32_e32 v33, v33, v37
	v_and_b32_e32 v37, 0xff, v38
	v_cvt_i32_f32_e32 v34, v34
	v_mul_f32_e32 v35, v35, v41
	v_or_b32_e32 v25, v25, v26
	v_lshlrev_b32_e32 v33, 16, v33
	s_delay_alu instid0(VALU_DEP_4) | instskip(NEXT) | instid1(VALU_DEP_4)
	v_and_b32_e32 v34, 0xff, v34
	v_cvt_i32_f32_e32 v35, v35
	s_delay_alu instid0(VALU_DEP_4) | instskip(NEXT) | instid1(VALU_DEP_2)
	v_lshlrev_b32_e32 v25, 16, v25
	v_lshlrev_b16 v35, 8, v35
	s_delay_alu instid0(VALU_DEP_2) | instskip(NEXT) | instid1(VALU_DEP_2)
	v_or_b32_e32 v27, v31, v25
	v_or_b32_e32 v26, v34, v35
	s_delay_alu instid0(VALU_DEP_1) | instskip(NEXT) | instid1(VALU_DEP_1)
	v_dual_mul_f32 v39, v39, v41 :: v_dual_and_b32 v26, 0xffff, v26
	v_cvt_i32_f32_e32 v39, v39
	s_delay_alu instid0(VALU_DEP_1) | instskip(NEXT) | instid1(VALU_DEP_1)
	v_lshlrev_b16 v36, 8, v39
	v_or_b32_e32 v34, v37, v36
	s_delay_alu instid0(VALU_DEP_1) | instskip(SKIP_2) | instid1(VALU_DEP_3)
	v_lshlrev_b32_e32 v29, 16, v34
	v_lshlrev_b32_e32 v34, 16, v28
	v_or_b32_e32 v28, v32, v33
	v_or_b32_e32 v26, v26, v29
	s_delay_alu instid0(VALU_DEP_3)
	v_or_b32_e32 v25, v30, v34
	buffer_store_b128 v[25:28], v16, s[48:51], 0 offen
	;;#ASMSTART
	s_nop 0
	;;#ASMEND
	s_branch .LBB223_8
.LBB223_21:
	s_nop 0
	s_sendmsg sendmsg(MSG_DEALLOC_VGPRS)
	s_endpgm
	.section	.rodata,"a",@progbits
	.p2align	6, 0x0
	.amdhsa_kernel _ZN5aiter43moe_smooth_per_token_scaled_quant_kernel_v2ItaLi256ELi16EEEvPT0_PfPT_S3_PiS6_S6_iiiiiiiiiibb
		.amdhsa_group_segment_fixed_size 32
		.amdhsa_private_segment_fixed_size 0
		.amdhsa_kernarg_size 100
		.amdhsa_user_sgpr_count 15
		.amdhsa_user_sgpr_dispatch_ptr 0
		.amdhsa_user_sgpr_queue_ptr 0
		.amdhsa_user_sgpr_kernarg_segment_ptr 1
		.amdhsa_user_sgpr_dispatch_id 0
		.amdhsa_user_sgpr_private_segment_size 0
		.amdhsa_wavefront_size32 1
		.amdhsa_uses_dynamic_stack 0
		.amdhsa_enable_private_segment 0
		.amdhsa_system_sgpr_workgroup_id_x 1
		.amdhsa_system_sgpr_workgroup_id_y 0
		.amdhsa_system_sgpr_workgroup_id_z 0
		.amdhsa_system_sgpr_workgroup_info 0
		.amdhsa_system_vgpr_workitem_id 0
		.amdhsa_next_free_vgpr 46
		.amdhsa_next_free_sgpr 52
		.amdhsa_reserve_vcc 1
		.amdhsa_float_round_mode_32 0
		.amdhsa_float_round_mode_16_64 0
		.amdhsa_float_denorm_mode_32 3
		.amdhsa_float_denorm_mode_16_64 3
		.amdhsa_dx10_clamp 1
		.amdhsa_ieee_mode 1
		.amdhsa_fp16_overflow 0
		.amdhsa_workgroup_processor_mode 1
		.amdhsa_memory_ordered 1
		.amdhsa_forward_progress 0
		.amdhsa_shared_vgpr_count 0
		.amdhsa_exception_fp_ieee_invalid_op 0
		.amdhsa_exception_fp_denorm_src 0
		.amdhsa_exception_fp_ieee_div_zero 0
		.amdhsa_exception_fp_ieee_overflow 0
		.amdhsa_exception_fp_ieee_underflow 0
		.amdhsa_exception_fp_ieee_inexact 0
		.amdhsa_exception_int_div_zero 0
	.end_amdhsa_kernel
	.section	.text._ZN5aiter43moe_smooth_per_token_scaled_quant_kernel_v2ItaLi256ELi16EEEvPT0_PfPT_S3_PiS6_S6_iiiiiiiiiibb,"axG",@progbits,_ZN5aiter43moe_smooth_per_token_scaled_quant_kernel_v2ItaLi256ELi16EEEvPT0_PfPT_S3_PiS6_S6_iiiiiiiiiibb,comdat
.Lfunc_end223:
	.size	_ZN5aiter43moe_smooth_per_token_scaled_quant_kernel_v2ItaLi256ELi16EEEvPT0_PfPT_S3_PiS6_S6_iiiiiiiiiibb, .Lfunc_end223-_ZN5aiter43moe_smooth_per_token_scaled_quant_kernel_v2ItaLi256ELi16EEEvPT0_PfPT_S3_PiS6_S6_iiiiiiiiiibb
                                        ; -- End function
	.section	.AMDGPU.csdata,"",@progbits
; Kernel info:
; codeLenInByte = 1740
; NumSgprs: 54
; NumVgprs: 46
; ScratchSize: 0
; MemoryBound: 0
; FloatMode: 240
; IeeeMode: 1
; LDSByteSize: 32 bytes/workgroup (compile time only)
; SGPRBlocks: 6
; VGPRBlocks: 5
; NumSGPRsForWavesPerEU: 54
; NumVGPRsForWavesPerEU: 46
; Occupancy: 16
; WaveLimiterHint : 0
; COMPUTE_PGM_RSRC2:SCRATCH_EN: 0
; COMPUTE_PGM_RSRC2:USER_SGPR: 15
; COMPUTE_PGM_RSRC2:TRAP_HANDLER: 0
; COMPUTE_PGM_RSRC2:TGID_X_EN: 1
; COMPUTE_PGM_RSRC2:TGID_Y_EN: 0
; COMPUTE_PGM_RSRC2:TGID_Z_EN: 0
; COMPUTE_PGM_RSRC2:TIDIG_COMP_CNT: 0
	.section	.text._ZN5aiter43moe_smooth_per_token_scaled_quant_kernel_v2IDF16_aLi512ELi16EEEvPT0_PfPT_S3_PiS6_S6_iiiiiiiiiibb,"axG",@progbits,_ZN5aiter43moe_smooth_per_token_scaled_quant_kernel_v2IDF16_aLi512ELi16EEEvPT0_PfPT_S3_PiS6_S6_iiiiiiiiiibb,comdat
	.protected	_ZN5aiter43moe_smooth_per_token_scaled_quant_kernel_v2IDF16_aLi512ELi16EEEvPT0_PfPT_S3_PiS6_S6_iiiiiiiiiibb ; -- Begin function _ZN5aiter43moe_smooth_per_token_scaled_quant_kernel_v2IDF16_aLi512ELi16EEEvPT0_PfPT_S3_PiS6_S6_iiiiiiiiiibb
	.globl	_ZN5aiter43moe_smooth_per_token_scaled_quant_kernel_v2IDF16_aLi512ELi16EEEvPT0_PfPT_S3_PiS6_S6_iiiiiiiiiibb
	.p2align	8
	.type	_ZN5aiter43moe_smooth_per_token_scaled_quant_kernel_v2IDF16_aLi512ELi16EEEvPT0_PfPT_S3_PiS6_S6_iiiiiiiiiibb,@function
_ZN5aiter43moe_smooth_per_token_scaled_quant_kernel_v2IDF16_aLi512ELi16EEEvPT0_PfPT_S3_PiS6_S6_iiiiiiiiiibb: ; @_ZN5aiter43moe_smooth_per_token_scaled_quant_kernel_v2IDF16_aLi512ELi16EEEvPT0_PfPT_S3_PiS6_S6_iiiiiiiiiibb
; %bb.0:
	s_load_b256 s[4:11], s[0:1], 0x38
	s_waitcnt lgkmcnt(0)
	s_cmp_ge_i32 s15, s6
	s_cbranch_scc1 .LBB224_21
; %bb.1:
	s_clause 0x3
	s_load_b128 s[24:27], s[0:1], 0x58
	s_load_b64 s[2:3], s[0:1], 0x30
	s_load_b128 s[28:31], s[0:1], 0x20
	s_load_b256 s[16:23], s[0:1], 0x0
	v_dual_mov_b32 v22, 0 :: v_dual_and_b32 v1, 31, v0
	v_lshrrev_b32_e32 v2, 3, v0
	v_and_b32_e32 v3, 15, v0
	v_lshlrev_b32_e32 v16, 4, v0
	v_lshlrev_b32_e32 v17, 6, v0
	;; [unrolled: 1-line block ×3, first 2 shown]
	v_cmp_eq_u32_e64 s0, 0, v0
	v_lshlrev_b32_e32 v19, 2, v1
	v_cmp_eq_u32_e64 s1, 31, v1
	v_and_b32_e32 v20, 0x7c, v2
	v_lshlrev_b32_e32 v21, 2, v3
	s_mov_b32 s39, -1
	s_waitcnt lgkmcnt(0)
	s_bitcmp1_b32 s26, 8
	s_load_b32 s3, s[2:3], 0x0
	s_cselect_b32 s2, -1, 0
	s_ashr_i32 s10, s10, s11
	s_lshl_b32 s42, s8, 2
	s_xor_b32 s14, s2, -1
	s_lshl_b32 s46, s10, 2
	s_cmp_gt_i32 s10, 0
	s_cselect_b32 s26, -1, 0
	s_add_i32 s2, s8, 15
	s_add_i32 s12, s8, 3
	s_ashr_i32 s13, s2, 31
	s_ashr_i32 s27, s12, 31
	s_lshr_b32 s13, s13, 28
	s_lshl_b32 s38, s8, 1
	s_add_i32 s2, s2, s13
	s_lshr_b32 s13, s27, 30
	s_ashr_i32 s2, s2, 4
	s_add_i32 s12, s12, s13
	v_cmp_gt_u32_e64 s2, s2, v0
	s_and_b32 s50, s12, -4
	s_mov_b32 s27, 0x76543210
	s_branch .LBB224_4
.LBB224_2:                              ;   in Loop: Header=BB224_4 Depth=1
	s_mov_b32 s13, -1
.LBB224_3:                              ;   in Loop: Header=BB224_4 Depth=1
	s_add_i32 s15, s15, s7
	s_delay_alu instid0(SALU_CYCLE_1) | instskip(SKIP_1) | instid1(SALU_CYCLE_1)
	s_cmp_lt_i32 s15, s6
	s_cselect_b32 s12, -1, 0
	s_and_b32 s12, s13, s12
	s_delay_alu instid0(SALU_CYCLE_1)
	s_and_b32 vcc_lo, exec_lo, s12
	s_cbranch_vccz .LBB224_21
.LBB224_4:                              ; =>This Loop Header: Depth=1
                                        ;     Child Loop BB224_10 Depth 2
	s_mul_i32 s12, s15, s10
	s_mov_b32 s13, 0
	s_waitcnt lgkmcnt(0)
	s_cmp_ge_i32 s12, s3
	s_cbranch_scc1 .LBB224_3
; %bb.5:                                ;   in Loop: Header=BB224_4 Depth=1
	s_ashr_i32 s34, s15, s11
	s_delay_alu instid0(SALU_CYCLE_1) | instskip(NEXT) | instid1(SALU_CYCLE_1)
	s_ashr_i32 s35, s34, 31
	s_lshl_b64 s[34:35], s[34:35], 2
	s_delay_alu instid0(SALU_CYCLE_1)
	s_add_u32 s34, s30, s34
	s_addc_u32 s35, s31, s35
	s_load_b32 s33, s[34:35], 0x0
	s_waitcnt lgkmcnt(0)
	s_cmp_ge_i32 s33, s4
	s_cbranch_scc1 .LBB224_3
; %bb.6:                                ;   in Loop: Header=BB224_4 Depth=1
	s_and_not1_b32 vcc_lo, exec_lo, s26
	s_cbranch_vccnz .LBB224_2
; %bb.7:                                ;   in Loop: Header=BB224_4 Depth=1
	s_ashr_i32 s13, s12, 31
	s_mul_i32 s34, s33, s8
	s_lshl_b64 s[12:13], s[12:13], 2
	s_mov_b32 s47, s39
	s_add_u32 s44, s28, s12
	s_addc_u32 s12, s29, s13
	s_ashr_i32 s35, s34, 31
	s_and_b32 s45, s12, 0xffff
	s_lshl_b64 s[12:13], s[34:35], 2
	buffer_load_b32 v24, v19, s[44:47], 0 offen
	s_add_u32 s40, s22, s12
	s_addc_u32 s12, s23, s13
	s_mov_b32 s43, s39
	s_and_b32 s41, s12, 0xffff
	s_clause 0x3
	buffer_load_b128 v[0:3], v17, s[40:43], 48 offen
	buffer_load_b128 v[4:7], v17, s[40:43], 32 offen
	;; [unrolled: 1-line block ×4, first 2 shown]
	s_mov_b32 s33, 0
	s_waitcnt vmcnt(4)
	v_and_b32_e32 v23, 0xffffff, v24
	v_ashrrev_i32_e32 v24, 24, v24
	s_branch .LBB224_10
.LBB224_8:                              ;   in Loop: Header=BB224_10 Depth=2
	s_or_b32 exec_lo, exec_lo, s13
	s_add_i32 s33, s33, 1
	s_delay_alu instid0(SALU_CYCLE_1)
	s_cmp_eq_u32 s10, s33
	s_cselect_b32 s12, -1, 0
.LBB224_9:                              ;   in Loop: Header=BB224_10 Depth=2
	s_delay_alu instid0(SALU_CYCLE_1)
	s_and_b32 vcc_lo, exec_lo, s12
	s_cbranch_vccnz .LBB224_2
.LBB224_10:                             ;   Parent Loop BB224_4 Depth=1
                                        ; =>  This Inner Loop Header: Depth=2
	s_delay_alu instid0(VALU_DEP_2) | instskip(NEXT) | instid1(VALU_DEP_2)
	v_readlane_b32 s13, v23, s33
	v_readlane_b32 s34, v24, s33
	s_mov_b32 s12, -1
	s_delay_alu instid0(VALU_DEP_2)
	s_cmp_ge_i32 s13, s5
	s_cbranch_scc1 .LBB224_9
; %bb.11:                               ;   in Loop: Header=BB224_10 Depth=2
	s_mul_hi_i32 s37, s13, s24
	s_mul_i32 s36, s13, s24
	s_mul_i32 s40, s34, s25
	s_lshl_b64 s[36:37], s[36:37], 1
	s_ashr_i32 s41, s40, 31
	s_add_u32 s12, s20, s36
	s_addc_u32 s35, s21, s37
	s_lshl_b64 s[36:37], s[40:41], 1
	s_delay_alu instid0(SALU_CYCLE_1) | instskip(SKIP_1) | instid1(SALU_CYCLE_1)
	s_add_u32 s36, s12, s36
	s_addc_u32 s12, s35, s37
	s_and_b32 s37, s12, 0xffff
	s_clause 0x1
	buffer_load_b128 v[25:28], v18, s[36:39], 0 offen
	buffer_load_b128 v[30:33], v18, s[36:39], 16 offen
	s_waitcnt vmcnt(1)
	v_cvt_f32_f16_e32 v29, v25
	v_lshrrev_b32_e32 v25, 16, v25
	v_cvt_f32_f16_e32 v34, v26
	v_lshrrev_b32_e32 v26, 16, v26
	;; [unrolled: 2-line block ×3, first 2 shown]
	v_cvt_f32_f16_e32 v25, v25
	v_cvt_f32_f16_e32 v37, v28
	v_lshrrev_b32_e32 v38, 16, v28
	v_cvt_f32_f16_e32 v26, v26
	v_mul_f32_e32 v27, v12, v29
	v_dual_mul_f32 v28, v13, v25 :: v_dual_mul_f32 v29, v14, v34
	s_waitcnt vmcnt(0)
	v_cvt_f32_f16_e32 v40, v30
	v_lshrrev_b32_e32 v39, 16, v30
	v_cvt_f32_f16_e32 v36, v36
	v_mul_f32_e32 v30, v15, v26
	v_max3_f32 v26, |v27|, 0x2edbe6ff, |v28|
	v_cvt_f32_f16_e32 v41, v38
	s_delay_alu instid0(VALU_DEP_4) | instskip(SKIP_1) | instid1(VALU_DEP_4)
	v_dual_mul_f32 v34, v8, v35 :: v_dual_mul_f32 v35, v9, v36
	v_cvt_f32_f16_e32 v25, v31
	v_max3_f32 v26, v26, |v29|, |v30|
	v_lshrrev_b32_e32 v31, 16, v31
	v_cvt_f32_f16_e32 v42, v39
	v_mul_f32_e32 v38, v10, v37
	v_mul_f32_e32 v39, v11, v41
	v_max3_f32 v26, v26, |v34|, |v35|
	v_cvt_f32_f16_e32 v36, v32
	v_lshrrev_b32_e32 v37, 16, v32
	v_mul_f32_e32 v32, v5, v42
	v_cvt_f32_f16_e32 v41, v31
	v_mul_f32_e32 v31, v4, v40
	v_max3_f32 v40, v26, |v38|, |v39|
	v_lshrrev_b32_e32 v42, 16, v33
	v_cvt_f32_f16_e32 v37, v37
	v_dual_mul_f32 v25, v6, v25 :: v_dual_mul_f32 v36, v0, v36
	v_mul_f32_e32 v26, v7, v41
	v_max3_f32 v41, v40, |v31|, |v32|
	v_cvt_f32_f16_e32 v33, v33
	v_cvt_f32_f16_e32 v42, v42
	v_mul_f32_e32 v40, v1, v37
	s_delay_alu instid0(VALU_DEP_4) | instskip(NEXT) | instid1(VALU_DEP_4)
	v_max3_f32 v41, v41, |v25|, |v26|
	v_mul_f32_e32 v33, v2, v33
	s_delay_alu instid0(VALU_DEP_4) | instskip(NEXT) | instid1(VALU_DEP_3)
	v_mul_f32_e32 v37, v3, v42
	v_max3_f32 v41, v41, |v36|, |v40|
	s_delay_alu instid0(VALU_DEP_1) | instskip(NEXT) | instid1(VALU_DEP_1)
	v_max3_f32 v41, v41, |v33|, |v37|
	v_mov_b32_dpp v42, v41 quad_perm:[1,0,3,2] row_mask:0xf bank_mask:0xf
	s_delay_alu instid0(VALU_DEP_1) | instskip(SKIP_1) | instid1(VALU_DEP_1)
	v_cmp_gt_f32_e32 vcc_lo, v41, v42
	v_cndmask_b32_e32 v41, v42, v41, vcc_lo
	v_mov_b32_dpp v42, v41 quad_perm:[2,3,0,1] row_mask:0xf bank_mask:0xf
	s_delay_alu instid0(VALU_DEP_1) | instskip(SKIP_1) | instid1(VALU_DEP_1)
	v_cmp_gt_f32_e32 vcc_lo, v41, v42
	v_cndmask_b32_e32 v41, v42, v41, vcc_lo
	v_mov_b32_dpp v42, v41 row_xmask:7 row_mask:0xf bank_mask:0xf
	s_delay_alu instid0(VALU_DEP_1) | instskip(SKIP_1) | instid1(VALU_DEP_1)
	v_cmp_gt_f32_e32 vcc_lo, v41, v42
	v_cndmask_b32_e32 v41, v42, v41, vcc_lo
	v_mov_b32_dpp v42, v41 row_xmask:15 row_mask:0xf bank_mask:0xf
	s_delay_alu instid0(VALU_DEP_1)
	v_cmp_gt_f32_e32 vcc_lo, v41, v42
	s_and_saveexec_b32 s12, s1
	s_cbranch_execz .LBB224_13
; %bb.12:                               ;   in Loop: Header=BB224_10 Depth=2
	v_cndmask_b32_e32 v41, v42, v41, vcc_lo
	s_delay_alu instid0(VALU_DEP_1) | instskip(NEXT) | instid1(VALU_DEP_1)
	v_permlanex16_b32 v42, v41, s27, 0xfedcba98 op_sel:[1,1]
	v_cmp_gt_f32_e32 vcc_lo, v41, v42
	v_cndmask_b32_e32 v41, v42, v41, vcc_lo
	ds_store_b32 v20, v41
.LBB224_13:                             ;   in Loop: Header=BB224_10 Depth=2
	s_or_b32 exec_lo, exec_lo, s12
	s_waitcnt lgkmcnt(0)
	s_waitcnt_vscnt null, 0x0
	s_barrier
	buffer_gl0_inv
	ds_load_b32 v41, v21
	s_mov_b32 s35, -1
                                        ; implicit-def: $sgpr12
	s_waitcnt lgkmcnt(0)
	v_mov_b32_dpp v42, v41 quad_perm:[1,0,3,2] row_mask:0xf bank_mask:0xf
	s_delay_alu instid0(VALU_DEP_1) | instskip(SKIP_1) | instid1(VALU_DEP_1)
	v_cmp_gt_f32_e32 vcc_lo, v41, v42
	v_cndmask_b32_e32 v41, v42, v41, vcc_lo
	v_mov_b32_dpp v42, v41 quad_perm:[2,3,0,1] row_mask:0xf bank_mask:0xf
	s_delay_alu instid0(VALU_DEP_1) | instskip(SKIP_1) | instid1(VALU_DEP_1)
	v_cmp_gt_f32_e32 vcc_lo, v41, v42
	v_cndmask_b32_e32 v41, v42, v41, vcc_lo
	v_mov_b32_dpp v42, v41 row_xmask:7 row_mask:0xf bank_mask:0xf
	s_delay_alu instid0(VALU_DEP_1) | instskip(SKIP_2) | instid1(VALU_DEP_1)
	v_cmp_gt_f32_e32 vcc_lo, v41, v42
	v_cndmask_b32_e32 v41, v42, v41, vcc_lo
	s_and_b32 vcc_lo, exec_lo, s14
	v_mov_b32_dpp v42, v41 row_xmask:15 row_mask:0xf bank_mask:0xf
	s_cbranch_vccz .LBB224_15
; %bb.14:                               ;   in Loop: Header=BB224_10 Depth=2
	s_mul_i32 s12, s13, s9
	s_mov_b32 s35, 0
	s_add_i32 s12, s12, s34
.LBB224_15:                             ;   in Loop: Header=BB224_10 Depth=2
	s_and_not1_b32 vcc_lo, exec_lo, s35
	s_cbranch_vccnz .LBB224_17
; %bb.16:                               ;   in Loop: Header=BB224_10 Depth=2
	s_mul_i32 s12, s34, s5
	s_delay_alu instid0(SALU_CYCLE_1)
	s_add_i32 s12, s12, s13
.LBB224_17:                             ;   in Loop: Header=BB224_10 Depth=2
	s_delay_alu instid0(VALU_DEP_1) | instskip(SKIP_1) | instid1(VALU_DEP_1)
	v_cmp_gt_f32_e32 vcc_lo, v41, v42
	v_cndmask_b32_e32 v41, v42, v41, vcc_lo
	v_mul_f32_e32 v41, 0x3c010204, v41
	s_and_saveexec_b32 s34, s0
	s_cbranch_execz .LBB224_19
; %bb.18:                               ;   in Loop: Header=BB224_10 Depth=2
	s_ashr_i32 s13, s12, 31
	s_delay_alu instid0(SALU_CYCLE_1) | instskip(NEXT) | instid1(SALU_CYCLE_1)
	s_lshl_b64 s[36:37], s[12:13], 2
	s_add_u32 s36, s18, s36
	s_addc_u32 s37, s19, s37
	global_store_b32 v22, v41, s[36:37]
.LBB224_19:                             ;   in Loop: Header=BB224_10 Depth=2
	s_or_b32 exec_lo, exec_lo, s34
	s_and_saveexec_b32 s13, s2
	s_cbranch_execz .LBB224_8
; %bb.20:                               ;   in Loop: Header=BB224_10 Depth=2
	v_rcp_f32_e32 v41, v41
	s_mul_i32 s34, s12, s8
	s_mul_hi_i32 s12, s12, s8
	s_add_u32 s48, s16, s34
	s_addc_u32 s12, s17, s12
	s_mov_b32 s51, s39
	s_and_b32 s49, s12, 0xffff
	s_waitcnt_depctr 0xfff
	v_mul_f32_e32 v31, v31, v41
	v_mul_f32_e32 v32, v32, v41
	;; [unrolled: 1-line block ×5, first 2 shown]
	v_cvt_i32_f32_e32 v31, v31
	v_cvt_i32_f32_e32 v32, v32
	;; [unrolled: 1-line block ×4, first 2 shown]
	v_mul_f32_e32 v27, v27, v41
	v_dual_mul_f32 v28, v28, v41 :: v_dual_and_b32 v31, 0xff, v31
	s_delay_alu instid0(VALU_DEP_4) | instskip(NEXT) | instid1(VALU_DEP_4)
	v_lshlrev_b16 v40, 8, v40
	v_and_b32_e32 v36, 0xff, v36
	v_lshlrev_b16 v32, 8, v32
	v_cvt_i32_f32_e32 v27, v27
	v_cvt_i32_f32_e32 v28, v28
	v_mul_f32_e32 v38, v38, v41
	v_or_b32_e32 v36, v36, v40
	v_mul_f32_e32 v29, v29, v41
	v_or_b32_e32 v31, v31, v32
	v_mul_f32_e32 v30, v30, v41
	v_lshlrev_b16 v28, 8, v28
	v_and_b32_e32 v32, 0xffff, v36
	v_cvt_i32_f32_e32 v29, v29
	v_and_b32_e32 v31, 0xffff, v31
	v_cvt_i32_f32_e32 v30, v30
	;; [unrolled: 2-line block ×4, first 2 shown]
	v_lshlrev_b16 v30, 8, v30
	v_or_b32_e32 v27, v27, v28
	v_mul_f32_e32 v34, v34, v41
	v_and_b32_e32 v33, 0xff, v33
	v_mul_f32_e32 v26, v26, v41
	v_or_b32_e32 v28, v29, v30
	v_mul_f32_e32 v37, v37, v41
	v_dual_mul_f32 v25, v25, v41 :: v_dual_and_b32 v30, 0xffff, v27
	s_delay_alu instid0(VALU_DEP_4) | instskip(NEXT) | instid1(VALU_DEP_3)
	v_cvt_i32_f32_e32 v26, v26
	v_cvt_i32_f32_e32 v37, v37
	s_delay_alu instid0(VALU_DEP_3) | instskip(NEXT) | instid1(VALU_DEP_3)
	v_cvt_i32_f32_e32 v25, v25
	v_lshlrev_b16 v26, 8, v26
	s_delay_alu instid0(VALU_DEP_3) | instskip(NEXT) | instid1(VALU_DEP_3)
	v_lshlrev_b16 v37, 8, v37
	v_and_b32_e32 v25, 0xff, v25
	s_delay_alu instid0(VALU_DEP_2)
	v_or_b32_e32 v33, v33, v37
	v_and_b32_e32 v37, 0xff, v38
	v_cvt_i32_f32_e32 v34, v34
	v_mul_f32_e32 v35, v35, v41
	v_or_b32_e32 v25, v25, v26
	v_lshlrev_b32_e32 v33, 16, v33
	s_delay_alu instid0(VALU_DEP_4) | instskip(NEXT) | instid1(VALU_DEP_4)
	v_and_b32_e32 v34, 0xff, v34
	v_cvt_i32_f32_e32 v35, v35
	s_delay_alu instid0(VALU_DEP_4) | instskip(NEXT) | instid1(VALU_DEP_2)
	v_lshlrev_b32_e32 v25, 16, v25
	v_lshlrev_b16 v35, 8, v35
	s_delay_alu instid0(VALU_DEP_2) | instskip(NEXT) | instid1(VALU_DEP_2)
	v_or_b32_e32 v27, v31, v25
	v_or_b32_e32 v26, v34, v35
	s_delay_alu instid0(VALU_DEP_1) | instskip(NEXT) | instid1(VALU_DEP_1)
	v_dual_mul_f32 v39, v39, v41 :: v_dual_and_b32 v26, 0xffff, v26
	v_cvt_i32_f32_e32 v39, v39
	s_delay_alu instid0(VALU_DEP_1) | instskip(NEXT) | instid1(VALU_DEP_1)
	v_lshlrev_b16 v36, 8, v39
	v_or_b32_e32 v34, v37, v36
	s_delay_alu instid0(VALU_DEP_1) | instskip(SKIP_2) | instid1(VALU_DEP_3)
	v_lshlrev_b32_e32 v29, 16, v34
	v_lshlrev_b32_e32 v34, 16, v28
	v_or_b32_e32 v28, v32, v33
	v_or_b32_e32 v26, v26, v29
	s_delay_alu instid0(VALU_DEP_3)
	v_or_b32_e32 v25, v30, v34
	buffer_store_b128 v[25:28], v16, s[48:51], 0 offen
	;;#ASMSTART
	s_nop 0
	;;#ASMEND
	s_branch .LBB224_8
.LBB224_21:
	s_nop 0
	s_sendmsg sendmsg(MSG_DEALLOC_VGPRS)
	s_endpgm
	.section	.rodata,"a",@progbits
	.p2align	6, 0x0
	.amdhsa_kernel _ZN5aiter43moe_smooth_per_token_scaled_quant_kernel_v2IDF16_aLi512ELi16EEEvPT0_PfPT_S3_PiS6_S6_iiiiiiiiiibb
		.amdhsa_group_segment_fixed_size 64
		.amdhsa_private_segment_fixed_size 0
		.amdhsa_kernarg_size 100
		.amdhsa_user_sgpr_count 15
		.amdhsa_user_sgpr_dispatch_ptr 0
		.amdhsa_user_sgpr_queue_ptr 0
		.amdhsa_user_sgpr_kernarg_segment_ptr 1
		.amdhsa_user_sgpr_dispatch_id 0
		.amdhsa_user_sgpr_private_segment_size 0
		.amdhsa_wavefront_size32 1
		.amdhsa_uses_dynamic_stack 0
		.amdhsa_enable_private_segment 0
		.amdhsa_system_sgpr_workgroup_id_x 1
		.amdhsa_system_sgpr_workgroup_id_y 0
		.amdhsa_system_sgpr_workgroup_id_z 0
		.amdhsa_system_sgpr_workgroup_info 0
		.amdhsa_system_vgpr_workitem_id 0
		.amdhsa_next_free_vgpr 43
		.amdhsa_next_free_sgpr 52
		.amdhsa_reserve_vcc 1
		.amdhsa_float_round_mode_32 0
		.amdhsa_float_round_mode_16_64 0
		.amdhsa_float_denorm_mode_32 3
		.amdhsa_float_denorm_mode_16_64 3
		.amdhsa_dx10_clamp 1
		.amdhsa_ieee_mode 1
		.amdhsa_fp16_overflow 0
		.amdhsa_workgroup_processor_mode 1
		.amdhsa_memory_ordered 1
		.amdhsa_forward_progress 0
		.amdhsa_shared_vgpr_count 0
		.amdhsa_exception_fp_ieee_invalid_op 0
		.amdhsa_exception_fp_denorm_src 0
		.amdhsa_exception_fp_ieee_div_zero 0
		.amdhsa_exception_fp_ieee_overflow 0
		.amdhsa_exception_fp_ieee_underflow 0
		.amdhsa_exception_fp_ieee_inexact 0
		.amdhsa_exception_int_div_zero 0
	.end_amdhsa_kernel
	.section	.text._ZN5aiter43moe_smooth_per_token_scaled_quant_kernel_v2IDF16_aLi512ELi16EEEvPT0_PfPT_S3_PiS6_S6_iiiiiiiiiibb,"axG",@progbits,_ZN5aiter43moe_smooth_per_token_scaled_quant_kernel_v2IDF16_aLi512ELi16EEEvPT0_PfPT_S3_PiS6_S6_iiiiiiiiiibb,comdat
.Lfunc_end224:
	.size	_ZN5aiter43moe_smooth_per_token_scaled_quant_kernel_v2IDF16_aLi512ELi16EEEvPT0_PfPT_S3_PiS6_S6_iiiiiiiiiibb, .Lfunc_end224-_ZN5aiter43moe_smooth_per_token_scaled_quant_kernel_v2IDF16_aLi512ELi16EEEvPT0_PfPT_S3_PiS6_S6_iiiiiiiiiibb
                                        ; -- End function
	.section	.AMDGPU.csdata,"",@progbits
; Kernel info:
; codeLenInByte = 1676
; NumSgprs: 54
; NumVgprs: 43
; ScratchSize: 0
; MemoryBound: 0
; FloatMode: 240
; IeeeMode: 1
; LDSByteSize: 64 bytes/workgroup (compile time only)
; SGPRBlocks: 6
; VGPRBlocks: 5
; NumSGPRsForWavesPerEU: 54
; NumVGPRsForWavesPerEU: 43
; Occupancy: 16
; WaveLimiterHint : 0
; COMPUTE_PGM_RSRC2:SCRATCH_EN: 0
; COMPUTE_PGM_RSRC2:USER_SGPR: 15
; COMPUTE_PGM_RSRC2:TRAP_HANDLER: 0
; COMPUTE_PGM_RSRC2:TGID_X_EN: 1
; COMPUTE_PGM_RSRC2:TGID_Y_EN: 0
; COMPUTE_PGM_RSRC2:TGID_Z_EN: 0
; COMPUTE_PGM_RSRC2:TIDIG_COMP_CNT: 0
	.section	.text._ZN5aiter43moe_smooth_per_token_scaled_quant_kernel_v2ItaLi512ELi16EEEvPT0_PfPT_S3_PiS6_S6_iiiiiiiiiibb,"axG",@progbits,_ZN5aiter43moe_smooth_per_token_scaled_quant_kernel_v2ItaLi512ELi16EEEvPT0_PfPT_S3_PiS6_S6_iiiiiiiiiibb,comdat
	.protected	_ZN5aiter43moe_smooth_per_token_scaled_quant_kernel_v2ItaLi512ELi16EEEvPT0_PfPT_S3_PiS6_S6_iiiiiiiiiibb ; -- Begin function _ZN5aiter43moe_smooth_per_token_scaled_quant_kernel_v2ItaLi512ELi16EEEvPT0_PfPT_S3_PiS6_S6_iiiiiiiiiibb
	.globl	_ZN5aiter43moe_smooth_per_token_scaled_quant_kernel_v2ItaLi512ELi16EEEvPT0_PfPT_S3_PiS6_S6_iiiiiiiiiibb
	.p2align	8
	.type	_ZN5aiter43moe_smooth_per_token_scaled_quant_kernel_v2ItaLi512ELi16EEEvPT0_PfPT_S3_PiS6_S6_iiiiiiiiiibb,@function
_ZN5aiter43moe_smooth_per_token_scaled_quant_kernel_v2ItaLi512ELi16EEEvPT0_PfPT_S3_PiS6_S6_iiiiiiiiiibb: ; @_ZN5aiter43moe_smooth_per_token_scaled_quant_kernel_v2ItaLi512ELi16EEEvPT0_PfPT_S3_PiS6_S6_iiiiiiiiiibb
; %bb.0:
	s_load_b256 s[4:11], s[0:1], 0x38
	s_waitcnt lgkmcnt(0)
	s_cmp_ge_i32 s15, s6
	s_cbranch_scc1 .LBB225_21
; %bb.1:
	s_clause 0x3
	s_load_b128 s[24:27], s[0:1], 0x58
	s_load_b64 s[2:3], s[0:1], 0x30
	s_load_b128 s[28:31], s[0:1], 0x20
	s_load_b256 s[16:23], s[0:1], 0x0
	v_dual_mov_b32 v22, 0 :: v_dual_and_b32 v1, 31, v0
	v_lshrrev_b32_e32 v2, 3, v0
	v_and_b32_e32 v3, 15, v0
	v_lshlrev_b32_e32 v16, 4, v0
	v_lshlrev_b32_e32 v17, 6, v0
	v_lshlrev_b32_e32 v18, 5, v0
	v_cmp_eq_u32_e64 s0, 0, v0
	v_lshlrev_b32_e32 v19, 2, v1
	v_cmp_eq_u32_e64 s1, 31, v1
	v_and_b32_e32 v20, 0x7c, v2
	v_lshlrev_b32_e32 v21, 2, v3
	s_mov_b32 s39, -1
	s_waitcnt lgkmcnt(0)
	s_bitcmp1_b32 s26, 8
	s_load_b32 s3, s[2:3], 0x0
	s_cselect_b32 s2, -1, 0
	s_ashr_i32 s10, s10, s11
	s_lshl_b32 s42, s8, 2
	s_xor_b32 s14, s2, -1
	s_lshl_b32 s46, s10, 2
	s_cmp_gt_i32 s10, 0
	s_cselect_b32 s26, -1, 0
	s_add_i32 s2, s8, 15
	s_add_i32 s12, s8, 3
	s_ashr_i32 s13, s2, 31
	s_ashr_i32 s27, s12, 31
	s_lshr_b32 s13, s13, 28
	s_lshl_b32 s38, s8, 1
	s_add_i32 s2, s2, s13
	s_lshr_b32 s13, s27, 30
	s_ashr_i32 s2, s2, 4
	s_add_i32 s12, s12, s13
	v_cmp_gt_u32_e64 s2, s2, v0
	s_and_b32 s50, s12, -4
	s_mov_b32 s27, 0x76543210
	s_branch .LBB225_4
.LBB225_2:                              ;   in Loop: Header=BB225_4 Depth=1
	s_mov_b32 s13, -1
.LBB225_3:                              ;   in Loop: Header=BB225_4 Depth=1
	s_add_i32 s15, s15, s7
	s_delay_alu instid0(SALU_CYCLE_1) | instskip(SKIP_1) | instid1(SALU_CYCLE_1)
	s_cmp_lt_i32 s15, s6
	s_cselect_b32 s12, -1, 0
	s_and_b32 s12, s13, s12
	s_delay_alu instid0(SALU_CYCLE_1)
	s_and_b32 vcc_lo, exec_lo, s12
	s_cbranch_vccz .LBB225_21
.LBB225_4:                              ; =>This Loop Header: Depth=1
                                        ;     Child Loop BB225_10 Depth 2
	s_mul_i32 s12, s15, s10
	s_mov_b32 s13, 0
	s_waitcnt lgkmcnt(0)
	s_cmp_ge_i32 s12, s3
	s_cbranch_scc1 .LBB225_3
; %bb.5:                                ;   in Loop: Header=BB225_4 Depth=1
	s_ashr_i32 s34, s15, s11
	s_delay_alu instid0(SALU_CYCLE_1) | instskip(NEXT) | instid1(SALU_CYCLE_1)
	s_ashr_i32 s35, s34, 31
	s_lshl_b64 s[34:35], s[34:35], 2
	s_delay_alu instid0(SALU_CYCLE_1)
	s_add_u32 s34, s30, s34
	s_addc_u32 s35, s31, s35
	s_load_b32 s33, s[34:35], 0x0
	s_waitcnt lgkmcnt(0)
	s_cmp_ge_i32 s33, s4
	s_cbranch_scc1 .LBB225_3
; %bb.6:                                ;   in Loop: Header=BB225_4 Depth=1
	s_and_not1_b32 vcc_lo, exec_lo, s26
	s_cbranch_vccnz .LBB225_2
; %bb.7:                                ;   in Loop: Header=BB225_4 Depth=1
	s_ashr_i32 s13, s12, 31
	s_mul_i32 s34, s33, s8
	s_lshl_b64 s[12:13], s[12:13], 2
	s_mov_b32 s47, s39
	s_add_u32 s44, s28, s12
	s_addc_u32 s12, s29, s13
	s_ashr_i32 s35, s34, 31
	s_and_b32 s45, s12, 0xffff
	s_lshl_b64 s[12:13], s[34:35], 2
	buffer_load_b32 v24, v19, s[44:47], 0 offen
	s_add_u32 s40, s22, s12
	s_addc_u32 s12, s23, s13
	s_mov_b32 s43, s39
	s_and_b32 s41, s12, 0xffff
	s_clause 0x3
	buffer_load_b128 v[0:3], v17, s[40:43], 48 offen
	buffer_load_b128 v[4:7], v17, s[40:43], 32 offen
	;; [unrolled: 1-line block ×4, first 2 shown]
	s_mov_b32 s33, 0
	s_waitcnt vmcnt(4)
	v_and_b32_e32 v23, 0xffffff, v24
	v_ashrrev_i32_e32 v24, 24, v24
	s_branch .LBB225_10
.LBB225_8:                              ;   in Loop: Header=BB225_10 Depth=2
	s_or_b32 exec_lo, exec_lo, s13
	s_add_i32 s33, s33, 1
	s_delay_alu instid0(SALU_CYCLE_1)
	s_cmp_eq_u32 s10, s33
	s_cselect_b32 s12, -1, 0
.LBB225_9:                              ;   in Loop: Header=BB225_10 Depth=2
	s_delay_alu instid0(SALU_CYCLE_1)
	s_and_b32 vcc_lo, exec_lo, s12
	s_cbranch_vccnz .LBB225_2
.LBB225_10:                             ;   Parent Loop BB225_4 Depth=1
                                        ; =>  This Inner Loop Header: Depth=2
	s_delay_alu instid0(VALU_DEP_2) | instskip(NEXT) | instid1(VALU_DEP_2)
	v_readlane_b32 s13, v23, s33
	v_readlane_b32 s34, v24, s33
	s_mov_b32 s12, -1
	s_delay_alu instid0(VALU_DEP_2)
	s_cmp_ge_i32 s13, s5
	s_cbranch_scc1 .LBB225_9
; %bb.11:                               ;   in Loop: Header=BB225_10 Depth=2
	s_mul_hi_i32 s37, s13, s24
	s_mul_i32 s36, s13, s24
	s_mul_i32 s40, s34, s25
	s_lshl_b64 s[36:37], s[36:37], 1
	s_ashr_i32 s41, s40, 31
	s_add_u32 s12, s20, s36
	s_addc_u32 s35, s21, s37
	s_lshl_b64 s[36:37], s[40:41], 1
	s_delay_alu instid0(SALU_CYCLE_1) | instskip(SKIP_1) | instid1(SALU_CYCLE_1)
	s_add_u32 s36, s12, s36
	s_addc_u32 s12, s35, s37
	s_and_b32 s37, s12, 0xffff
	s_clause 0x1
	buffer_load_b128 v[25:28], v18, s[36:39], 0 offen
	buffer_load_b128 v[29:32], v18, s[36:39], 16 offen
	s_waitcnt vmcnt(1)
	v_and_b32_e32 v34, 0xffff, v26
	v_lshrrev_b32_e32 v26, 16, v26
	v_lshrrev_b32_e32 v36, 16, v27
	s_waitcnt vmcnt(0)
	v_and_b32_e32 v41, 0xffff, v30
	v_lshrrev_b32_e32 v42, 16, v30
	v_and_b32_e32 v37, 0xffff, v28
	v_cvt_f32_u32_e32 v26, v26
	v_and_b32_e32 v33, 0xffff, v25
	v_lshrrev_b32_e32 v25, 16, v25
	v_lshrrev_b32_e32 v38, 16, v28
	s_delay_alu instid0(VALU_DEP_4) | instskip(SKIP_1) | instid1(VALU_DEP_4)
	v_dual_mul_f32 v30, v15, v26 :: v_dual_and_b32 v39, 0xffff, v29
	v_lshrrev_b32_e32 v40, 16, v29
	v_cvt_f32_u32_e32 v25, v25
	v_and_b32_e32 v35, 0xffff, v27
	v_cvt_f32_u32_e32 v27, v33
	v_lshrrev_b32_e32 v44, 16, v31
	s_delay_alu instid0(VALU_DEP_4) | instskip(NEXT) | instid1(VALU_DEP_4)
	v_dual_mul_f32 v28, v13, v25 :: v_dual_and_b32 v45, 0xffff, v32
	v_cvt_f32_u32_e32 v25, v35
	s_delay_alu instid0(VALU_DEP_4) | instskip(SKIP_2) | instid1(VALU_DEP_4)
	v_mul_f32_e32 v27, v12, v27
	v_cvt_f32_u32_e32 v29, v34
	v_lshrrev_b32_e32 v33, 16, v32
	v_mul_f32_e32 v34, v8, v25
	s_delay_alu instid0(VALU_DEP_4)
	v_max3_f32 v26, |v27|, 0x2edbe6ff, |v28|
	v_cvt_f32_u32_e32 v32, v37
	v_cvt_f32_u32_e32 v37, v40
	;; [unrolled: 1-line block ×3, first 2 shown]
	v_and_b32_e32 v43, 0xffff, v31
	v_cvt_f32_u32_e32 v31, v36
	v_cvt_f32_u32_e32 v42, v44
	v_mul_f32_e32 v29, v14, v29
	v_cvt_f32_u32_e32 v36, v38
	s_delay_alu instid0(VALU_DEP_4) | instskip(SKIP_1) | instid1(VALU_DEP_4)
	v_dual_mul_f32 v38, v10, v32 :: v_dual_mul_f32 v35, v9, v31
	v_mul_f32_e32 v32, v5, v37
	v_max3_f32 v25, v26, |v29|, |v30|
	v_cvt_f32_u32_e32 v26, v39
	v_mul_f32_e32 v39, v11, v36
	v_cvt_f32_u32_e32 v36, v41
	v_cvt_f32_u32_e32 v44, v33
	v_max3_f32 v25, v25, |v34|, |v35|
	v_dual_mul_f32 v31, v4, v26 :: v_dual_mul_f32 v26, v7, v40
	v_mul_f32_e32 v40, v1, v42
	v_cvt_f32_u32_e32 v41, v43
	s_delay_alu instid0(VALU_DEP_4) | instskip(NEXT) | instid1(VALU_DEP_2)
	v_max3_f32 v37, v25, |v38|, |v39|
	v_dual_mul_f32 v25, v6, v36 :: v_dual_mul_f32 v36, v0, v41
	s_delay_alu instid0(VALU_DEP_2) | instskip(SKIP_1) | instid1(VALU_DEP_2)
	v_max3_f32 v37, v37, |v31|, |v32|
	v_cvt_f32_u32_e32 v43, v45
	v_max3_f32 v41, v37, |v25|, |v26|
	s_delay_alu instid0(VALU_DEP_2) | instskip(SKIP_1) | instid1(VALU_DEP_3)
	v_mul_f32_e32 v33, v2, v43
	v_mul_f32_e32 v37, v3, v44
	v_max3_f32 v41, v41, |v36|, |v40|
	s_delay_alu instid0(VALU_DEP_1) | instskip(NEXT) | instid1(VALU_DEP_1)
	v_max3_f32 v41, v41, |v33|, |v37|
	v_mov_b32_dpp v42, v41 quad_perm:[1,0,3,2] row_mask:0xf bank_mask:0xf
	s_delay_alu instid0(VALU_DEP_1) | instskip(SKIP_1) | instid1(VALU_DEP_1)
	v_cmp_gt_f32_e32 vcc_lo, v41, v42
	v_cndmask_b32_e32 v41, v42, v41, vcc_lo
	v_mov_b32_dpp v42, v41 quad_perm:[2,3,0,1] row_mask:0xf bank_mask:0xf
	s_delay_alu instid0(VALU_DEP_1) | instskip(SKIP_1) | instid1(VALU_DEP_1)
	v_cmp_gt_f32_e32 vcc_lo, v41, v42
	v_cndmask_b32_e32 v41, v42, v41, vcc_lo
	v_mov_b32_dpp v42, v41 row_xmask:7 row_mask:0xf bank_mask:0xf
	s_delay_alu instid0(VALU_DEP_1) | instskip(SKIP_1) | instid1(VALU_DEP_1)
	v_cmp_gt_f32_e32 vcc_lo, v41, v42
	v_cndmask_b32_e32 v41, v42, v41, vcc_lo
	v_mov_b32_dpp v42, v41 row_xmask:15 row_mask:0xf bank_mask:0xf
	s_delay_alu instid0(VALU_DEP_1)
	v_cmp_gt_f32_e32 vcc_lo, v41, v42
	s_and_saveexec_b32 s12, s1
	s_cbranch_execz .LBB225_13
; %bb.12:                               ;   in Loop: Header=BB225_10 Depth=2
	v_cndmask_b32_e32 v41, v42, v41, vcc_lo
	s_delay_alu instid0(VALU_DEP_1) | instskip(NEXT) | instid1(VALU_DEP_1)
	v_permlanex16_b32 v42, v41, s27, 0xfedcba98 op_sel:[1,1]
	v_cmp_gt_f32_e32 vcc_lo, v41, v42
	v_cndmask_b32_e32 v41, v42, v41, vcc_lo
	ds_store_b32 v20, v41
.LBB225_13:                             ;   in Loop: Header=BB225_10 Depth=2
	s_or_b32 exec_lo, exec_lo, s12
	s_waitcnt lgkmcnt(0)
	s_waitcnt_vscnt null, 0x0
	s_barrier
	buffer_gl0_inv
	ds_load_b32 v41, v21
	s_mov_b32 s35, -1
                                        ; implicit-def: $sgpr12
	s_waitcnt lgkmcnt(0)
	v_mov_b32_dpp v42, v41 quad_perm:[1,0,3,2] row_mask:0xf bank_mask:0xf
	s_delay_alu instid0(VALU_DEP_1) | instskip(SKIP_1) | instid1(VALU_DEP_1)
	v_cmp_gt_f32_e32 vcc_lo, v41, v42
	v_cndmask_b32_e32 v41, v42, v41, vcc_lo
	v_mov_b32_dpp v42, v41 quad_perm:[2,3,0,1] row_mask:0xf bank_mask:0xf
	s_delay_alu instid0(VALU_DEP_1) | instskip(SKIP_1) | instid1(VALU_DEP_1)
	v_cmp_gt_f32_e32 vcc_lo, v41, v42
	v_cndmask_b32_e32 v41, v42, v41, vcc_lo
	v_mov_b32_dpp v42, v41 row_xmask:7 row_mask:0xf bank_mask:0xf
	s_delay_alu instid0(VALU_DEP_1) | instskip(SKIP_2) | instid1(VALU_DEP_1)
	v_cmp_gt_f32_e32 vcc_lo, v41, v42
	v_cndmask_b32_e32 v41, v42, v41, vcc_lo
	s_and_b32 vcc_lo, exec_lo, s14
	v_mov_b32_dpp v42, v41 row_xmask:15 row_mask:0xf bank_mask:0xf
	s_cbranch_vccz .LBB225_15
; %bb.14:                               ;   in Loop: Header=BB225_10 Depth=2
	s_mul_i32 s12, s13, s9
	s_mov_b32 s35, 0
	s_add_i32 s12, s12, s34
.LBB225_15:                             ;   in Loop: Header=BB225_10 Depth=2
	s_and_not1_b32 vcc_lo, exec_lo, s35
	s_cbranch_vccnz .LBB225_17
; %bb.16:                               ;   in Loop: Header=BB225_10 Depth=2
	s_mul_i32 s12, s34, s5
	s_delay_alu instid0(SALU_CYCLE_1)
	s_add_i32 s12, s12, s13
.LBB225_17:                             ;   in Loop: Header=BB225_10 Depth=2
	s_delay_alu instid0(VALU_DEP_1) | instskip(SKIP_1) | instid1(VALU_DEP_1)
	v_cmp_gt_f32_e32 vcc_lo, v41, v42
	v_cndmask_b32_e32 v41, v42, v41, vcc_lo
	v_mul_f32_e32 v41, 0x3c010204, v41
	s_and_saveexec_b32 s34, s0
	s_cbranch_execz .LBB225_19
; %bb.18:                               ;   in Loop: Header=BB225_10 Depth=2
	s_ashr_i32 s13, s12, 31
	s_delay_alu instid0(SALU_CYCLE_1) | instskip(NEXT) | instid1(SALU_CYCLE_1)
	s_lshl_b64 s[36:37], s[12:13], 2
	s_add_u32 s36, s18, s36
	s_addc_u32 s37, s19, s37
	global_store_b32 v22, v41, s[36:37]
.LBB225_19:                             ;   in Loop: Header=BB225_10 Depth=2
	s_or_b32 exec_lo, exec_lo, s34
	s_and_saveexec_b32 s13, s2
	s_cbranch_execz .LBB225_8
; %bb.20:                               ;   in Loop: Header=BB225_10 Depth=2
	v_rcp_f32_e32 v41, v41
	s_mul_i32 s34, s12, s8
	s_mul_hi_i32 s12, s12, s8
	s_add_u32 s48, s16, s34
	s_addc_u32 s12, s17, s12
	s_mov_b32 s51, s39
	s_and_b32 s49, s12, 0xffff
	s_waitcnt_depctr 0xfff
	v_mul_f32_e32 v31, v31, v41
	v_mul_f32_e32 v32, v32, v41
	;; [unrolled: 1-line block ×5, first 2 shown]
	v_cvt_i32_f32_e32 v31, v31
	v_cvt_i32_f32_e32 v32, v32
	v_cvt_i32_f32_e32 v40, v40
	v_cvt_i32_f32_e32 v36, v36
	v_mul_f32_e32 v27, v27, v41
	v_dual_mul_f32 v28, v28, v41 :: v_dual_and_b32 v31, 0xff, v31
	s_delay_alu instid0(VALU_DEP_4) | instskip(NEXT) | instid1(VALU_DEP_4)
	v_lshlrev_b16 v40, 8, v40
	v_and_b32_e32 v36, 0xff, v36
	v_lshlrev_b16 v32, 8, v32
	v_cvt_i32_f32_e32 v27, v27
	v_cvt_i32_f32_e32 v28, v28
	v_mul_f32_e32 v38, v38, v41
	v_or_b32_e32 v36, v36, v40
	v_mul_f32_e32 v29, v29, v41
	v_or_b32_e32 v31, v31, v32
	v_mul_f32_e32 v30, v30, v41
	v_lshlrev_b16 v28, 8, v28
	v_and_b32_e32 v32, 0xffff, v36
	v_cvt_i32_f32_e32 v29, v29
	v_and_b32_e32 v31, 0xffff, v31
	v_cvt_i32_f32_e32 v30, v30
	;; [unrolled: 2-line block ×4, first 2 shown]
	v_lshlrev_b16 v30, 8, v30
	v_or_b32_e32 v27, v27, v28
	v_mul_f32_e32 v34, v34, v41
	v_and_b32_e32 v33, 0xff, v33
	v_mul_f32_e32 v26, v26, v41
	v_or_b32_e32 v28, v29, v30
	v_mul_f32_e32 v37, v37, v41
	v_dual_mul_f32 v25, v25, v41 :: v_dual_and_b32 v30, 0xffff, v27
	s_delay_alu instid0(VALU_DEP_4) | instskip(NEXT) | instid1(VALU_DEP_3)
	v_cvt_i32_f32_e32 v26, v26
	v_cvt_i32_f32_e32 v37, v37
	s_delay_alu instid0(VALU_DEP_3) | instskip(NEXT) | instid1(VALU_DEP_3)
	v_cvt_i32_f32_e32 v25, v25
	v_lshlrev_b16 v26, 8, v26
	s_delay_alu instid0(VALU_DEP_3) | instskip(NEXT) | instid1(VALU_DEP_3)
	v_lshlrev_b16 v37, 8, v37
	v_and_b32_e32 v25, 0xff, v25
	s_delay_alu instid0(VALU_DEP_2)
	v_or_b32_e32 v33, v33, v37
	v_and_b32_e32 v37, 0xff, v38
	v_cvt_i32_f32_e32 v34, v34
	v_mul_f32_e32 v35, v35, v41
	v_or_b32_e32 v25, v25, v26
	v_lshlrev_b32_e32 v33, 16, v33
	s_delay_alu instid0(VALU_DEP_4) | instskip(NEXT) | instid1(VALU_DEP_4)
	v_and_b32_e32 v34, 0xff, v34
	v_cvt_i32_f32_e32 v35, v35
	s_delay_alu instid0(VALU_DEP_4) | instskip(NEXT) | instid1(VALU_DEP_2)
	v_lshlrev_b32_e32 v25, 16, v25
	v_lshlrev_b16 v35, 8, v35
	s_delay_alu instid0(VALU_DEP_2) | instskip(NEXT) | instid1(VALU_DEP_2)
	v_or_b32_e32 v27, v31, v25
	v_or_b32_e32 v26, v34, v35
	s_delay_alu instid0(VALU_DEP_1) | instskip(NEXT) | instid1(VALU_DEP_1)
	v_dual_mul_f32 v39, v39, v41 :: v_dual_and_b32 v26, 0xffff, v26
	v_cvt_i32_f32_e32 v39, v39
	s_delay_alu instid0(VALU_DEP_1) | instskip(NEXT) | instid1(VALU_DEP_1)
	v_lshlrev_b16 v36, 8, v39
	v_or_b32_e32 v34, v37, v36
	s_delay_alu instid0(VALU_DEP_1) | instskip(SKIP_2) | instid1(VALU_DEP_3)
	v_lshlrev_b32_e32 v29, 16, v34
	v_lshlrev_b32_e32 v34, 16, v28
	v_or_b32_e32 v28, v32, v33
	v_or_b32_e32 v26, v26, v29
	s_delay_alu instid0(VALU_DEP_3)
	v_or_b32_e32 v25, v30, v34
	buffer_store_b128 v[25:28], v16, s[48:51], 0 offen
	;;#ASMSTART
	s_nop 0
	;;#ASMEND
	s_branch .LBB225_8
.LBB225_21:
	s_nop 0
	s_sendmsg sendmsg(MSG_DEALLOC_VGPRS)
	s_endpgm
	.section	.rodata,"a",@progbits
	.p2align	6, 0x0
	.amdhsa_kernel _ZN5aiter43moe_smooth_per_token_scaled_quant_kernel_v2ItaLi512ELi16EEEvPT0_PfPT_S3_PiS6_S6_iiiiiiiiiibb
		.amdhsa_group_segment_fixed_size 64
		.amdhsa_private_segment_fixed_size 0
		.amdhsa_kernarg_size 100
		.amdhsa_user_sgpr_count 15
		.amdhsa_user_sgpr_dispatch_ptr 0
		.amdhsa_user_sgpr_queue_ptr 0
		.amdhsa_user_sgpr_kernarg_segment_ptr 1
		.amdhsa_user_sgpr_dispatch_id 0
		.amdhsa_user_sgpr_private_segment_size 0
		.amdhsa_wavefront_size32 1
		.amdhsa_uses_dynamic_stack 0
		.amdhsa_enable_private_segment 0
		.amdhsa_system_sgpr_workgroup_id_x 1
		.amdhsa_system_sgpr_workgroup_id_y 0
		.amdhsa_system_sgpr_workgroup_id_z 0
		.amdhsa_system_sgpr_workgroup_info 0
		.amdhsa_system_vgpr_workitem_id 0
		.amdhsa_next_free_vgpr 46
		.amdhsa_next_free_sgpr 52
		.amdhsa_reserve_vcc 1
		.amdhsa_float_round_mode_32 0
		.amdhsa_float_round_mode_16_64 0
		.amdhsa_float_denorm_mode_32 3
		.amdhsa_float_denorm_mode_16_64 3
		.amdhsa_dx10_clamp 1
		.amdhsa_ieee_mode 1
		.amdhsa_fp16_overflow 0
		.amdhsa_workgroup_processor_mode 1
		.amdhsa_memory_ordered 1
		.amdhsa_forward_progress 0
		.amdhsa_shared_vgpr_count 0
		.amdhsa_exception_fp_ieee_invalid_op 0
		.amdhsa_exception_fp_denorm_src 0
		.amdhsa_exception_fp_ieee_div_zero 0
		.amdhsa_exception_fp_ieee_overflow 0
		.amdhsa_exception_fp_ieee_underflow 0
		.amdhsa_exception_fp_ieee_inexact 0
		.amdhsa_exception_int_div_zero 0
	.end_amdhsa_kernel
	.section	.text._ZN5aiter43moe_smooth_per_token_scaled_quant_kernel_v2ItaLi512ELi16EEEvPT0_PfPT_S3_PiS6_S6_iiiiiiiiiibb,"axG",@progbits,_ZN5aiter43moe_smooth_per_token_scaled_quant_kernel_v2ItaLi512ELi16EEEvPT0_PfPT_S3_PiS6_S6_iiiiiiiiiibb,comdat
.Lfunc_end225:
	.size	_ZN5aiter43moe_smooth_per_token_scaled_quant_kernel_v2ItaLi512ELi16EEEvPT0_PfPT_S3_PiS6_S6_iiiiiiiiiibb, .Lfunc_end225-_ZN5aiter43moe_smooth_per_token_scaled_quant_kernel_v2ItaLi512ELi16EEEvPT0_PfPT_S3_PiS6_S6_iiiiiiiiiibb
                                        ; -- End function
	.section	.AMDGPU.csdata,"",@progbits
; Kernel info:
; codeLenInByte = 1760
; NumSgprs: 54
; NumVgprs: 46
; ScratchSize: 0
; MemoryBound: 0
; FloatMode: 240
; IeeeMode: 1
; LDSByteSize: 64 bytes/workgroup (compile time only)
; SGPRBlocks: 6
; VGPRBlocks: 5
; NumSGPRsForWavesPerEU: 54
; NumVGPRsForWavesPerEU: 46
; Occupancy: 16
; WaveLimiterHint : 0
; COMPUTE_PGM_RSRC2:SCRATCH_EN: 0
; COMPUTE_PGM_RSRC2:USER_SGPR: 15
; COMPUTE_PGM_RSRC2:TRAP_HANDLER: 0
; COMPUTE_PGM_RSRC2:TGID_X_EN: 1
; COMPUTE_PGM_RSRC2:TGID_Y_EN: 0
; COMPUTE_PGM_RSRC2:TGID_Z_EN: 0
; COMPUTE_PGM_RSRC2:TIDIG_COMP_CNT: 0
	.section	.text._ZN5aiter30fused_mx_quant_moe_sort_kernelIDF16_DB8_Li64ELi8EEEvPT0_PhPKT_PKiS9_iiiiiiiii,"axG",@progbits,_ZN5aiter30fused_mx_quant_moe_sort_kernelIDF16_DB8_Li64ELi8EEEvPT0_PhPKT_PKiS9_iiiiiiiii,comdat
	.protected	_ZN5aiter30fused_mx_quant_moe_sort_kernelIDF16_DB8_Li64ELi8EEEvPT0_PhPKT_PKiS9_iiiiiiiii ; -- Begin function _ZN5aiter30fused_mx_quant_moe_sort_kernelIDF16_DB8_Li64ELi8EEEvPT0_PhPKT_PKiS9_iiiiiiiii
	.globl	_ZN5aiter30fused_mx_quant_moe_sort_kernelIDF16_DB8_Li64ELi8EEEvPT0_PhPKT_PKiS9_iiiiiiiii
	.p2align	8
	.type	_ZN5aiter30fused_mx_quant_moe_sort_kernelIDF16_DB8_Li64ELi8EEEvPT0_PhPKT_PKiS9_iiiiiiiii,@function
_ZN5aiter30fused_mx_quant_moe_sort_kernelIDF16_DB8_Li64ELi8EEEvPT0_PhPKT_PKiS9_iiiiiiiii: ; @_ZN5aiter30fused_mx_quant_moe_sort_kernelIDF16_DB8_Li64ELi8EEEvPT0_PhPKT_PKiS9_iiiiiiiii
; %bb.0:
	s_load_b256 s[4:11], s[0:1], 0x28
	s_waitcnt lgkmcnt(0)
	s_abs_i32 s14, s6
	s_cmp_ge_i32 s15, s9
	v_cvt_f32_u32_e32 v1, s14
	s_delay_alu instid0(VALU_DEP_1) | instskip(SKIP_2) | instid1(VALU_DEP_1)
	v_rcp_iflag_f32_e32 v1, v1
	s_waitcnt_depctr 0xfff
	v_mul_f32_e32 v1, 0x4f7ffffe, v1
	v_cvt_u32_f32_e32 v1, v1
	s_delay_alu instid0(VALU_DEP_1)
	v_readfirstlane_b32 s24, v1
	s_cbranch_scc1 .LBB226_42
; %bb.1:
	s_ashr_i32 s25, s6, 31
	s_load_b256 s[16:23], s[0:1], 0x0
	s_lshr_b32 s2, s25, 29
	v_lshlrev_b32_e32 v3, 4, v0
	s_add_i32 s2, s6, s2
	s_mov_b32 s27, -1
	s_ashr_i32 s12, s2, 3
	s_clause 0x1
	s_load_b64 s[2:3], s[0:1], 0x20
	s_load_b32 s13, s[0:1], 0x48
	v_cvt_f32_u32_e32 v1, s12
	s_sub_i32 s1, 0, s14
	s_add_i32 s0, s5, s6
	s_mul_i32 s1, s1, s24
	s_add_i32 s0, s0, -1
	v_rcp_iflag_f32_e32 v1, v1
	s_mul_hi_u32 s1, s24, s1
	s_ashr_i32 s6, s0, 31
	s_abs_i32 s0, s0
	s_add_i32 s24, s24, s1
	s_xor_b32 s1, s6, s25
	s_mul_hi_u32 s6, s0, s24
	s_sub_i32 s24, 0, s12
	s_mul_i32 s25, s6, s14
	s_add_i32 s26, s6, 1
	s_waitcnt_depctr 0xfff
	v_dual_mul_f32 v1, 0x4f7ffffe, v1 :: v_dual_and_b32 v6, 31, v0
	s_sub_i32 s0, s0, s25
	s_waitcnt lgkmcnt(0)
	s_load_b32 s3, s[2:3], 0x0
	v_mov_b32_e32 v5, 0x43e00000
	v_cvt_u32_f32_e32 v1, v1
	s_delay_alu instid0(VALU_DEP_1)
	v_mul_lo_u32 v2, s24, v1
	s_sub_i32 s24, s0, s14
	s_cmp_ge_u32 s0, s14
	s_cselect_b32 s6, s26, s6
	s_cselect_b32 s0, s24, s0
	s_add_i32 s24, s6, 1
	s_cmp_ge_u32 s0, s14
	s_delay_alu instid0(VALU_DEP_1)
	v_mul_hi_u32 v4, v1, v2
	s_cselect_b32 s0, s24, s6
	s_mov_b32 s6, s5
	s_xor_b32 s0, s0, s1
	v_lshlrev_b32_e32 v2, 3, v0
	s_sub_i32 s1, s0, s1
	s_mov_b32 s14, 0x76543210
	s_add_i32 s0, s1, 7
	v_add_nc_u32_e32 v1, v1, v4
	s_ashr_i32 s24, s0, 31
	v_mov_b32_e32 v4, 0xc3e00000
	s_lshr_b32 s24, s24, 29
	s_delay_alu instid0(SALU_CYCLE_1)
	s_add_i32 s24, s0, s24
	v_mul_hi_u32 v1, v0, v1
	s_lshl_b32 s24, s24, 5
	v_cmp_gt_i32_e64 s0, s8, v6
	s_and_b32 s33, s24, 0xffffff00
	s_cmp_gt_i32 s8, 0
	v_mul_lo_u32 v6, v6, s7
	s_cselect_b32 s34, -1, 0
	s_cmp_eq_u32 s11, 1
	v_mul_lo_u32 v7, v1, s12
	s_cselect_b32 s35, -1, 0
	s_abs_i32 s36, s7
	s_lshl_b32 s26, s5, 1
	v_cvt_f32_u32_e32 v8, s36
	s_add_i32 s2, s5, 7
	s_add_i32 s5, s5, 3
	s_ashr_i32 s24, s2, 31
	v_sub_nc_u32_e32 v7, v0, v7
	v_rcp_iflag_f32_e32 v8, v8
	v_add_nc_u32_e32 v9, 1, v1
	s_ashr_i32 s25, s5, 31
	s_lshr_b32 s24, s24, 29
	v_subrev_nc_u32_e32 v10, s12, v7
	v_cmp_le_u32_e32 vcc_lo, s12, v7
	s_lshr_b32 s25, s25, 30
	s_add_i32 s2, s2, s24
	s_add_i32 s5, s5, s25
	s_sub_i32 s28, 0, s36
	s_waitcnt_depctr 0xfff
	v_dual_mul_f32 v8, 0x4f7ffffe, v8 :: v_dual_cndmask_b32 v1, v1, v9
	v_cndmask_b32_e32 v7, v7, v10, vcc_lo
	s_ashr_i32 s24, s2, 3
	s_and_b32 s30, s5, -4
	s_xor_b32 s38, s35, -1
	v_add_nc_u32_e32 v9, 1, v1
	v_cmp_le_u32_e32 vcc_lo, s12, v7
	v_cvt_u32_f32_e32 v7, v8
	s_delay_alu instid0(VALU_DEP_3) | instskip(NEXT) | instid1(VALU_DEP_2)
	v_cndmask_b32_e32 v1, v1, v9, vcc_lo
	v_readfirstlane_b32 s25, v7
	s_delay_alu instid0(VALU_DEP_2)
	v_mul_lo_u32 v8, v1, s12
	v_lshlrev_b32_e32 v7, 5, v1
	v_lshlrev_b32_e32 v9, 6, v1
	v_lshrrev_b32_e32 v10, 1, v1
	v_cmp_gt_i32_e32 vcc_lo, s1, v1
	s_mul_i32 s28, s28, s25
	v_and_b32_e32 v7, 0x7f00, v7
	v_and_b32_e32 v9, 0xc0, v9
	;; [unrolled: 1-line block ×3, first 2 shown]
	v_sub_nc_u32_e32 v8, v0, v8
	v_cmp_gt_u32_e64 s1, s24, v0
	s_mul_hi_u32 s5, s25, s28
                                        ; implicit-def: $vgpr1
	s_delay_alu instid0(VALU_DEP_3) | instskip(NEXT) | instid1(VALU_DEP_3)
	v_or3_b32 v7, v9, v7, v10
	v_cmp_eq_u32_e64 s2, 0, v8
	s_add_i32 s5, s25, s5
	s_delay_alu instid0(VALU_DEP_1)
	s_and_b32 s37, s2, vcc_lo
	s_branch .LBB226_3
.LBB226_2:                              ;   in Loop: Header=BB226_3 Depth=1
	s_add_i32 s15, s15, s10
	s_delay_alu instid0(SALU_CYCLE_1) | instskip(SKIP_1) | instid1(SALU_CYCLE_1)
	s_cmp_lt_i32 s15, s9
	s_cselect_b32 s2, -1, 0
	s_and_b32 s2, s39, s2
	s_delay_alu instid0(SALU_CYCLE_1)
	s_and_b32 vcc_lo, exec_lo, s2
	s_cbranch_vccz .LBB226_42
.LBB226_3:                              ; =>This Loop Header: Depth=1
                                        ;     Child Loop BB226_13 Depth 2
	s_abs_i32 s2, s15
	s_delay_alu instid0(SALU_CYCLE_1) | instskip(NEXT) | instid1(SALU_CYCLE_1)
	s_mul_hi_u32 s24, s2, s5
	s_mul_i32 s24, s24, s36
	s_delay_alu instid0(SALU_CYCLE_1) | instskip(SKIP_4) | instid1(SALU_CYCLE_1)
	s_sub_i32 s24, s2, s24
	s_ashr_i32 s2, s15, 31
	s_sub_i32 s25, s24, s36
	s_cmp_ge_u32 s24, s36
	s_cselect_b32 s24, s25, s24
	s_sub_i32 s25, s24, s36
	s_cmp_ge_u32 s24, s36
	s_cselect_b32 s24, s25, s24
	s_delay_alu instid0(SALU_CYCLE_1) | instskip(NEXT) | instid1(SALU_CYCLE_1)
	s_xor_b32 s24, s24, s2
	s_sub_i32 s25, s24, s2
	s_delay_alu instid0(SALU_CYCLE_1) | instskip(NEXT) | instid1(SALU_CYCLE_1)
	s_sub_i32 s28, s15, s25
	s_mul_i32 s28, s28, s8
	s_delay_alu instid0(SALU_CYCLE_1)
	s_add_i32 s28, s28, s25
	s_waitcnt lgkmcnt(0)
	s_cmp_lt_i32 s28, s3
	s_cselect_b32 s39, -1, 0
	s_cmp_ge_i32 s28, s3
	s_cbranch_scc1 .LBB226_2
; %bb.4:                                ;   in Loop: Header=BB226_3 Depth=1
	s_and_saveexec_b32 s25, s0
	s_cbranch_execz .LBB226_8
; %bb.5:                                ;   in Loop: Header=BB226_3 Depth=1
	s_waitcnt vmcnt(0)
	v_dual_mov_b32 v1, s4 :: v_dual_add_nc_u32 v0, s28, v6
	s_mov_b32 s28, exec_lo
	s_delay_alu instid0(VALU_DEP_1)
	v_cmpx_gt_i32_e64 s3, v0
	s_cbranch_execz .LBB226_7
; %bb.6:                                ;   in Loop: Header=BB226_3 Depth=1
	v_ashrrev_i32_e32 v1, 31, v0
	s_delay_alu instid0(VALU_DEP_1) | instskip(NEXT) | instid1(VALU_DEP_1)
	v_lshlrev_b64 v[0:1], 2, v[0:1]
	v_add_co_u32 v0, vcc_lo, s22, v0
	s_delay_alu instid0(VALU_DEP_2)
	v_add_co_ci_u32_e32 v1, vcc_lo, s23, v1, vcc_lo
	global_load_b32 v1, v[0:1], off
.LBB226_7:                              ;   in Loop: Header=BB226_3 Depth=1
	s_or_b32 exec_lo, exec_lo, s28
.LBB226_8:                              ;   in Loop: Header=BB226_3 Depth=1
	s_delay_alu instid0(SALU_CYCLE_1) | instskip(NEXT) | instid1(SALU_CYCLE_1)
	s_or_b32 exec_lo, exec_lo, s25
	s_and_not1_b32 vcc_lo, exec_lo, s34
	s_cbranch_vccnz .LBB226_2
; %bb.9:                                ;   in Loop: Header=BB226_3 Depth=1
	s_add_i32 s25, s15, s2
	s_waitcnt vmcnt(0)
	v_and_b32_e32 v0, 0xffffff, v1
	s_sub_i32 s25, s25, s24
	v_ashrrev_i32_e32 v8, 24, v1
	s_mul_i32 s25, s8, s25
	s_mov_b32 s41, 0
	s_add_i32 s24, s24, s25
	s_delay_alu instid0(SALU_CYCLE_1)
	s_sub_i32 s40, s24, s2
	s_branch .LBB226_13
.LBB226_10:                             ;   in Loop: Header=BB226_13 Depth=2
	s_or_b32 exec_lo, exec_lo, s2
.LBB226_11:                             ;   in Loop: Header=BB226_13 Depth=2
	s_add_i32 s41, s41, 1
	s_add_i32 s40, s40, s7
	s_cmp_eq_u32 s8, s41
	s_cselect_b32 s2, -1, 0
.LBB226_12:                             ;   in Loop: Header=BB226_13 Depth=2
	s_delay_alu instid0(SALU_CYCLE_1)
	s_and_b32 vcc_lo, exec_lo, s2
	s_cbranch_vccnz .LBB226_2
.LBB226_13:                             ;   Parent Loop BB226_3 Depth=1
                                        ; =>  This Inner Loop Header: Depth=2
	v_readlane_b32 s24, v0, s41
	v_readlane_b32 s29, v8, s41
	s_mov_b32 s2, -1
	s_delay_alu instid0(VALU_DEP_2)
	s_cmp_ge_i32 s24, s4
	s_cbranch_scc1 .LBB226_12
; %bb.14:                               ;   in Loop: Header=BB226_13 Depth=2
	s_mul_i32 s2, s24, s11
	s_delay_alu instid0(SALU_CYCLE_1) | instskip(SKIP_2) | instid1(SALU_CYCLE_1)
	s_add_i32 s2, s2, s29
	s_and_b32 s25, s35, exec_lo
	s_cselect_b32 s28, s24, s2
	s_mul_hi_i32 s25, s28, s13
	s_mul_i32 s24, s28, s13
	s_delay_alu instid0(SALU_CYCLE_1) | instskip(NEXT) | instid1(SALU_CYCLE_1)
	s_lshl_b64 s[24:25], s[24:25], 1
	s_add_u32 s24, s20, s24
	s_addc_u32 s2, s21, s25
	s_delay_alu instid0(SALU_CYCLE_1)
	s_and_b32 s25, s2, 0xffff
	s_cmp_lt_i32 s12, 8
	buffer_load_b128 v[9:12], v3, s[24:27], 0 offen
	s_waitcnt vmcnt(0)
	v_lshrrev_b32_e32 v14, 16, v9
	v_cvt_f32_f16_e32 v13, v9
	v_lshrrev_b32_e32 v9, 16, v10
	v_lshrrev_b32_e32 v18, 16, v12
	s_delay_alu instid0(VALU_DEP_4)
	v_cvt_f32_f16_e32 v15, v14
	v_cvt_f32_f16_e32 v14, v10
	v_lshrrev_b32_e32 v10, 16, v11
	v_cvt_f32_f16_e32 v16, v9
	v_cvt_f32_f16_e32 v11, v11
	v_max3_f32 v17, |v13|, 0x2edbe6ff, |v15|
	s_delay_alu instid0(VALU_DEP_4) | instskip(SKIP_2) | instid1(VALU_DEP_4)
	v_cvt_f32_f16_e32 v9, v10
	v_cvt_f32_f16_e32 v10, v12
	;; [unrolled: 1-line block ×3, first 2 shown]
	v_max3_f32 v17, v17, |v14|, |v16|
	s_delay_alu instid0(VALU_DEP_1) | instskip(NEXT) | instid1(VALU_DEP_1)
	v_max3_f32 v17, v17, |v11|, |v9|
	v_max3_f32 v17, v17, |v10|, |v12|
	s_cbranch_scc1 .LBB226_20
; %bb.15:                               ;   in Loop: Header=BB226_13 Depth=2
	s_cmp_lt_i32 s12, 16
	s_cbranch_scc1 .LBB226_21
; %bb.16:                               ;   in Loop: Header=BB226_13 Depth=2
	s_cmp_lt_i32 s12, 32
	s_cbranch_scc1 .LBB226_22
; %bb.17:                               ;   in Loop: Header=BB226_13 Depth=2
	v_mov_b32_e32 v18, v17
	s_cmp_eq_u32 s12, 32
	s_cbranch_scc0 .LBB226_19
; %bb.18:                               ;   in Loop: Header=BB226_13 Depth=2
	s_delay_alu instid0(VALU_DEP_1) | instskip(NEXT) | instid1(VALU_DEP_1)
	v_mov_b32_dpp v18, v17 quad_perm:[1,0,3,2] row_mask:0xf bank_mask:0xf
	v_cmp_gt_f32_e32 vcc_lo, v17, v18
	v_cndmask_b32_e32 v18, v18, v17, vcc_lo
	s_delay_alu instid0(VALU_DEP_1) | instskip(NEXT) | instid1(VALU_DEP_1)
	v_mov_b32_dpp v19, v18 quad_perm:[2,3,0,1] row_mask:0xf bank_mask:0xf
	v_cmp_gt_f32_e32 vcc_lo, v18, v19
	v_cndmask_b32_e32 v18, v19, v18, vcc_lo
	s_delay_alu instid0(VALU_DEP_1) | instskip(NEXT) | instid1(VALU_DEP_1)
	v_mov_b32_dpp v19, v18 row_xmask:7 row_mask:0xf bank_mask:0xf
	v_cmp_gt_f32_e32 vcc_lo, v18, v19
	v_cndmask_b32_e32 v18, v19, v18, vcc_lo
	s_delay_alu instid0(VALU_DEP_1) | instskip(NEXT) | instid1(VALU_DEP_1)
	v_mov_b32_dpp v19, v18 row_xmask:15 row_mask:0xf bank_mask:0xf
	v_cmp_gt_f32_e32 vcc_lo, v18, v19
	v_cndmask_b32_e32 v18, v19, v18, vcc_lo
	s_delay_alu instid0(VALU_DEP_1) | instskip(NEXT) | instid1(VALU_DEP_1)
	v_permlanex16_b32 v19, v18, s14, 0xfedcba98 op_sel:[1,1]
	v_cmp_gt_f32_e32 vcc_lo, v18, v19
	v_cndmask_b32_e32 v18, v19, v18, vcc_lo
.LBB226_19:                             ;   in Loop: Header=BB226_13 Depth=2
	s_cbranch_execz .LBB226_23
	s_branch .LBB226_25
.LBB226_20:                             ;   in Loop: Header=BB226_13 Depth=2
                                        ; implicit-def: $vgpr18
	s_branch .LBB226_29
.LBB226_21:                             ;   in Loop: Header=BB226_13 Depth=2
                                        ; implicit-def: $vgpr18
	s_branch .LBB226_26
.LBB226_22:                             ;   in Loop: Header=BB226_13 Depth=2
                                        ; implicit-def: $vgpr18
.LBB226_23:                             ;   in Loop: Header=BB226_13 Depth=2
	v_mov_b32_e32 v18, v17
	s_cmp_eq_u32 s12, 16
	s_cbranch_scc0 .LBB226_25
; %bb.24:                               ;   in Loop: Header=BB226_13 Depth=2
	s_delay_alu instid0(VALU_DEP_1) | instskip(NEXT) | instid1(VALU_DEP_1)
	v_mov_b32_dpp v18, v17 quad_perm:[1,0,3,2] row_mask:0xf bank_mask:0xf
	v_cmp_gt_f32_e32 vcc_lo, v17, v18
	v_cndmask_b32_e32 v18, v18, v17, vcc_lo
	s_delay_alu instid0(VALU_DEP_1) | instskip(NEXT) | instid1(VALU_DEP_1)
	v_mov_b32_dpp v19, v18 quad_perm:[2,3,0,1] row_mask:0xf bank_mask:0xf
	v_cmp_gt_f32_e32 vcc_lo, v18, v19
	v_cndmask_b32_e32 v18, v19, v18, vcc_lo
	s_delay_alu instid0(VALU_DEP_1) | instskip(NEXT) | instid1(VALU_DEP_1)
	v_mov_b32_dpp v19, v18 row_half_mirror row_mask:0xf bank_mask:0xf
	v_cmp_gt_f32_e32 vcc_lo, v18, v19
	v_cndmask_b32_e32 v18, v19, v18, vcc_lo
	s_delay_alu instid0(VALU_DEP_1) | instskip(NEXT) | instid1(VALU_DEP_1)
	v_mov_b32_dpp v19, v18 row_mirror row_mask:0xf bank_mask:0xf
	v_cmp_gt_f32_e32 vcc_lo, v18, v19
	v_cndmask_b32_e32 v18, v19, v18, vcc_lo
.LBB226_25:                             ;   in Loop: Header=BB226_13 Depth=2
	s_cbranch_execnz .LBB226_28
.LBB226_26:                             ;   in Loop: Header=BB226_13 Depth=2
	v_mov_b32_e32 v18, v17
	s_cmp_eq_u32 s12, 8
	s_cbranch_scc0 .LBB226_28
; %bb.27:                               ;   in Loop: Header=BB226_13 Depth=2
	s_delay_alu instid0(VALU_DEP_1) | instskip(NEXT) | instid1(VALU_DEP_1)
	v_mov_b32_dpp v18, v17 quad_perm:[1,0,3,2] row_mask:0xf bank_mask:0xf
	v_cmp_gt_f32_e32 vcc_lo, v17, v18
	v_cndmask_b32_e32 v18, v18, v17, vcc_lo
	s_delay_alu instid0(VALU_DEP_1) | instskip(NEXT) | instid1(VALU_DEP_1)
	v_mov_b32_dpp v19, v18 quad_perm:[2,3,0,1] row_mask:0xf bank_mask:0xf
	v_cmp_gt_f32_e32 vcc_lo, v18, v19
	v_cndmask_b32_e32 v18, v19, v18, vcc_lo
	s_delay_alu instid0(VALU_DEP_1) | instskip(NEXT) | instid1(VALU_DEP_1)
	v_mov_b32_dpp v19, v18 row_half_mirror row_mask:0xf bank_mask:0xf
	v_cmp_gt_f32_e32 vcc_lo, v18, v19
	v_cndmask_b32_e32 v18, v19, v18, vcc_lo
.LBB226_28:                             ;   in Loop: Header=BB226_13 Depth=2
	s_cbranch_execnz .LBB226_37
.LBB226_29:                             ;   in Loop: Header=BB226_13 Depth=2
	s_cmp_lt_i32 s12, 4
	s_cbranch_scc1 .LBB226_32
; %bb.30:                               ;   in Loop: Header=BB226_13 Depth=2
	v_mov_b32_e32 v18, v17
	s_cmp_eq_u32 s12, 4
	s_cbranch_scc0 .LBB226_33
; %bb.31:                               ;   in Loop: Header=BB226_13 Depth=2
	s_delay_alu instid0(VALU_DEP_1) | instskip(NEXT) | instid1(VALU_DEP_1)
	v_mov_b32_dpp v18, v17 quad_perm:[1,0,3,2] row_mask:0xf bank_mask:0xf
	v_cmp_gt_f32_e32 vcc_lo, v17, v18
	v_cndmask_b32_e32 v18, v18, v17, vcc_lo
	s_delay_alu instid0(VALU_DEP_1) | instskip(NEXT) | instid1(VALU_DEP_1)
	v_mov_b32_dpp v19, v18 quad_perm:[2,3,0,1] row_mask:0xf bank_mask:0xf
	v_cmp_gt_f32_e32 vcc_lo, v18, v19
	v_cndmask_b32_e32 v18, v19, v18, vcc_lo
	s_cbranch_execz .LBB226_34
	s_branch .LBB226_37
.LBB226_32:                             ;   in Loop: Header=BB226_13 Depth=2
                                        ; implicit-def: $vgpr18
	s_branch .LBB226_34
.LBB226_33:                             ;   in Loop: Header=BB226_13 Depth=2
	s_cbranch_execnz .LBB226_37
.LBB226_34:                             ;   in Loop: Header=BB226_13 Depth=2
	s_cmp_lg_u32 s12, 2
	s_cbranch_scc1 .LBB226_36
; %bb.35:                               ;   in Loop: Header=BB226_13 Depth=2
	v_mov_b32_dpp v18, v17 quad_perm:[1,0,3,2] row_mask:0xf bank_mask:0xf
	s_delay_alu instid0(VALU_DEP_1)
	v_cmp_gt_f32_e32 vcc_lo, v17, v18
	v_cndmask_b32_e32 v17, v18, v17, vcc_lo
.LBB226_36:                             ;   in Loop: Header=BB226_13 Depth=2
	s_delay_alu instid0(VALU_DEP_1)
	v_mov_b32_e32 v18, v17
.LBB226_37:                             ;   in Loop: Header=BB226_13 Depth=2
	s_delay_alu instid0(VALU_DEP_1) | instskip(NEXT) | instid1(VALU_DEP_1)
	v_mul_f32_e32 v17, 0x3b124925, v18
	v_bfe_u32 v18, v17, 23, 8
	v_and_b32_e32 v17, 0x7fffff, v17
	s_delay_alu instid0(VALU_DEP_2) | instskip(NEXT) | instid1(VALU_DEP_2)
	v_cmp_ne_u32_e32 vcc_lo, 0xff, v18
	v_cmp_ne_u32_e64 s2, 0, v17
	s_delay_alu instid0(VALU_DEP_1)
	s_and_b32 vcc_lo, s2, vcc_lo
	v_add_co_ci_u32_e32 v17, vcc_lo, 0, v18, vcc_lo
	s_and_saveexec_b32 s2, s37
	s_cbranch_execz .LBB226_39
; %bb.38:                               ;   in Loop: Header=BB226_13 Depth=2
	s_ashr_i32 s24, s40, 31
	s_delay_alu instid0(SALU_CYCLE_1)
	s_lshr_b32 s25, s24, 27
	s_lshr_b32 s24, s24, 28
	s_add_i32 s25, s40, s25
	s_add_i32 s24, s40, s24
	s_and_b32 s31, s25, 0xffe0
	s_and_b32 s24, s24, 0x3ffffff0
	s_sub_i32 s31, s40, s31
	s_sub_i32 s24, s40, s24
	s_bfe_i32 s42, s31, 0x80000
	s_lshl_b32 s24, s24, 2
	v_lshrrev_b16 v18, 11, s42
	s_delay_alu instid0(VALU_DEP_1) | instskip(NEXT) | instid1(VALU_DEP_1)
	v_and_b32_e32 v18, 15, v18
	v_add_nc_u16 v18, s31, v18
	s_delay_alu instid0(VALU_DEP_1) | instskip(NEXT) | instid1(VALU_DEP_1)
	v_bfe_i32 v18, v18, 0, 8
	v_ashrrev_i16 v18, 4, v18
	s_delay_alu instid0(VALU_DEP_1) | instskip(NEXT) | instid1(VALU_DEP_1)
	v_bfe_i32 v18, v18, 0, 16
	v_add_nc_u32_e32 v18, s24, v18
	s_ashr_i32 s24, s25, 5
	s_delay_alu instid0(SALU_CYCLE_1)
	s_mul_i32 s24, s33, s24
	s_delay_alu instid0(VALU_DEP_1) | instid1(SALU_CYCLE_1)
	v_add3_u32 v18, v18, s24, v7
	s_delay_alu instid0(VALU_DEP_1) | instskip(SKIP_1) | instid1(VALU_DEP_2)
	v_ashrrev_i32_e32 v19, 31, v18
	v_add_co_u32 v18, vcc_lo, s18, v18
	v_add_co_ci_u32_e32 v19, vcc_lo, s19, v19, vcc_lo
	global_store_b8 v[18:19], v17, off
.LBB226_39:                             ;   in Loop: Header=BB226_13 Depth=2
	s_or_b32 exec_lo, exec_lo, s2
	s_cmp_ge_i32 s29, s11
	s_cselect_b32 s2, -1, 0
	s_delay_alu instid0(SALU_CYCLE_1) | instskip(NEXT) | instid1(SALU_CYCLE_1)
	s_and_b32 s2, s38, s2
	s_and_b32 vcc_lo, exec_lo, s2
	s_cbranch_vccnz .LBB226_11
; %bb.40:                               ;   in Loop: Header=BB226_13 Depth=2
	s_and_saveexec_b32 s2, s1
	s_cbranch_execz .LBB226_10
; %bb.41:                               ;   in Loop: Header=BB226_13 Depth=2
	v_lshlrev_b32_e32 v17, 23, v17
	s_mul_i32 s24, s28, s6
	s_mul_hi_i32 s25, s28, s6
	s_add_u32 s28, s16, s24
	s_addc_u32 s24, s17, s25
	v_rcp_f32_e32 v17, v17
	s_mov_b32 s31, s27
	s_and_b32 s29, s24, 0xffff
	s_waitcnt_depctr 0xfff
	v_mul_f32_e32 v13, v17, v13
	v_mul_f32_e32 v15, v17, v15
	;; [unrolled: 1-line block ×4, first 2 shown]
	;;#ASMSTART
	v_med3_f32 v13, v13, v4, v5
v_med3_f32 v15, v15, v4, v5
v_cvt_pk_fp8_f32 v18, v13, v15
	;;#ASMEND
	;;#ASMSTART
	v_med3_f32 v14, v14, v4, v5
v_med3_f32 v16, v16, v4, v5
v_cvt_pk_fp8_f32 v13, v14, v16
	;;#ASMEND
	v_perm_b32 v14, v13, v18, 0x5040100
	v_and_b32_e32 v13, 0xffffff00, v13
	v_mul_f32_e32 v11, v17, v11
	v_mul_f32_e32 v9, v17, v9
	;; [unrolled: 1-line block ×3, first 2 shown]
	v_lshrrev_b32_e32 v15, 16, v14
	s_delay_alu instid0(VALU_DEP_1) | instskip(NEXT) | instid1(VALU_DEP_1)
	v_and_b32_e32 v15, 0xff, v15
	v_or_b32_e32 v13, v15, v13
	v_mul_f32_e32 v12, v17, v12
	;;#ASMSTART
	v_med3_f32 v11, v11, v4, v5
v_med3_f32 v9, v9, v4, v5
v_cvt_pk_fp8_f32 v15, v11, v9
	;;#ASMEND
	s_delay_alu instid0(VALU_DEP_2) | instskip(SKIP_2) | instid1(VALU_DEP_1)
	v_lshlrev_b32_e32 v11, 16, v13
	;;#ASMSTART
	v_med3_f32 v10, v10, v4, v5
v_med3_f32 v12, v12, v4, v5
v_cvt_pk_fp8_f32 v9, v10, v12
	;;#ASMEND
	v_lshlrev_b32_e32 v9, 16, v9
	v_and_or_b32 v10, 0xffff, v15, v9
	s_delay_alu instid0(VALU_DEP_3)
	v_and_or_b32 v9, 0xffff, v14, v11
	buffer_store_b64 v[9:10], v2, s[28:31], 0 offen
	;;#ASMSTART
	s_nop 0
	;;#ASMEND
	s_branch .LBB226_10
.LBB226_42:
	s_nop 0
	s_sendmsg sendmsg(MSG_DEALLOC_VGPRS)
	s_endpgm
	.section	.rodata,"a",@progbits
	.p2align	6, 0x0
	.amdhsa_kernel _ZN5aiter30fused_mx_quant_moe_sort_kernelIDF16_DB8_Li64ELi8EEEvPT0_PhPKT_PKiS9_iiiiiiiii
		.amdhsa_group_segment_fixed_size 0
		.amdhsa_private_segment_fixed_size 0
		.amdhsa_kernarg_size 76
		.amdhsa_user_sgpr_count 15
		.amdhsa_user_sgpr_dispatch_ptr 0
		.amdhsa_user_sgpr_queue_ptr 0
		.amdhsa_user_sgpr_kernarg_segment_ptr 1
		.amdhsa_user_sgpr_dispatch_id 0
		.amdhsa_user_sgpr_private_segment_size 0
		.amdhsa_wavefront_size32 1
		.amdhsa_uses_dynamic_stack 0
		.amdhsa_enable_private_segment 0
		.amdhsa_system_sgpr_workgroup_id_x 1
		.amdhsa_system_sgpr_workgroup_id_y 0
		.amdhsa_system_sgpr_workgroup_id_z 0
		.amdhsa_system_sgpr_workgroup_info 0
		.amdhsa_system_vgpr_workitem_id 0
		.amdhsa_next_free_vgpr 20
		.amdhsa_next_free_sgpr 43
		.amdhsa_reserve_vcc 1
		.amdhsa_float_round_mode_32 0
		.amdhsa_float_round_mode_16_64 0
		.amdhsa_float_denorm_mode_32 3
		.amdhsa_float_denorm_mode_16_64 3
		.amdhsa_dx10_clamp 1
		.amdhsa_ieee_mode 1
		.amdhsa_fp16_overflow 0
		.amdhsa_workgroup_processor_mode 1
		.amdhsa_memory_ordered 1
		.amdhsa_forward_progress 0
		.amdhsa_shared_vgpr_count 0
		.amdhsa_exception_fp_ieee_invalid_op 0
		.amdhsa_exception_fp_denorm_src 0
		.amdhsa_exception_fp_ieee_div_zero 0
		.amdhsa_exception_fp_ieee_overflow 0
		.amdhsa_exception_fp_ieee_underflow 0
		.amdhsa_exception_fp_ieee_inexact 0
		.amdhsa_exception_int_div_zero 0
	.end_amdhsa_kernel
	.section	.text._ZN5aiter30fused_mx_quant_moe_sort_kernelIDF16_DB8_Li64ELi8EEEvPT0_PhPKT_PKiS9_iiiiiiiii,"axG",@progbits,_ZN5aiter30fused_mx_quant_moe_sort_kernelIDF16_DB8_Li64ELi8EEEvPT0_PhPKT_PKiS9_iiiiiiiii,comdat
.Lfunc_end226:
	.size	_ZN5aiter30fused_mx_quant_moe_sort_kernelIDF16_DB8_Li64ELi8EEEvPT0_PhPKT_PKiS9_iiiiiiiii, .Lfunc_end226-_ZN5aiter30fused_mx_quant_moe_sort_kernelIDF16_DB8_Li64ELi8EEEvPT0_PhPKT_PKiS9_iiiiiiiii
                                        ; -- End function
	.section	.AMDGPU.csdata,"",@progbits
; Kernel info:
; codeLenInByte = 2276
; NumSgprs: 45
; NumVgprs: 20
; ScratchSize: 0
; MemoryBound: 0
; FloatMode: 240
; IeeeMode: 1
; LDSByteSize: 0 bytes/workgroup (compile time only)
; SGPRBlocks: 5
; VGPRBlocks: 2
; NumSGPRsForWavesPerEU: 45
; NumVGPRsForWavesPerEU: 20
; Occupancy: 16
; WaveLimiterHint : 0
; COMPUTE_PGM_RSRC2:SCRATCH_EN: 0
; COMPUTE_PGM_RSRC2:USER_SGPR: 15
; COMPUTE_PGM_RSRC2:TRAP_HANDLER: 0
; COMPUTE_PGM_RSRC2:TGID_X_EN: 1
; COMPUTE_PGM_RSRC2:TGID_Y_EN: 0
; COMPUTE_PGM_RSRC2:TGID_Z_EN: 0
; COMPUTE_PGM_RSRC2:TIDIG_COMP_CNT: 0
	.section	.text._ZN5aiter30fused_mx_quant_moe_sort_kernelItDB8_Li64ELi8EEEvPT0_PhPKT_PKiS9_iiiiiiiii,"axG",@progbits,_ZN5aiter30fused_mx_quant_moe_sort_kernelItDB8_Li64ELi8EEEvPT0_PhPKT_PKiS9_iiiiiiiii,comdat
	.protected	_ZN5aiter30fused_mx_quant_moe_sort_kernelItDB8_Li64ELi8EEEvPT0_PhPKT_PKiS9_iiiiiiiii ; -- Begin function _ZN5aiter30fused_mx_quant_moe_sort_kernelItDB8_Li64ELi8EEEvPT0_PhPKT_PKiS9_iiiiiiiii
	.globl	_ZN5aiter30fused_mx_quant_moe_sort_kernelItDB8_Li64ELi8EEEvPT0_PhPKT_PKiS9_iiiiiiiii
	.p2align	8
	.type	_ZN5aiter30fused_mx_quant_moe_sort_kernelItDB8_Li64ELi8EEEvPT0_PhPKT_PKiS9_iiiiiiiii,@function
_ZN5aiter30fused_mx_quant_moe_sort_kernelItDB8_Li64ELi8EEEvPT0_PhPKT_PKiS9_iiiiiiiii: ; @_ZN5aiter30fused_mx_quant_moe_sort_kernelItDB8_Li64ELi8EEEvPT0_PhPKT_PKiS9_iiiiiiiii
; %bb.0:
	s_load_b256 s[4:11], s[0:1], 0x28
	s_waitcnt lgkmcnt(0)
	s_abs_i32 s14, s6
	s_cmp_ge_i32 s15, s9
	v_cvt_f32_u32_e32 v1, s14
	s_delay_alu instid0(VALU_DEP_1) | instskip(SKIP_2) | instid1(VALU_DEP_1)
	v_rcp_iflag_f32_e32 v1, v1
	s_waitcnt_depctr 0xfff
	v_mul_f32_e32 v1, 0x4f7ffffe, v1
	v_cvt_u32_f32_e32 v1, v1
	s_delay_alu instid0(VALU_DEP_1)
	v_readfirstlane_b32 s24, v1
	s_cbranch_scc1 .LBB227_42
; %bb.1:
	s_ashr_i32 s25, s6, 31
	s_load_b256 s[16:23], s[0:1], 0x0
	s_lshr_b32 s2, s25, 29
	v_lshlrev_b32_e32 v3, 4, v0
	s_add_i32 s2, s6, s2
	s_mov_b32 s27, -1
	s_ashr_i32 s12, s2, 3
	s_clause 0x1
	s_load_b64 s[2:3], s[0:1], 0x20
	s_load_b32 s13, s[0:1], 0x48
	v_cvt_f32_u32_e32 v1, s12
	s_sub_i32 s1, 0, s14
	s_add_i32 s0, s5, s6
	s_mul_i32 s1, s1, s24
	s_add_i32 s0, s0, -1
	v_rcp_iflag_f32_e32 v1, v1
	s_mul_hi_u32 s1, s24, s1
	s_ashr_i32 s6, s0, 31
	s_abs_i32 s0, s0
	s_add_i32 s24, s24, s1
	s_xor_b32 s1, s6, s25
	s_mul_hi_u32 s6, s0, s24
	s_sub_i32 s24, 0, s12
	s_mul_i32 s25, s6, s14
	s_add_i32 s26, s6, 1
	s_waitcnt_depctr 0xfff
	v_dual_mul_f32 v1, 0x4f7ffffe, v1 :: v_dual_and_b32 v6, 31, v0
	s_sub_i32 s0, s0, s25
	s_waitcnt lgkmcnt(0)
	s_load_b32 s3, s[2:3], 0x0
	v_mov_b32_e32 v5, 0x43e00000
	v_cvt_u32_f32_e32 v1, v1
	s_delay_alu instid0(VALU_DEP_1)
	v_mul_lo_u32 v2, s24, v1
	s_sub_i32 s24, s0, s14
	s_cmp_ge_u32 s0, s14
	s_cselect_b32 s6, s26, s6
	s_cselect_b32 s0, s24, s0
	s_add_i32 s24, s6, 1
	s_cmp_ge_u32 s0, s14
	s_delay_alu instid0(VALU_DEP_1)
	v_mul_hi_u32 v4, v1, v2
	s_cselect_b32 s0, s24, s6
	s_mov_b32 s6, s5
	s_xor_b32 s0, s0, s1
	v_lshlrev_b32_e32 v2, 3, v0
	s_sub_i32 s1, s0, s1
	s_mov_b32 s14, 0x76543210
	s_add_i32 s0, s1, 7
	v_add_nc_u32_e32 v1, v1, v4
	s_ashr_i32 s24, s0, 31
	v_mov_b32_e32 v4, 0xc3e00000
	s_lshr_b32 s24, s24, 29
	s_delay_alu instid0(SALU_CYCLE_1)
	s_add_i32 s24, s0, s24
	v_mul_hi_u32 v1, v0, v1
	s_lshl_b32 s24, s24, 5
	v_cmp_gt_i32_e64 s0, s8, v6
	s_and_b32 s33, s24, 0xffffff00
	s_cmp_gt_i32 s8, 0
	v_mul_lo_u32 v6, v6, s7
	s_cselect_b32 s34, -1, 0
	s_cmp_eq_u32 s11, 1
	v_mul_lo_u32 v7, v1, s12
	s_cselect_b32 s35, -1, 0
	s_abs_i32 s36, s7
	s_lshl_b32 s26, s5, 1
	v_cvt_f32_u32_e32 v8, s36
	s_add_i32 s2, s5, 7
	s_add_i32 s5, s5, 3
	s_ashr_i32 s24, s2, 31
	v_sub_nc_u32_e32 v7, v0, v7
	v_rcp_iflag_f32_e32 v8, v8
	v_add_nc_u32_e32 v9, 1, v1
	s_ashr_i32 s25, s5, 31
	s_lshr_b32 s24, s24, 29
	v_subrev_nc_u32_e32 v10, s12, v7
	v_cmp_le_u32_e32 vcc_lo, s12, v7
	s_lshr_b32 s25, s25, 30
	s_add_i32 s2, s2, s24
	s_add_i32 s5, s5, s25
	s_sub_i32 s28, 0, s36
	s_waitcnt_depctr 0xfff
	v_dual_mul_f32 v8, 0x4f7ffffe, v8 :: v_dual_cndmask_b32 v1, v1, v9
	v_cndmask_b32_e32 v7, v7, v10, vcc_lo
	s_ashr_i32 s24, s2, 3
	s_and_b32 s30, s5, -4
	s_xor_b32 s38, s35, -1
	v_add_nc_u32_e32 v9, 1, v1
	v_cmp_le_u32_e32 vcc_lo, s12, v7
	v_cvt_u32_f32_e32 v7, v8
	s_delay_alu instid0(VALU_DEP_3) | instskip(NEXT) | instid1(VALU_DEP_2)
	v_cndmask_b32_e32 v1, v1, v9, vcc_lo
	v_readfirstlane_b32 s25, v7
	s_delay_alu instid0(VALU_DEP_2)
	v_mul_lo_u32 v8, v1, s12
	v_lshlrev_b32_e32 v7, 5, v1
	v_lshlrev_b32_e32 v9, 6, v1
	v_lshrrev_b32_e32 v10, 1, v1
	v_cmp_gt_i32_e32 vcc_lo, s1, v1
	s_mul_i32 s28, s28, s25
	v_and_b32_e32 v7, 0x7f00, v7
	v_and_b32_e32 v9, 0xc0, v9
	;; [unrolled: 1-line block ×3, first 2 shown]
	v_sub_nc_u32_e32 v8, v0, v8
	v_cmp_gt_u32_e64 s1, s24, v0
	s_mul_hi_u32 s5, s25, s28
                                        ; implicit-def: $vgpr1
	s_delay_alu instid0(VALU_DEP_3) | instskip(NEXT) | instid1(VALU_DEP_3)
	v_or3_b32 v7, v9, v7, v10
	v_cmp_eq_u32_e64 s2, 0, v8
	s_add_i32 s5, s25, s5
	s_delay_alu instid0(VALU_DEP_1)
	s_and_b32 s37, s2, vcc_lo
	s_branch .LBB227_3
.LBB227_2:                              ;   in Loop: Header=BB227_3 Depth=1
	s_add_i32 s15, s15, s10
	s_delay_alu instid0(SALU_CYCLE_1) | instskip(SKIP_1) | instid1(SALU_CYCLE_1)
	s_cmp_lt_i32 s15, s9
	s_cselect_b32 s2, -1, 0
	s_and_b32 s2, s39, s2
	s_delay_alu instid0(SALU_CYCLE_1)
	s_and_b32 vcc_lo, exec_lo, s2
	s_cbranch_vccz .LBB227_42
.LBB227_3:                              ; =>This Loop Header: Depth=1
                                        ;     Child Loop BB227_13 Depth 2
	s_abs_i32 s2, s15
	s_delay_alu instid0(SALU_CYCLE_1) | instskip(NEXT) | instid1(SALU_CYCLE_1)
	s_mul_hi_u32 s24, s2, s5
	s_mul_i32 s24, s24, s36
	s_delay_alu instid0(SALU_CYCLE_1) | instskip(SKIP_4) | instid1(SALU_CYCLE_1)
	s_sub_i32 s24, s2, s24
	s_ashr_i32 s2, s15, 31
	s_sub_i32 s25, s24, s36
	s_cmp_ge_u32 s24, s36
	s_cselect_b32 s24, s25, s24
	s_sub_i32 s25, s24, s36
	s_cmp_ge_u32 s24, s36
	s_cselect_b32 s24, s25, s24
	s_delay_alu instid0(SALU_CYCLE_1) | instskip(NEXT) | instid1(SALU_CYCLE_1)
	s_xor_b32 s24, s24, s2
	s_sub_i32 s25, s24, s2
	s_delay_alu instid0(SALU_CYCLE_1) | instskip(NEXT) | instid1(SALU_CYCLE_1)
	s_sub_i32 s28, s15, s25
	s_mul_i32 s28, s28, s8
	s_delay_alu instid0(SALU_CYCLE_1)
	s_add_i32 s28, s28, s25
	s_waitcnt lgkmcnt(0)
	s_cmp_lt_i32 s28, s3
	s_cselect_b32 s39, -1, 0
	s_cmp_ge_i32 s28, s3
	s_cbranch_scc1 .LBB227_2
; %bb.4:                                ;   in Loop: Header=BB227_3 Depth=1
	s_and_saveexec_b32 s25, s0
	s_cbranch_execz .LBB227_8
; %bb.5:                                ;   in Loop: Header=BB227_3 Depth=1
	s_waitcnt vmcnt(0)
	v_dual_mov_b32 v1, s4 :: v_dual_add_nc_u32 v0, s28, v6
	s_mov_b32 s28, exec_lo
	s_delay_alu instid0(VALU_DEP_1)
	v_cmpx_gt_i32_e64 s3, v0
	s_cbranch_execz .LBB227_7
; %bb.6:                                ;   in Loop: Header=BB227_3 Depth=1
	v_ashrrev_i32_e32 v1, 31, v0
	s_delay_alu instid0(VALU_DEP_1) | instskip(NEXT) | instid1(VALU_DEP_1)
	v_lshlrev_b64 v[0:1], 2, v[0:1]
	v_add_co_u32 v0, vcc_lo, s22, v0
	s_delay_alu instid0(VALU_DEP_2)
	v_add_co_ci_u32_e32 v1, vcc_lo, s23, v1, vcc_lo
	global_load_b32 v1, v[0:1], off
.LBB227_7:                              ;   in Loop: Header=BB227_3 Depth=1
	s_or_b32 exec_lo, exec_lo, s28
.LBB227_8:                              ;   in Loop: Header=BB227_3 Depth=1
	s_delay_alu instid0(SALU_CYCLE_1) | instskip(NEXT) | instid1(SALU_CYCLE_1)
	s_or_b32 exec_lo, exec_lo, s25
	s_and_not1_b32 vcc_lo, exec_lo, s34
	s_cbranch_vccnz .LBB227_2
; %bb.9:                                ;   in Loop: Header=BB227_3 Depth=1
	s_add_i32 s25, s15, s2
	s_waitcnt vmcnt(0)
	v_and_b32_e32 v0, 0xffffff, v1
	s_sub_i32 s25, s25, s24
	v_ashrrev_i32_e32 v8, 24, v1
	s_mul_i32 s25, s8, s25
	s_mov_b32 s41, 0
	s_add_i32 s24, s24, s25
	s_delay_alu instid0(SALU_CYCLE_1)
	s_sub_i32 s40, s24, s2
	s_branch .LBB227_13
.LBB227_10:                             ;   in Loop: Header=BB227_13 Depth=2
	s_or_b32 exec_lo, exec_lo, s2
.LBB227_11:                             ;   in Loop: Header=BB227_13 Depth=2
	s_add_i32 s41, s41, 1
	s_add_i32 s40, s40, s7
	s_cmp_eq_u32 s8, s41
	s_cselect_b32 s2, -1, 0
.LBB227_12:                             ;   in Loop: Header=BB227_13 Depth=2
	s_delay_alu instid0(SALU_CYCLE_1)
	s_and_b32 vcc_lo, exec_lo, s2
	s_cbranch_vccnz .LBB227_2
.LBB227_13:                             ;   Parent Loop BB227_3 Depth=1
                                        ; =>  This Inner Loop Header: Depth=2
	v_readlane_b32 s24, v0, s41
	v_readlane_b32 s29, v8, s41
	s_mov_b32 s2, -1
	s_delay_alu instid0(VALU_DEP_2)
	s_cmp_ge_i32 s24, s4
	s_cbranch_scc1 .LBB227_12
; %bb.14:                               ;   in Loop: Header=BB227_13 Depth=2
	s_mul_i32 s2, s24, s11
	s_delay_alu instid0(SALU_CYCLE_1) | instskip(SKIP_2) | instid1(SALU_CYCLE_1)
	s_add_i32 s2, s2, s29
	s_and_b32 s25, s35, exec_lo
	s_cselect_b32 s28, s24, s2
	s_mul_hi_i32 s25, s28, s13
	s_mul_i32 s24, s28, s13
	s_delay_alu instid0(SALU_CYCLE_1) | instskip(NEXT) | instid1(SALU_CYCLE_1)
	s_lshl_b64 s[24:25], s[24:25], 1
	s_add_u32 s24, s20, s24
	s_addc_u32 s2, s21, s25
	s_delay_alu instid0(SALU_CYCLE_1)
	s_and_b32 s25, s2, 0xffff
	s_cmp_lt_i32 s12, 8
	buffer_load_b128 v[14:17], v3, s[24:27], 0 offen
	s_waitcnt vmcnt(0)
	v_and_b32_e32 v9, 0xffff, v14
	v_lshrrev_b32_e32 v10, 16, v14
	v_and_b32_e32 v11, 0xffff, v15
	v_lshrrev_b32_e32 v12, 16, v15
	v_and_b32_e32 v18, 0xffff, v17
	v_cvt_f32_u32_e32 v13, v9
	v_cvt_f32_u32_e32 v14, v10
	v_and_b32_e32 v9, 0xffff, v16
	v_lshrrev_b32_e32 v10, 16, v16
	v_cvt_f32_u32_e32 v15, v11
	v_cvt_f32_u32_e32 v16, v12
	v_max3_f32 v11, v13, 0x2edbe6ff, v14
	v_cvt_f32_u32_e32 v12, v9
	v_cvt_f32_u32_e32 v9, v10
	v_lshrrev_b32_e32 v17, 16, v17
	v_cvt_f32_u32_e32 v10, v18
	v_max3_f32 v11, v11, v15, v16
	s_delay_alu instid0(VALU_DEP_1) | instskip(NEXT) | instid1(VALU_DEP_4)
	v_max3_f32 v18, v11, v12, v9
	v_cvt_f32_u32_e32 v11, v17
	s_delay_alu instid0(VALU_DEP_1)
	v_max3_f32 v17, v18, v10, v11
	s_cbranch_scc1 .LBB227_20
; %bb.15:                               ;   in Loop: Header=BB227_13 Depth=2
	s_cmp_lt_i32 s12, 16
	s_cbranch_scc1 .LBB227_21
; %bb.16:                               ;   in Loop: Header=BB227_13 Depth=2
	s_cmp_lt_i32 s12, 32
	s_cbranch_scc1 .LBB227_22
; %bb.17:                               ;   in Loop: Header=BB227_13 Depth=2
	v_mov_b32_e32 v18, v17
	s_cmp_eq_u32 s12, 32
	s_cbranch_scc0 .LBB227_19
; %bb.18:                               ;   in Loop: Header=BB227_13 Depth=2
	s_delay_alu instid0(VALU_DEP_1) | instskip(NEXT) | instid1(VALU_DEP_1)
	v_mov_b32_dpp v18, v17 quad_perm:[1,0,3,2] row_mask:0xf bank_mask:0xf
	v_cmp_gt_f32_e32 vcc_lo, v17, v18
	v_cndmask_b32_e32 v18, v18, v17, vcc_lo
	s_delay_alu instid0(VALU_DEP_1) | instskip(NEXT) | instid1(VALU_DEP_1)
	v_mov_b32_dpp v19, v18 quad_perm:[2,3,0,1] row_mask:0xf bank_mask:0xf
	v_cmp_gt_f32_e32 vcc_lo, v18, v19
	v_cndmask_b32_e32 v18, v19, v18, vcc_lo
	s_delay_alu instid0(VALU_DEP_1) | instskip(NEXT) | instid1(VALU_DEP_1)
	v_mov_b32_dpp v19, v18 row_xmask:7 row_mask:0xf bank_mask:0xf
	v_cmp_gt_f32_e32 vcc_lo, v18, v19
	v_cndmask_b32_e32 v18, v19, v18, vcc_lo
	s_delay_alu instid0(VALU_DEP_1) | instskip(NEXT) | instid1(VALU_DEP_1)
	v_mov_b32_dpp v19, v18 row_xmask:15 row_mask:0xf bank_mask:0xf
	v_cmp_gt_f32_e32 vcc_lo, v18, v19
	v_cndmask_b32_e32 v18, v19, v18, vcc_lo
	s_delay_alu instid0(VALU_DEP_1) | instskip(NEXT) | instid1(VALU_DEP_1)
	v_permlanex16_b32 v19, v18, s14, 0xfedcba98 op_sel:[1,1]
	v_cmp_gt_f32_e32 vcc_lo, v18, v19
	v_cndmask_b32_e32 v18, v19, v18, vcc_lo
.LBB227_19:                             ;   in Loop: Header=BB227_13 Depth=2
	s_cbranch_execz .LBB227_23
	s_branch .LBB227_25
.LBB227_20:                             ;   in Loop: Header=BB227_13 Depth=2
                                        ; implicit-def: $vgpr18
	s_branch .LBB227_29
.LBB227_21:                             ;   in Loop: Header=BB227_13 Depth=2
                                        ; implicit-def: $vgpr18
	s_branch .LBB227_26
.LBB227_22:                             ;   in Loop: Header=BB227_13 Depth=2
                                        ; implicit-def: $vgpr18
.LBB227_23:                             ;   in Loop: Header=BB227_13 Depth=2
	v_mov_b32_e32 v18, v17
	s_cmp_eq_u32 s12, 16
	s_cbranch_scc0 .LBB227_25
; %bb.24:                               ;   in Loop: Header=BB227_13 Depth=2
	s_delay_alu instid0(VALU_DEP_1) | instskip(NEXT) | instid1(VALU_DEP_1)
	v_mov_b32_dpp v18, v17 quad_perm:[1,0,3,2] row_mask:0xf bank_mask:0xf
	v_cmp_gt_f32_e32 vcc_lo, v17, v18
	v_cndmask_b32_e32 v18, v18, v17, vcc_lo
	s_delay_alu instid0(VALU_DEP_1) | instskip(NEXT) | instid1(VALU_DEP_1)
	v_mov_b32_dpp v19, v18 quad_perm:[2,3,0,1] row_mask:0xf bank_mask:0xf
	v_cmp_gt_f32_e32 vcc_lo, v18, v19
	v_cndmask_b32_e32 v18, v19, v18, vcc_lo
	s_delay_alu instid0(VALU_DEP_1) | instskip(NEXT) | instid1(VALU_DEP_1)
	v_mov_b32_dpp v19, v18 row_half_mirror row_mask:0xf bank_mask:0xf
	v_cmp_gt_f32_e32 vcc_lo, v18, v19
	v_cndmask_b32_e32 v18, v19, v18, vcc_lo
	s_delay_alu instid0(VALU_DEP_1) | instskip(NEXT) | instid1(VALU_DEP_1)
	v_mov_b32_dpp v19, v18 row_mirror row_mask:0xf bank_mask:0xf
	v_cmp_gt_f32_e32 vcc_lo, v18, v19
	v_cndmask_b32_e32 v18, v19, v18, vcc_lo
.LBB227_25:                             ;   in Loop: Header=BB227_13 Depth=2
	s_cbranch_execnz .LBB227_28
.LBB227_26:                             ;   in Loop: Header=BB227_13 Depth=2
	v_mov_b32_e32 v18, v17
	s_cmp_eq_u32 s12, 8
	s_cbranch_scc0 .LBB227_28
; %bb.27:                               ;   in Loop: Header=BB227_13 Depth=2
	s_delay_alu instid0(VALU_DEP_1) | instskip(NEXT) | instid1(VALU_DEP_1)
	v_mov_b32_dpp v18, v17 quad_perm:[1,0,3,2] row_mask:0xf bank_mask:0xf
	v_cmp_gt_f32_e32 vcc_lo, v17, v18
	v_cndmask_b32_e32 v18, v18, v17, vcc_lo
	s_delay_alu instid0(VALU_DEP_1) | instskip(NEXT) | instid1(VALU_DEP_1)
	v_mov_b32_dpp v19, v18 quad_perm:[2,3,0,1] row_mask:0xf bank_mask:0xf
	v_cmp_gt_f32_e32 vcc_lo, v18, v19
	v_cndmask_b32_e32 v18, v19, v18, vcc_lo
	s_delay_alu instid0(VALU_DEP_1) | instskip(NEXT) | instid1(VALU_DEP_1)
	v_mov_b32_dpp v19, v18 row_half_mirror row_mask:0xf bank_mask:0xf
	v_cmp_gt_f32_e32 vcc_lo, v18, v19
	v_cndmask_b32_e32 v18, v19, v18, vcc_lo
.LBB227_28:                             ;   in Loop: Header=BB227_13 Depth=2
	s_cbranch_execnz .LBB227_37
.LBB227_29:                             ;   in Loop: Header=BB227_13 Depth=2
	s_cmp_lt_i32 s12, 4
	s_cbranch_scc1 .LBB227_32
; %bb.30:                               ;   in Loop: Header=BB227_13 Depth=2
	v_mov_b32_e32 v18, v17
	s_cmp_eq_u32 s12, 4
	s_cbranch_scc0 .LBB227_33
; %bb.31:                               ;   in Loop: Header=BB227_13 Depth=2
	s_delay_alu instid0(VALU_DEP_1) | instskip(NEXT) | instid1(VALU_DEP_1)
	v_mov_b32_dpp v18, v17 quad_perm:[1,0,3,2] row_mask:0xf bank_mask:0xf
	v_cmp_gt_f32_e32 vcc_lo, v17, v18
	v_cndmask_b32_e32 v18, v18, v17, vcc_lo
	s_delay_alu instid0(VALU_DEP_1) | instskip(NEXT) | instid1(VALU_DEP_1)
	v_mov_b32_dpp v19, v18 quad_perm:[2,3,0,1] row_mask:0xf bank_mask:0xf
	v_cmp_gt_f32_e32 vcc_lo, v18, v19
	v_cndmask_b32_e32 v18, v19, v18, vcc_lo
	s_cbranch_execz .LBB227_34
	s_branch .LBB227_37
.LBB227_32:                             ;   in Loop: Header=BB227_13 Depth=2
                                        ; implicit-def: $vgpr18
	s_branch .LBB227_34
.LBB227_33:                             ;   in Loop: Header=BB227_13 Depth=2
	s_cbranch_execnz .LBB227_37
.LBB227_34:                             ;   in Loop: Header=BB227_13 Depth=2
	s_cmp_lg_u32 s12, 2
	s_cbranch_scc1 .LBB227_36
; %bb.35:                               ;   in Loop: Header=BB227_13 Depth=2
	v_mov_b32_dpp v18, v17 quad_perm:[1,0,3,2] row_mask:0xf bank_mask:0xf
	s_delay_alu instid0(VALU_DEP_1)
	v_cmp_gt_f32_e32 vcc_lo, v17, v18
	v_cndmask_b32_e32 v17, v18, v17, vcc_lo
.LBB227_36:                             ;   in Loop: Header=BB227_13 Depth=2
	s_delay_alu instid0(VALU_DEP_1)
	v_mov_b32_e32 v18, v17
.LBB227_37:                             ;   in Loop: Header=BB227_13 Depth=2
	s_delay_alu instid0(VALU_DEP_1) | instskip(NEXT) | instid1(VALU_DEP_1)
	v_mul_f32_e32 v17, 0x3b124925, v18
	v_bfe_u32 v18, v17, 23, 8
	v_and_b32_e32 v17, 0x7fffff, v17
	s_delay_alu instid0(VALU_DEP_2) | instskip(NEXT) | instid1(VALU_DEP_2)
	v_cmp_ne_u32_e32 vcc_lo, 0xff, v18
	v_cmp_ne_u32_e64 s2, 0, v17
	s_delay_alu instid0(VALU_DEP_1)
	s_and_b32 vcc_lo, s2, vcc_lo
	v_add_co_ci_u32_e32 v17, vcc_lo, 0, v18, vcc_lo
	s_and_saveexec_b32 s2, s37
	s_cbranch_execz .LBB227_39
; %bb.38:                               ;   in Loop: Header=BB227_13 Depth=2
	s_ashr_i32 s24, s40, 31
	s_delay_alu instid0(SALU_CYCLE_1)
	s_lshr_b32 s25, s24, 27
	s_lshr_b32 s24, s24, 28
	s_add_i32 s25, s40, s25
	s_add_i32 s24, s40, s24
	s_and_b32 s31, s25, 0xffe0
	s_and_b32 s24, s24, 0x3ffffff0
	s_sub_i32 s31, s40, s31
	s_sub_i32 s24, s40, s24
	s_bfe_i32 s42, s31, 0x80000
	s_lshl_b32 s24, s24, 2
	v_lshrrev_b16 v18, 11, s42
	s_delay_alu instid0(VALU_DEP_1) | instskip(NEXT) | instid1(VALU_DEP_1)
	v_and_b32_e32 v18, 15, v18
	v_add_nc_u16 v18, s31, v18
	s_delay_alu instid0(VALU_DEP_1) | instskip(NEXT) | instid1(VALU_DEP_1)
	v_bfe_i32 v18, v18, 0, 8
	v_ashrrev_i16 v18, 4, v18
	s_delay_alu instid0(VALU_DEP_1) | instskip(NEXT) | instid1(VALU_DEP_1)
	v_bfe_i32 v18, v18, 0, 16
	v_add_nc_u32_e32 v18, s24, v18
	s_ashr_i32 s24, s25, 5
	s_delay_alu instid0(SALU_CYCLE_1)
	s_mul_i32 s24, s33, s24
	s_delay_alu instid0(VALU_DEP_1) | instid1(SALU_CYCLE_1)
	v_add3_u32 v18, v18, s24, v7
	s_delay_alu instid0(VALU_DEP_1) | instskip(SKIP_1) | instid1(VALU_DEP_2)
	v_ashrrev_i32_e32 v19, 31, v18
	v_add_co_u32 v18, vcc_lo, s18, v18
	v_add_co_ci_u32_e32 v19, vcc_lo, s19, v19, vcc_lo
	global_store_b8 v[18:19], v17, off
.LBB227_39:                             ;   in Loop: Header=BB227_13 Depth=2
	s_or_b32 exec_lo, exec_lo, s2
	s_cmp_ge_i32 s29, s11
	s_cselect_b32 s2, -1, 0
	s_delay_alu instid0(SALU_CYCLE_1) | instskip(NEXT) | instid1(SALU_CYCLE_1)
	s_and_b32 s2, s38, s2
	s_and_b32 vcc_lo, exec_lo, s2
	s_cbranch_vccnz .LBB227_11
; %bb.40:                               ;   in Loop: Header=BB227_13 Depth=2
	s_and_saveexec_b32 s2, s1
	s_cbranch_execz .LBB227_10
; %bb.41:                               ;   in Loop: Header=BB227_13 Depth=2
	v_lshlrev_b32_e32 v17, 23, v17
	s_mul_i32 s24, s28, s6
	s_mul_hi_i32 s25, s28, s6
	s_add_u32 s28, s16, s24
	s_addc_u32 s24, s17, s25
	v_rcp_f32_e32 v17, v17
	s_mov_b32 s31, s27
	s_and_b32 s29, s24, 0xffff
	s_waitcnt_depctr 0xfff
	v_mul_f32_e32 v13, v17, v13
	v_mul_f32_e32 v14, v17, v14
	v_mul_f32_e32 v15, v17, v15
	v_mul_f32_e32 v16, v17, v16
	;;#ASMSTART
	v_med3_f32 v13, v13, v4, v5
v_med3_f32 v14, v14, v4, v5
v_cvt_pk_fp8_f32 v18, v13, v14
	;;#ASMEND
	;;#ASMSTART
	v_med3_f32 v15, v15, v4, v5
v_med3_f32 v16, v16, v4, v5
v_cvt_pk_fp8_f32 v13, v15, v16
	;;#ASMEND
	v_perm_b32 v14, v13, v18, 0x5040100
	v_dual_mul_f32 v12, v17, v12 :: v_dual_and_b32 v13, 0xffffff00, v13
	v_mul_f32_e32 v9, v17, v9
	v_mul_f32_e32 v11, v17, v11
	s_delay_alu instid0(VALU_DEP_4) | instskip(NEXT) | instid1(VALU_DEP_1)
	v_lshrrev_b32_e32 v15, 16, v14
	v_and_b32_e32 v15, 0xff, v15
	s_delay_alu instid0(VALU_DEP_1)
	v_or_b32_e32 v13, v15, v13
	v_mul_f32_e32 v10, v17, v10
	;;#ASMSTART
	v_med3_f32 v12, v12, v4, v5
v_med3_f32 v9, v9, v4, v5
v_cvt_pk_fp8_f32 v15, v12, v9
	;;#ASMEND
	;;#ASMSTART
	v_med3_f32 v10, v10, v4, v5
v_med3_f32 v11, v11, v4, v5
v_cvt_pk_fp8_f32 v9, v10, v11
	;;#ASMEND
	v_lshlrev_b32_e32 v9, 16, v9
	v_lshlrev_b32_e32 v11, 16, v13
	s_delay_alu instid0(VALU_DEP_2) | instskip(NEXT) | instid1(VALU_DEP_2)
	v_and_or_b32 v10, 0xffff, v15, v9
	v_and_or_b32 v9, 0xffff, v14, v11
	buffer_store_b64 v[9:10], v2, s[28:31], 0 offen
	;;#ASMSTART
	s_nop 0
	;;#ASMEND
	s_branch .LBB227_10
.LBB227_42:
	s_nop 0
	s_sendmsg sendmsg(MSG_DEALLOC_VGPRS)
	s_endpgm
	.section	.rodata,"a",@progbits
	.p2align	6, 0x0
	.amdhsa_kernel _ZN5aiter30fused_mx_quant_moe_sort_kernelItDB8_Li64ELi8EEEvPT0_PhPKT_PKiS9_iiiiiiiii
		.amdhsa_group_segment_fixed_size 0
		.amdhsa_private_segment_fixed_size 0
		.amdhsa_kernarg_size 76
		.amdhsa_user_sgpr_count 15
		.amdhsa_user_sgpr_dispatch_ptr 0
		.amdhsa_user_sgpr_queue_ptr 0
		.amdhsa_user_sgpr_kernarg_segment_ptr 1
		.amdhsa_user_sgpr_dispatch_id 0
		.amdhsa_user_sgpr_private_segment_size 0
		.amdhsa_wavefront_size32 1
		.amdhsa_uses_dynamic_stack 0
		.amdhsa_enable_private_segment 0
		.amdhsa_system_sgpr_workgroup_id_x 1
		.amdhsa_system_sgpr_workgroup_id_y 0
		.amdhsa_system_sgpr_workgroup_id_z 0
		.amdhsa_system_sgpr_workgroup_info 0
		.amdhsa_system_vgpr_workitem_id 0
		.amdhsa_next_free_vgpr 20
		.amdhsa_next_free_sgpr 43
		.amdhsa_reserve_vcc 1
		.amdhsa_float_round_mode_32 0
		.amdhsa_float_round_mode_16_64 0
		.amdhsa_float_denorm_mode_32 3
		.amdhsa_float_denorm_mode_16_64 3
		.amdhsa_dx10_clamp 1
		.amdhsa_ieee_mode 1
		.amdhsa_fp16_overflow 0
		.amdhsa_workgroup_processor_mode 1
		.amdhsa_memory_ordered 1
		.amdhsa_forward_progress 0
		.amdhsa_shared_vgpr_count 0
		.amdhsa_exception_fp_ieee_invalid_op 0
		.amdhsa_exception_fp_denorm_src 0
		.amdhsa_exception_fp_ieee_div_zero 0
		.amdhsa_exception_fp_ieee_overflow 0
		.amdhsa_exception_fp_ieee_underflow 0
		.amdhsa_exception_fp_ieee_inexact 0
		.amdhsa_exception_int_div_zero 0
	.end_amdhsa_kernel
	.section	.text._ZN5aiter30fused_mx_quant_moe_sort_kernelItDB8_Li64ELi8EEEvPT0_PhPKT_PKiS9_iiiiiiiii,"axG",@progbits,_ZN5aiter30fused_mx_quant_moe_sort_kernelItDB8_Li64ELi8EEEvPT0_PhPKT_PKiS9_iiiiiiiii,comdat
.Lfunc_end227:
	.size	_ZN5aiter30fused_mx_quant_moe_sort_kernelItDB8_Li64ELi8EEEvPT0_PhPKT_PKiS9_iiiiiiiii, .Lfunc_end227-_ZN5aiter30fused_mx_quant_moe_sort_kernelItDB8_Li64ELi8EEEvPT0_PhPKT_PKiS9_iiiiiiiii
                                        ; -- End function
	.section	.AMDGPU.csdata,"",@progbits
; Kernel info:
; codeLenInByte = 2304
; NumSgprs: 45
; NumVgprs: 20
; ScratchSize: 0
; MemoryBound: 0
; FloatMode: 240
; IeeeMode: 1
; LDSByteSize: 0 bytes/workgroup (compile time only)
; SGPRBlocks: 5
; VGPRBlocks: 2
; NumSGPRsForWavesPerEU: 45
; NumVGPRsForWavesPerEU: 20
; Occupancy: 16
; WaveLimiterHint : 0
; COMPUTE_PGM_RSRC2:SCRATCH_EN: 0
; COMPUTE_PGM_RSRC2:USER_SGPR: 15
; COMPUTE_PGM_RSRC2:TRAP_HANDLER: 0
; COMPUTE_PGM_RSRC2:TGID_X_EN: 1
; COMPUTE_PGM_RSRC2:TGID_Y_EN: 0
; COMPUTE_PGM_RSRC2:TGID_Z_EN: 0
; COMPUTE_PGM_RSRC2:TIDIG_COMP_CNT: 0
	.section	.text._ZN5aiter30fused_mx_quant_moe_sort_kernelIDF16_DB8_Li128ELi8EEEvPT0_PhPKT_PKiS9_iiiiiiiii,"axG",@progbits,_ZN5aiter30fused_mx_quant_moe_sort_kernelIDF16_DB8_Li128ELi8EEEvPT0_PhPKT_PKiS9_iiiiiiiii,comdat
	.protected	_ZN5aiter30fused_mx_quant_moe_sort_kernelIDF16_DB8_Li128ELi8EEEvPT0_PhPKT_PKiS9_iiiiiiiii ; -- Begin function _ZN5aiter30fused_mx_quant_moe_sort_kernelIDF16_DB8_Li128ELi8EEEvPT0_PhPKT_PKiS9_iiiiiiiii
	.globl	_ZN5aiter30fused_mx_quant_moe_sort_kernelIDF16_DB8_Li128ELi8EEEvPT0_PhPKT_PKiS9_iiiiiiiii
	.p2align	8
	.type	_ZN5aiter30fused_mx_quant_moe_sort_kernelIDF16_DB8_Li128ELi8EEEvPT0_PhPKT_PKiS9_iiiiiiiii,@function
_ZN5aiter30fused_mx_quant_moe_sort_kernelIDF16_DB8_Li128ELi8EEEvPT0_PhPKT_PKiS9_iiiiiiiii: ; @_ZN5aiter30fused_mx_quant_moe_sort_kernelIDF16_DB8_Li128ELi8EEEvPT0_PhPKT_PKiS9_iiiiiiiii
; %bb.0:
	s_load_b256 s[4:11], s[0:1], 0x28
	s_waitcnt lgkmcnt(0)
	s_abs_i32 s14, s6
	s_cmp_ge_i32 s15, s9
	v_cvt_f32_u32_e32 v1, s14
	s_delay_alu instid0(VALU_DEP_1) | instskip(SKIP_2) | instid1(VALU_DEP_1)
	v_rcp_iflag_f32_e32 v1, v1
	s_waitcnt_depctr 0xfff
	v_mul_f32_e32 v1, 0x4f7ffffe, v1
	v_cvt_u32_f32_e32 v1, v1
	s_delay_alu instid0(VALU_DEP_1)
	v_readfirstlane_b32 s24, v1
	s_cbranch_scc1 .LBB228_42
; %bb.1:
	s_ashr_i32 s25, s6, 31
	s_load_b256 s[16:23], s[0:1], 0x0
	s_lshr_b32 s2, s25, 29
	v_lshlrev_b32_e32 v3, 4, v0
	s_add_i32 s2, s6, s2
	s_mov_b32 s27, -1
	s_ashr_i32 s12, s2, 3
	s_clause 0x1
	s_load_b64 s[2:3], s[0:1], 0x20
	s_load_b32 s13, s[0:1], 0x48
	v_cvt_f32_u32_e32 v1, s12
	s_sub_i32 s1, 0, s14
	s_add_i32 s0, s5, s6
	s_mul_i32 s1, s1, s24
	s_add_i32 s0, s0, -1
	v_rcp_iflag_f32_e32 v1, v1
	s_mul_hi_u32 s1, s24, s1
	s_ashr_i32 s6, s0, 31
	s_abs_i32 s0, s0
	s_add_i32 s24, s24, s1
	s_xor_b32 s1, s6, s25
	s_mul_hi_u32 s6, s0, s24
	s_sub_i32 s24, 0, s12
	s_mul_i32 s25, s6, s14
	s_add_i32 s26, s6, 1
	s_waitcnt_depctr 0xfff
	v_dual_mul_f32 v1, 0x4f7ffffe, v1 :: v_dual_and_b32 v6, 31, v0
	s_sub_i32 s0, s0, s25
	s_waitcnt lgkmcnt(0)
	s_load_b32 s3, s[2:3], 0x0
	v_mov_b32_e32 v5, 0x43e00000
	v_cvt_u32_f32_e32 v1, v1
	s_delay_alu instid0(VALU_DEP_1)
	v_mul_lo_u32 v2, s24, v1
	s_sub_i32 s24, s0, s14
	s_cmp_ge_u32 s0, s14
	s_cselect_b32 s6, s26, s6
	s_cselect_b32 s0, s24, s0
	s_add_i32 s24, s6, 1
	s_cmp_ge_u32 s0, s14
	s_delay_alu instid0(VALU_DEP_1)
	v_mul_hi_u32 v4, v1, v2
	s_cselect_b32 s0, s24, s6
	s_mov_b32 s6, s5
	s_xor_b32 s0, s0, s1
	v_lshlrev_b32_e32 v2, 3, v0
	s_sub_i32 s1, s0, s1
	s_mov_b32 s14, 0x76543210
	s_add_i32 s0, s1, 7
	v_add_nc_u32_e32 v1, v1, v4
	s_ashr_i32 s24, s0, 31
	v_mov_b32_e32 v4, 0xc3e00000
	s_lshr_b32 s24, s24, 29
	s_delay_alu instid0(SALU_CYCLE_1)
	s_add_i32 s24, s0, s24
	v_mul_hi_u32 v1, v0, v1
	s_lshl_b32 s24, s24, 5
	v_cmp_gt_i32_e64 s0, s8, v6
	s_and_b32 s33, s24, 0xffffff00
	s_cmp_gt_i32 s8, 0
	v_mul_lo_u32 v6, v6, s7
	s_cselect_b32 s34, -1, 0
	s_cmp_eq_u32 s11, 1
	v_mul_lo_u32 v7, v1, s12
	s_cselect_b32 s35, -1, 0
	s_abs_i32 s36, s7
	s_lshl_b32 s26, s5, 1
	v_cvt_f32_u32_e32 v8, s36
	s_add_i32 s2, s5, 7
	s_add_i32 s5, s5, 3
	s_ashr_i32 s24, s2, 31
	v_sub_nc_u32_e32 v7, v0, v7
	v_rcp_iflag_f32_e32 v8, v8
	v_add_nc_u32_e32 v9, 1, v1
	s_ashr_i32 s25, s5, 31
	s_lshr_b32 s24, s24, 29
	v_subrev_nc_u32_e32 v10, s12, v7
	v_cmp_le_u32_e32 vcc_lo, s12, v7
	s_lshr_b32 s25, s25, 30
	s_add_i32 s2, s2, s24
	s_add_i32 s5, s5, s25
	s_sub_i32 s28, 0, s36
	s_waitcnt_depctr 0xfff
	v_dual_mul_f32 v8, 0x4f7ffffe, v8 :: v_dual_cndmask_b32 v1, v1, v9
	v_cndmask_b32_e32 v7, v7, v10, vcc_lo
	s_ashr_i32 s24, s2, 3
	s_and_b32 s30, s5, -4
	s_xor_b32 s38, s35, -1
	v_add_nc_u32_e32 v9, 1, v1
	v_cmp_le_u32_e32 vcc_lo, s12, v7
	v_cvt_u32_f32_e32 v7, v8
	s_delay_alu instid0(VALU_DEP_3) | instskip(NEXT) | instid1(VALU_DEP_2)
	v_cndmask_b32_e32 v1, v1, v9, vcc_lo
	v_readfirstlane_b32 s25, v7
	s_delay_alu instid0(VALU_DEP_2)
	v_mul_lo_u32 v8, v1, s12
	v_lshlrev_b32_e32 v7, 5, v1
	v_lshlrev_b32_e32 v9, 6, v1
	v_lshrrev_b32_e32 v10, 1, v1
	v_cmp_gt_i32_e32 vcc_lo, s1, v1
	s_mul_i32 s28, s28, s25
	v_and_b32_e32 v7, 0x7f00, v7
	v_and_b32_e32 v9, 0xc0, v9
	;; [unrolled: 1-line block ×3, first 2 shown]
	v_sub_nc_u32_e32 v8, v0, v8
	v_cmp_gt_u32_e64 s1, s24, v0
	s_mul_hi_u32 s5, s25, s28
                                        ; implicit-def: $vgpr1
	s_delay_alu instid0(VALU_DEP_3) | instskip(NEXT) | instid1(VALU_DEP_3)
	v_or3_b32 v7, v9, v7, v10
	v_cmp_eq_u32_e64 s2, 0, v8
	s_add_i32 s5, s25, s5
	s_delay_alu instid0(VALU_DEP_1)
	s_and_b32 s37, s2, vcc_lo
	s_branch .LBB228_3
.LBB228_2:                              ;   in Loop: Header=BB228_3 Depth=1
	s_add_i32 s15, s15, s10
	s_delay_alu instid0(SALU_CYCLE_1) | instskip(SKIP_1) | instid1(SALU_CYCLE_1)
	s_cmp_lt_i32 s15, s9
	s_cselect_b32 s2, -1, 0
	s_and_b32 s2, s39, s2
	s_delay_alu instid0(SALU_CYCLE_1)
	s_and_b32 vcc_lo, exec_lo, s2
	s_cbranch_vccz .LBB228_42
.LBB228_3:                              ; =>This Loop Header: Depth=1
                                        ;     Child Loop BB228_13 Depth 2
	s_abs_i32 s2, s15
	s_delay_alu instid0(SALU_CYCLE_1) | instskip(NEXT) | instid1(SALU_CYCLE_1)
	s_mul_hi_u32 s24, s2, s5
	s_mul_i32 s24, s24, s36
	s_delay_alu instid0(SALU_CYCLE_1) | instskip(SKIP_4) | instid1(SALU_CYCLE_1)
	s_sub_i32 s24, s2, s24
	s_ashr_i32 s2, s15, 31
	s_sub_i32 s25, s24, s36
	s_cmp_ge_u32 s24, s36
	s_cselect_b32 s24, s25, s24
	s_sub_i32 s25, s24, s36
	s_cmp_ge_u32 s24, s36
	s_cselect_b32 s24, s25, s24
	s_delay_alu instid0(SALU_CYCLE_1) | instskip(NEXT) | instid1(SALU_CYCLE_1)
	s_xor_b32 s24, s24, s2
	s_sub_i32 s25, s24, s2
	s_delay_alu instid0(SALU_CYCLE_1) | instskip(NEXT) | instid1(SALU_CYCLE_1)
	s_sub_i32 s28, s15, s25
	s_mul_i32 s28, s28, s8
	s_delay_alu instid0(SALU_CYCLE_1)
	s_add_i32 s28, s28, s25
	s_waitcnt lgkmcnt(0)
	s_cmp_lt_i32 s28, s3
	s_cselect_b32 s39, -1, 0
	s_cmp_ge_i32 s28, s3
	s_cbranch_scc1 .LBB228_2
; %bb.4:                                ;   in Loop: Header=BB228_3 Depth=1
	s_and_saveexec_b32 s25, s0
	s_cbranch_execz .LBB228_8
; %bb.5:                                ;   in Loop: Header=BB228_3 Depth=1
	s_waitcnt vmcnt(0)
	v_dual_mov_b32 v1, s4 :: v_dual_add_nc_u32 v0, s28, v6
	s_mov_b32 s28, exec_lo
	s_delay_alu instid0(VALU_DEP_1)
	v_cmpx_gt_i32_e64 s3, v0
	s_cbranch_execz .LBB228_7
; %bb.6:                                ;   in Loop: Header=BB228_3 Depth=1
	v_ashrrev_i32_e32 v1, 31, v0
	s_delay_alu instid0(VALU_DEP_1) | instskip(NEXT) | instid1(VALU_DEP_1)
	v_lshlrev_b64 v[0:1], 2, v[0:1]
	v_add_co_u32 v0, vcc_lo, s22, v0
	s_delay_alu instid0(VALU_DEP_2)
	v_add_co_ci_u32_e32 v1, vcc_lo, s23, v1, vcc_lo
	global_load_b32 v1, v[0:1], off
.LBB228_7:                              ;   in Loop: Header=BB228_3 Depth=1
	s_or_b32 exec_lo, exec_lo, s28
.LBB228_8:                              ;   in Loop: Header=BB228_3 Depth=1
	s_delay_alu instid0(SALU_CYCLE_1) | instskip(NEXT) | instid1(SALU_CYCLE_1)
	s_or_b32 exec_lo, exec_lo, s25
	s_and_not1_b32 vcc_lo, exec_lo, s34
	s_cbranch_vccnz .LBB228_2
; %bb.9:                                ;   in Loop: Header=BB228_3 Depth=1
	s_add_i32 s25, s15, s2
	s_waitcnt vmcnt(0)
	v_and_b32_e32 v0, 0xffffff, v1
	s_sub_i32 s25, s25, s24
	v_ashrrev_i32_e32 v8, 24, v1
	s_mul_i32 s25, s8, s25
	s_mov_b32 s41, 0
	s_add_i32 s24, s24, s25
	s_delay_alu instid0(SALU_CYCLE_1)
	s_sub_i32 s40, s24, s2
	s_branch .LBB228_13
.LBB228_10:                             ;   in Loop: Header=BB228_13 Depth=2
	s_or_b32 exec_lo, exec_lo, s2
.LBB228_11:                             ;   in Loop: Header=BB228_13 Depth=2
	s_add_i32 s41, s41, 1
	s_add_i32 s40, s40, s7
	s_cmp_eq_u32 s8, s41
	s_cselect_b32 s2, -1, 0
.LBB228_12:                             ;   in Loop: Header=BB228_13 Depth=2
	s_delay_alu instid0(SALU_CYCLE_1)
	s_and_b32 vcc_lo, exec_lo, s2
	s_cbranch_vccnz .LBB228_2
.LBB228_13:                             ;   Parent Loop BB228_3 Depth=1
                                        ; =>  This Inner Loop Header: Depth=2
	v_readlane_b32 s24, v0, s41
	v_readlane_b32 s29, v8, s41
	s_mov_b32 s2, -1
	s_delay_alu instid0(VALU_DEP_2)
	s_cmp_ge_i32 s24, s4
	s_cbranch_scc1 .LBB228_12
; %bb.14:                               ;   in Loop: Header=BB228_13 Depth=2
	s_mul_i32 s2, s24, s11
	s_delay_alu instid0(SALU_CYCLE_1) | instskip(SKIP_2) | instid1(SALU_CYCLE_1)
	s_add_i32 s2, s2, s29
	s_and_b32 s25, s35, exec_lo
	s_cselect_b32 s28, s24, s2
	s_mul_hi_i32 s25, s28, s13
	s_mul_i32 s24, s28, s13
	s_delay_alu instid0(SALU_CYCLE_1) | instskip(NEXT) | instid1(SALU_CYCLE_1)
	s_lshl_b64 s[24:25], s[24:25], 1
	s_add_u32 s24, s20, s24
	s_addc_u32 s2, s21, s25
	s_delay_alu instid0(SALU_CYCLE_1)
	s_and_b32 s25, s2, 0xffff
	s_cmp_lt_i32 s12, 8
	buffer_load_b128 v[9:12], v3, s[24:27], 0 offen
	s_waitcnt vmcnt(0)
	v_lshrrev_b32_e32 v14, 16, v9
	v_cvt_f32_f16_e32 v13, v9
	v_lshrrev_b32_e32 v9, 16, v10
	v_lshrrev_b32_e32 v18, 16, v12
	s_delay_alu instid0(VALU_DEP_4)
	v_cvt_f32_f16_e32 v15, v14
	v_cvt_f32_f16_e32 v14, v10
	v_lshrrev_b32_e32 v10, 16, v11
	v_cvt_f32_f16_e32 v16, v9
	v_cvt_f32_f16_e32 v11, v11
	v_max3_f32 v17, |v13|, 0x2edbe6ff, |v15|
	s_delay_alu instid0(VALU_DEP_4) | instskip(SKIP_2) | instid1(VALU_DEP_4)
	v_cvt_f32_f16_e32 v9, v10
	v_cvt_f32_f16_e32 v10, v12
	;; [unrolled: 1-line block ×3, first 2 shown]
	v_max3_f32 v17, v17, |v14|, |v16|
	s_delay_alu instid0(VALU_DEP_1) | instskip(NEXT) | instid1(VALU_DEP_1)
	v_max3_f32 v17, v17, |v11|, |v9|
	v_max3_f32 v17, v17, |v10|, |v12|
	s_cbranch_scc1 .LBB228_20
; %bb.15:                               ;   in Loop: Header=BB228_13 Depth=2
	s_cmp_lt_i32 s12, 16
	s_cbranch_scc1 .LBB228_21
; %bb.16:                               ;   in Loop: Header=BB228_13 Depth=2
	s_cmp_lt_i32 s12, 32
	s_cbranch_scc1 .LBB228_22
; %bb.17:                               ;   in Loop: Header=BB228_13 Depth=2
	v_mov_b32_e32 v18, v17
	s_cmp_eq_u32 s12, 32
	s_cbranch_scc0 .LBB228_19
; %bb.18:                               ;   in Loop: Header=BB228_13 Depth=2
	s_delay_alu instid0(VALU_DEP_1) | instskip(NEXT) | instid1(VALU_DEP_1)
	v_mov_b32_dpp v18, v17 quad_perm:[1,0,3,2] row_mask:0xf bank_mask:0xf
	v_cmp_gt_f32_e32 vcc_lo, v17, v18
	v_cndmask_b32_e32 v18, v18, v17, vcc_lo
	s_delay_alu instid0(VALU_DEP_1) | instskip(NEXT) | instid1(VALU_DEP_1)
	v_mov_b32_dpp v19, v18 quad_perm:[2,3,0,1] row_mask:0xf bank_mask:0xf
	v_cmp_gt_f32_e32 vcc_lo, v18, v19
	v_cndmask_b32_e32 v18, v19, v18, vcc_lo
	s_delay_alu instid0(VALU_DEP_1) | instskip(NEXT) | instid1(VALU_DEP_1)
	v_mov_b32_dpp v19, v18 row_xmask:7 row_mask:0xf bank_mask:0xf
	v_cmp_gt_f32_e32 vcc_lo, v18, v19
	v_cndmask_b32_e32 v18, v19, v18, vcc_lo
	s_delay_alu instid0(VALU_DEP_1) | instskip(NEXT) | instid1(VALU_DEP_1)
	v_mov_b32_dpp v19, v18 row_xmask:15 row_mask:0xf bank_mask:0xf
	v_cmp_gt_f32_e32 vcc_lo, v18, v19
	v_cndmask_b32_e32 v18, v19, v18, vcc_lo
	s_delay_alu instid0(VALU_DEP_1) | instskip(NEXT) | instid1(VALU_DEP_1)
	v_permlanex16_b32 v19, v18, s14, 0xfedcba98 op_sel:[1,1]
	v_cmp_gt_f32_e32 vcc_lo, v18, v19
	v_cndmask_b32_e32 v18, v19, v18, vcc_lo
.LBB228_19:                             ;   in Loop: Header=BB228_13 Depth=2
	s_cbranch_execz .LBB228_23
	s_branch .LBB228_25
.LBB228_20:                             ;   in Loop: Header=BB228_13 Depth=2
                                        ; implicit-def: $vgpr18
	s_branch .LBB228_29
.LBB228_21:                             ;   in Loop: Header=BB228_13 Depth=2
                                        ; implicit-def: $vgpr18
	s_branch .LBB228_26
.LBB228_22:                             ;   in Loop: Header=BB228_13 Depth=2
                                        ; implicit-def: $vgpr18
.LBB228_23:                             ;   in Loop: Header=BB228_13 Depth=2
	v_mov_b32_e32 v18, v17
	s_cmp_eq_u32 s12, 16
	s_cbranch_scc0 .LBB228_25
; %bb.24:                               ;   in Loop: Header=BB228_13 Depth=2
	s_delay_alu instid0(VALU_DEP_1) | instskip(NEXT) | instid1(VALU_DEP_1)
	v_mov_b32_dpp v18, v17 quad_perm:[1,0,3,2] row_mask:0xf bank_mask:0xf
	v_cmp_gt_f32_e32 vcc_lo, v17, v18
	v_cndmask_b32_e32 v18, v18, v17, vcc_lo
	s_delay_alu instid0(VALU_DEP_1) | instskip(NEXT) | instid1(VALU_DEP_1)
	v_mov_b32_dpp v19, v18 quad_perm:[2,3,0,1] row_mask:0xf bank_mask:0xf
	v_cmp_gt_f32_e32 vcc_lo, v18, v19
	v_cndmask_b32_e32 v18, v19, v18, vcc_lo
	s_delay_alu instid0(VALU_DEP_1) | instskip(NEXT) | instid1(VALU_DEP_1)
	v_mov_b32_dpp v19, v18 row_half_mirror row_mask:0xf bank_mask:0xf
	v_cmp_gt_f32_e32 vcc_lo, v18, v19
	v_cndmask_b32_e32 v18, v19, v18, vcc_lo
	s_delay_alu instid0(VALU_DEP_1) | instskip(NEXT) | instid1(VALU_DEP_1)
	v_mov_b32_dpp v19, v18 row_mirror row_mask:0xf bank_mask:0xf
	v_cmp_gt_f32_e32 vcc_lo, v18, v19
	v_cndmask_b32_e32 v18, v19, v18, vcc_lo
.LBB228_25:                             ;   in Loop: Header=BB228_13 Depth=2
	s_cbranch_execnz .LBB228_28
.LBB228_26:                             ;   in Loop: Header=BB228_13 Depth=2
	v_mov_b32_e32 v18, v17
	s_cmp_eq_u32 s12, 8
	s_cbranch_scc0 .LBB228_28
; %bb.27:                               ;   in Loop: Header=BB228_13 Depth=2
	s_delay_alu instid0(VALU_DEP_1) | instskip(NEXT) | instid1(VALU_DEP_1)
	v_mov_b32_dpp v18, v17 quad_perm:[1,0,3,2] row_mask:0xf bank_mask:0xf
	v_cmp_gt_f32_e32 vcc_lo, v17, v18
	v_cndmask_b32_e32 v18, v18, v17, vcc_lo
	s_delay_alu instid0(VALU_DEP_1) | instskip(NEXT) | instid1(VALU_DEP_1)
	v_mov_b32_dpp v19, v18 quad_perm:[2,3,0,1] row_mask:0xf bank_mask:0xf
	v_cmp_gt_f32_e32 vcc_lo, v18, v19
	v_cndmask_b32_e32 v18, v19, v18, vcc_lo
	s_delay_alu instid0(VALU_DEP_1) | instskip(NEXT) | instid1(VALU_DEP_1)
	v_mov_b32_dpp v19, v18 row_half_mirror row_mask:0xf bank_mask:0xf
	v_cmp_gt_f32_e32 vcc_lo, v18, v19
	v_cndmask_b32_e32 v18, v19, v18, vcc_lo
.LBB228_28:                             ;   in Loop: Header=BB228_13 Depth=2
	s_cbranch_execnz .LBB228_37
.LBB228_29:                             ;   in Loop: Header=BB228_13 Depth=2
	s_cmp_lt_i32 s12, 4
	s_cbranch_scc1 .LBB228_32
; %bb.30:                               ;   in Loop: Header=BB228_13 Depth=2
	v_mov_b32_e32 v18, v17
	s_cmp_eq_u32 s12, 4
	s_cbranch_scc0 .LBB228_33
; %bb.31:                               ;   in Loop: Header=BB228_13 Depth=2
	s_delay_alu instid0(VALU_DEP_1) | instskip(NEXT) | instid1(VALU_DEP_1)
	v_mov_b32_dpp v18, v17 quad_perm:[1,0,3,2] row_mask:0xf bank_mask:0xf
	v_cmp_gt_f32_e32 vcc_lo, v17, v18
	v_cndmask_b32_e32 v18, v18, v17, vcc_lo
	s_delay_alu instid0(VALU_DEP_1) | instskip(NEXT) | instid1(VALU_DEP_1)
	v_mov_b32_dpp v19, v18 quad_perm:[2,3,0,1] row_mask:0xf bank_mask:0xf
	v_cmp_gt_f32_e32 vcc_lo, v18, v19
	v_cndmask_b32_e32 v18, v19, v18, vcc_lo
	s_cbranch_execz .LBB228_34
	s_branch .LBB228_37
.LBB228_32:                             ;   in Loop: Header=BB228_13 Depth=2
                                        ; implicit-def: $vgpr18
	s_branch .LBB228_34
.LBB228_33:                             ;   in Loop: Header=BB228_13 Depth=2
	s_cbranch_execnz .LBB228_37
.LBB228_34:                             ;   in Loop: Header=BB228_13 Depth=2
	s_cmp_lg_u32 s12, 2
	s_cbranch_scc1 .LBB228_36
; %bb.35:                               ;   in Loop: Header=BB228_13 Depth=2
	v_mov_b32_dpp v18, v17 quad_perm:[1,0,3,2] row_mask:0xf bank_mask:0xf
	s_delay_alu instid0(VALU_DEP_1)
	v_cmp_gt_f32_e32 vcc_lo, v17, v18
	v_cndmask_b32_e32 v17, v18, v17, vcc_lo
.LBB228_36:                             ;   in Loop: Header=BB228_13 Depth=2
	s_delay_alu instid0(VALU_DEP_1)
	v_mov_b32_e32 v18, v17
.LBB228_37:                             ;   in Loop: Header=BB228_13 Depth=2
	s_delay_alu instid0(VALU_DEP_1) | instskip(NEXT) | instid1(VALU_DEP_1)
	v_mul_f32_e32 v17, 0x3b124925, v18
	v_bfe_u32 v18, v17, 23, 8
	v_and_b32_e32 v17, 0x7fffff, v17
	s_delay_alu instid0(VALU_DEP_2) | instskip(NEXT) | instid1(VALU_DEP_2)
	v_cmp_ne_u32_e32 vcc_lo, 0xff, v18
	v_cmp_ne_u32_e64 s2, 0, v17
	s_delay_alu instid0(VALU_DEP_1)
	s_and_b32 vcc_lo, s2, vcc_lo
	v_add_co_ci_u32_e32 v17, vcc_lo, 0, v18, vcc_lo
	s_and_saveexec_b32 s2, s37
	s_cbranch_execz .LBB228_39
; %bb.38:                               ;   in Loop: Header=BB228_13 Depth=2
	s_ashr_i32 s24, s40, 31
	s_delay_alu instid0(SALU_CYCLE_1)
	s_lshr_b32 s25, s24, 27
	s_lshr_b32 s24, s24, 28
	s_add_i32 s25, s40, s25
	s_add_i32 s24, s40, s24
	s_and_b32 s31, s25, 0xffe0
	s_and_b32 s24, s24, 0x3ffffff0
	s_sub_i32 s31, s40, s31
	s_sub_i32 s24, s40, s24
	s_bfe_i32 s42, s31, 0x80000
	s_lshl_b32 s24, s24, 2
	v_lshrrev_b16 v18, 11, s42
	s_delay_alu instid0(VALU_DEP_1) | instskip(NEXT) | instid1(VALU_DEP_1)
	v_and_b32_e32 v18, 15, v18
	v_add_nc_u16 v18, s31, v18
	s_delay_alu instid0(VALU_DEP_1) | instskip(NEXT) | instid1(VALU_DEP_1)
	v_bfe_i32 v18, v18, 0, 8
	v_ashrrev_i16 v18, 4, v18
	s_delay_alu instid0(VALU_DEP_1) | instskip(NEXT) | instid1(VALU_DEP_1)
	v_bfe_i32 v18, v18, 0, 16
	v_add_nc_u32_e32 v18, s24, v18
	s_ashr_i32 s24, s25, 5
	s_delay_alu instid0(SALU_CYCLE_1)
	s_mul_i32 s24, s33, s24
	s_delay_alu instid0(VALU_DEP_1) | instid1(SALU_CYCLE_1)
	v_add3_u32 v18, v18, s24, v7
	s_delay_alu instid0(VALU_DEP_1) | instskip(SKIP_1) | instid1(VALU_DEP_2)
	v_ashrrev_i32_e32 v19, 31, v18
	v_add_co_u32 v18, vcc_lo, s18, v18
	v_add_co_ci_u32_e32 v19, vcc_lo, s19, v19, vcc_lo
	global_store_b8 v[18:19], v17, off
.LBB228_39:                             ;   in Loop: Header=BB228_13 Depth=2
	s_or_b32 exec_lo, exec_lo, s2
	s_cmp_ge_i32 s29, s11
	s_cselect_b32 s2, -1, 0
	s_delay_alu instid0(SALU_CYCLE_1) | instskip(NEXT) | instid1(SALU_CYCLE_1)
	s_and_b32 s2, s38, s2
	s_and_b32 vcc_lo, exec_lo, s2
	s_cbranch_vccnz .LBB228_11
; %bb.40:                               ;   in Loop: Header=BB228_13 Depth=2
	s_and_saveexec_b32 s2, s1
	s_cbranch_execz .LBB228_10
; %bb.41:                               ;   in Loop: Header=BB228_13 Depth=2
	v_lshlrev_b32_e32 v17, 23, v17
	s_mul_i32 s24, s28, s6
	s_mul_hi_i32 s25, s28, s6
	s_add_u32 s28, s16, s24
	s_addc_u32 s24, s17, s25
	v_rcp_f32_e32 v17, v17
	s_mov_b32 s31, s27
	s_and_b32 s29, s24, 0xffff
	s_waitcnt_depctr 0xfff
	v_mul_f32_e32 v13, v17, v13
	v_mul_f32_e32 v15, v17, v15
	;; [unrolled: 1-line block ×4, first 2 shown]
	;;#ASMSTART
	v_med3_f32 v13, v13, v4, v5
v_med3_f32 v15, v15, v4, v5
v_cvt_pk_fp8_f32 v18, v13, v15
	;;#ASMEND
	;;#ASMSTART
	v_med3_f32 v14, v14, v4, v5
v_med3_f32 v16, v16, v4, v5
v_cvt_pk_fp8_f32 v13, v14, v16
	;;#ASMEND
	v_perm_b32 v14, v13, v18, 0x5040100
	v_and_b32_e32 v13, 0xffffff00, v13
	v_mul_f32_e32 v11, v17, v11
	v_mul_f32_e32 v9, v17, v9
	v_mul_f32_e32 v10, v17, v10
	v_lshrrev_b32_e32 v15, 16, v14
	s_delay_alu instid0(VALU_DEP_1) | instskip(NEXT) | instid1(VALU_DEP_1)
	v_and_b32_e32 v15, 0xff, v15
	v_or_b32_e32 v13, v15, v13
	v_mul_f32_e32 v12, v17, v12
	;;#ASMSTART
	v_med3_f32 v11, v11, v4, v5
v_med3_f32 v9, v9, v4, v5
v_cvt_pk_fp8_f32 v15, v11, v9
	;;#ASMEND
	s_delay_alu instid0(VALU_DEP_2) | instskip(SKIP_2) | instid1(VALU_DEP_1)
	v_lshlrev_b32_e32 v11, 16, v13
	;;#ASMSTART
	v_med3_f32 v10, v10, v4, v5
v_med3_f32 v12, v12, v4, v5
v_cvt_pk_fp8_f32 v9, v10, v12
	;;#ASMEND
	v_lshlrev_b32_e32 v9, 16, v9
	v_and_or_b32 v10, 0xffff, v15, v9
	s_delay_alu instid0(VALU_DEP_3)
	v_and_or_b32 v9, 0xffff, v14, v11
	buffer_store_b64 v[9:10], v2, s[28:31], 0 offen
	;;#ASMSTART
	s_nop 0
	;;#ASMEND
	s_branch .LBB228_10
.LBB228_42:
	s_nop 0
	s_sendmsg sendmsg(MSG_DEALLOC_VGPRS)
	s_endpgm
	.section	.rodata,"a",@progbits
	.p2align	6, 0x0
	.amdhsa_kernel _ZN5aiter30fused_mx_quant_moe_sort_kernelIDF16_DB8_Li128ELi8EEEvPT0_PhPKT_PKiS9_iiiiiiiii
		.amdhsa_group_segment_fixed_size 0
		.amdhsa_private_segment_fixed_size 0
		.amdhsa_kernarg_size 76
		.amdhsa_user_sgpr_count 15
		.amdhsa_user_sgpr_dispatch_ptr 0
		.amdhsa_user_sgpr_queue_ptr 0
		.amdhsa_user_sgpr_kernarg_segment_ptr 1
		.amdhsa_user_sgpr_dispatch_id 0
		.amdhsa_user_sgpr_private_segment_size 0
		.amdhsa_wavefront_size32 1
		.amdhsa_uses_dynamic_stack 0
		.amdhsa_enable_private_segment 0
		.amdhsa_system_sgpr_workgroup_id_x 1
		.amdhsa_system_sgpr_workgroup_id_y 0
		.amdhsa_system_sgpr_workgroup_id_z 0
		.amdhsa_system_sgpr_workgroup_info 0
		.amdhsa_system_vgpr_workitem_id 0
		.amdhsa_next_free_vgpr 20
		.amdhsa_next_free_sgpr 43
		.amdhsa_reserve_vcc 1
		.amdhsa_float_round_mode_32 0
		.amdhsa_float_round_mode_16_64 0
		.amdhsa_float_denorm_mode_32 3
		.amdhsa_float_denorm_mode_16_64 3
		.amdhsa_dx10_clamp 1
		.amdhsa_ieee_mode 1
		.amdhsa_fp16_overflow 0
		.amdhsa_workgroup_processor_mode 1
		.amdhsa_memory_ordered 1
		.amdhsa_forward_progress 0
		.amdhsa_shared_vgpr_count 0
		.amdhsa_exception_fp_ieee_invalid_op 0
		.amdhsa_exception_fp_denorm_src 0
		.amdhsa_exception_fp_ieee_div_zero 0
		.amdhsa_exception_fp_ieee_overflow 0
		.amdhsa_exception_fp_ieee_underflow 0
		.amdhsa_exception_fp_ieee_inexact 0
		.amdhsa_exception_int_div_zero 0
	.end_amdhsa_kernel
	.section	.text._ZN5aiter30fused_mx_quant_moe_sort_kernelIDF16_DB8_Li128ELi8EEEvPT0_PhPKT_PKiS9_iiiiiiiii,"axG",@progbits,_ZN5aiter30fused_mx_quant_moe_sort_kernelIDF16_DB8_Li128ELi8EEEvPT0_PhPKT_PKiS9_iiiiiiiii,comdat
.Lfunc_end228:
	.size	_ZN5aiter30fused_mx_quant_moe_sort_kernelIDF16_DB8_Li128ELi8EEEvPT0_PhPKT_PKiS9_iiiiiiiii, .Lfunc_end228-_ZN5aiter30fused_mx_quant_moe_sort_kernelIDF16_DB8_Li128ELi8EEEvPT0_PhPKT_PKiS9_iiiiiiiii
                                        ; -- End function
	.section	.AMDGPU.csdata,"",@progbits
; Kernel info:
; codeLenInByte = 2276
; NumSgprs: 45
; NumVgprs: 20
; ScratchSize: 0
; MemoryBound: 0
; FloatMode: 240
; IeeeMode: 1
; LDSByteSize: 0 bytes/workgroup (compile time only)
; SGPRBlocks: 5
; VGPRBlocks: 2
; NumSGPRsForWavesPerEU: 45
; NumVGPRsForWavesPerEU: 20
; Occupancy: 16
; WaveLimiterHint : 0
; COMPUTE_PGM_RSRC2:SCRATCH_EN: 0
; COMPUTE_PGM_RSRC2:USER_SGPR: 15
; COMPUTE_PGM_RSRC2:TRAP_HANDLER: 0
; COMPUTE_PGM_RSRC2:TGID_X_EN: 1
; COMPUTE_PGM_RSRC2:TGID_Y_EN: 0
; COMPUTE_PGM_RSRC2:TGID_Z_EN: 0
; COMPUTE_PGM_RSRC2:TIDIG_COMP_CNT: 0
	.section	.text._ZN5aiter30fused_mx_quant_moe_sort_kernelItDB8_Li128ELi8EEEvPT0_PhPKT_PKiS9_iiiiiiiii,"axG",@progbits,_ZN5aiter30fused_mx_quant_moe_sort_kernelItDB8_Li128ELi8EEEvPT0_PhPKT_PKiS9_iiiiiiiii,comdat
	.protected	_ZN5aiter30fused_mx_quant_moe_sort_kernelItDB8_Li128ELi8EEEvPT0_PhPKT_PKiS9_iiiiiiiii ; -- Begin function _ZN5aiter30fused_mx_quant_moe_sort_kernelItDB8_Li128ELi8EEEvPT0_PhPKT_PKiS9_iiiiiiiii
	.globl	_ZN5aiter30fused_mx_quant_moe_sort_kernelItDB8_Li128ELi8EEEvPT0_PhPKT_PKiS9_iiiiiiiii
	.p2align	8
	.type	_ZN5aiter30fused_mx_quant_moe_sort_kernelItDB8_Li128ELi8EEEvPT0_PhPKT_PKiS9_iiiiiiiii,@function
_ZN5aiter30fused_mx_quant_moe_sort_kernelItDB8_Li128ELi8EEEvPT0_PhPKT_PKiS9_iiiiiiiii: ; @_ZN5aiter30fused_mx_quant_moe_sort_kernelItDB8_Li128ELi8EEEvPT0_PhPKT_PKiS9_iiiiiiiii
; %bb.0:
	s_load_b256 s[4:11], s[0:1], 0x28
	s_waitcnt lgkmcnt(0)
	s_abs_i32 s14, s6
	s_cmp_ge_i32 s15, s9
	v_cvt_f32_u32_e32 v1, s14
	s_delay_alu instid0(VALU_DEP_1) | instskip(SKIP_2) | instid1(VALU_DEP_1)
	v_rcp_iflag_f32_e32 v1, v1
	s_waitcnt_depctr 0xfff
	v_mul_f32_e32 v1, 0x4f7ffffe, v1
	v_cvt_u32_f32_e32 v1, v1
	s_delay_alu instid0(VALU_DEP_1)
	v_readfirstlane_b32 s24, v1
	s_cbranch_scc1 .LBB229_42
; %bb.1:
	s_ashr_i32 s25, s6, 31
	s_load_b256 s[16:23], s[0:1], 0x0
	s_lshr_b32 s2, s25, 29
	v_lshlrev_b32_e32 v3, 4, v0
	s_add_i32 s2, s6, s2
	s_mov_b32 s27, -1
	s_ashr_i32 s12, s2, 3
	s_clause 0x1
	s_load_b64 s[2:3], s[0:1], 0x20
	s_load_b32 s13, s[0:1], 0x48
	v_cvt_f32_u32_e32 v1, s12
	s_sub_i32 s1, 0, s14
	s_add_i32 s0, s5, s6
	s_mul_i32 s1, s1, s24
	s_add_i32 s0, s0, -1
	v_rcp_iflag_f32_e32 v1, v1
	s_mul_hi_u32 s1, s24, s1
	s_ashr_i32 s6, s0, 31
	s_abs_i32 s0, s0
	s_add_i32 s24, s24, s1
	s_xor_b32 s1, s6, s25
	s_mul_hi_u32 s6, s0, s24
	s_sub_i32 s24, 0, s12
	s_mul_i32 s25, s6, s14
	s_add_i32 s26, s6, 1
	s_waitcnt_depctr 0xfff
	v_dual_mul_f32 v1, 0x4f7ffffe, v1 :: v_dual_and_b32 v6, 31, v0
	s_sub_i32 s0, s0, s25
	s_waitcnt lgkmcnt(0)
	s_load_b32 s3, s[2:3], 0x0
	v_mov_b32_e32 v5, 0x43e00000
	v_cvt_u32_f32_e32 v1, v1
	s_delay_alu instid0(VALU_DEP_1)
	v_mul_lo_u32 v2, s24, v1
	s_sub_i32 s24, s0, s14
	s_cmp_ge_u32 s0, s14
	s_cselect_b32 s6, s26, s6
	s_cselect_b32 s0, s24, s0
	s_add_i32 s24, s6, 1
	s_cmp_ge_u32 s0, s14
	s_delay_alu instid0(VALU_DEP_1)
	v_mul_hi_u32 v4, v1, v2
	s_cselect_b32 s0, s24, s6
	s_mov_b32 s6, s5
	s_xor_b32 s0, s0, s1
	v_lshlrev_b32_e32 v2, 3, v0
	s_sub_i32 s1, s0, s1
	s_mov_b32 s14, 0x76543210
	s_add_i32 s0, s1, 7
	v_add_nc_u32_e32 v1, v1, v4
	s_ashr_i32 s24, s0, 31
	v_mov_b32_e32 v4, 0xc3e00000
	s_lshr_b32 s24, s24, 29
	s_delay_alu instid0(SALU_CYCLE_1)
	s_add_i32 s24, s0, s24
	v_mul_hi_u32 v1, v0, v1
	s_lshl_b32 s24, s24, 5
	v_cmp_gt_i32_e64 s0, s8, v6
	s_and_b32 s33, s24, 0xffffff00
	s_cmp_gt_i32 s8, 0
	v_mul_lo_u32 v6, v6, s7
	s_cselect_b32 s34, -1, 0
	s_cmp_eq_u32 s11, 1
	v_mul_lo_u32 v7, v1, s12
	s_cselect_b32 s35, -1, 0
	s_abs_i32 s36, s7
	s_lshl_b32 s26, s5, 1
	v_cvt_f32_u32_e32 v8, s36
	s_add_i32 s2, s5, 7
	s_add_i32 s5, s5, 3
	s_ashr_i32 s24, s2, 31
	v_sub_nc_u32_e32 v7, v0, v7
	v_rcp_iflag_f32_e32 v8, v8
	v_add_nc_u32_e32 v9, 1, v1
	s_ashr_i32 s25, s5, 31
	s_lshr_b32 s24, s24, 29
	v_subrev_nc_u32_e32 v10, s12, v7
	v_cmp_le_u32_e32 vcc_lo, s12, v7
	s_lshr_b32 s25, s25, 30
	s_add_i32 s2, s2, s24
	s_add_i32 s5, s5, s25
	s_sub_i32 s28, 0, s36
	s_waitcnt_depctr 0xfff
	v_dual_mul_f32 v8, 0x4f7ffffe, v8 :: v_dual_cndmask_b32 v1, v1, v9
	v_cndmask_b32_e32 v7, v7, v10, vcc_lo
	s_ashr_i32 s24, s2, 3
	s_and_b32 s30, s5, -4
	s_xor_b32 s38, s35, -1
	v_add_nc_u32_e32 v9, 1, v1
	v_cmp_le_u32_e32 vcc_lo, s12, v7
	v_cvt_u32_f32_e32 v7, v8
	s_delay_alu instid0(VALU_DEP_3) | instskip(NEXT) | instid1(VALU_DEP_2)
	v_cndmask_b32_e32 v1, v1, v9, vcc_lo
	v_readfirstlane_b32 s25, v7
	s_delay_alu instid0(VALU_DEP_2)
	v_mul_lo_u32 v8, v1, s12
	v_lshlrev_b32_e32 v7, 5, v1
	v_lshlrev_b32_e32 v9, 6, v1
	v_lshrrev_b32_e32 v10, 1, v1
	v_cmp_gt_i32_e32 vcc_lo, s1, v1
	s_mul_i32 s28, s28, s25
	v_and_b32_e32 v7, 0x7f00, v7
	v_and_b32_e32 v9, 0xc0, v9
	;; [unrolled: 1-line block ×3, first 2 shown]
	v_sub_nc_u32_e32 v8, v0, v8
	v_cmp_gt_u32_e64 s1, s24, v0
	s_mul_hi_u32 s5, s25, s28
                                        ; implicit-def: $vgpr1
	s_delay_alu instid0(VALU_DEP_3) | instskip(NEXT) | instid1(VALU_DEP_3)
	v_or3_b32 v7, v9, v7, v10
	v_cmp_eq_u32_e64 s2, 0, v8
	s_add_i32 s5, s25, s5
	s_delay_alu instid0(VALU_DEP_1)
	s_and_b32 s37, s2, vcc_lo
	s_branch .LBB229_3
.LBB229_2:                              ;   in Loop: Header=BB229_3 Depth=1
	s_add_i32 s15, s15, s10
	s_delay_alu instid0(SALU_CYCLE_1) | instskip(SKIP_1) | instid1(SALU_CYCLE_1)
	s_cmp_lt_i32 s15, s9
	s_cselect_b32 s2, -1, 0
	s_and_b32 s2, s39, s2
	s_delay_alu instid0(SALU_CYCLE_1)
	s_and_b32 vcc_lo, exec_lo, s2
	s_cbranch_vccz .LBB229_42
.LBB229_3:                              ; =>This Loop Header: Depth=1
                                        ;     Child Loop BB229_13 Depth 2
	s_abs_i32 s2, s15
	s_delay_alu instid0(SALU_CYCLE_1) | instskip(NEXT) | instid1(SALU_CYCLE_1)
	s_mul_hi_u32 s24, s2, s5
	s_mul_i32 s24, s24, s36
	s_delay_alu instid0(SALU_CYCLE_1) | instskip(SKIP_4) | instid1(SALU_CYCLE_1)
	s_sub_i32 s24, s2, s24
	s_ashr_i32 s2, s15, 31
	s_sub_i32 s25, s24, s36
	s_cmp_ge_u32 s24, s36
	s_cselect_b32 s24, s25, s24
	s_sub_i32 s25, s24, s36
	s_cmp_ge_u32 s24, s36
	s_cselect_b32 s24, s25, s24
	s_delay_alu instid0(SALU_CYCLE_1) | instskip(NEXT) | instid1(SALU_CYCLE_1)
	s_xor_b32 s24, s24, s2
	s_sub_i32 s25, s24, s2
	s_delay_alu instid0(SALU_CYCLE_1) | instskip(NEXT) | instid1(SALU_CYCLE_1)
	s_sub_i32 s28, s15, s25
	s_mul_i32 s28, s28, s8
	s_delay_alu instid0(SALU_CYCLE_1)
	s_add_i32 s28, s28, s25
	s_waitcnt lgkmcnt(0)
	s_cmp_lt_i32 s28, s3
	s_cselect_b32 s39, -1, 0
	s_cmp_ge_i32 s28, s3
	s_cbranch_scc1 .LBB229_2
; %bb.4:                                ;   in Loop: Header=BB229_3 Depth=1
	s_and_saveexec_b32 s25, s0
	s_cbranch_execz .LBB229_8
; %bb.5:                                ;   in Loop: Header=BB229_3 Depth=1
	s_waitcnt vmcnt(0)
	v_dual_mov_b32 v1, s4 :: v_dual_add_nc_u32 v0, s28, v6
	s_mov_b32 s28, exec_lo
	s_delay_alu instid0(VALU_DEP_1)
	v_cmpx_gt_i32_e64 s3, v0
	s_cbranch_execz .LBB229_7
; %bb.6:                                ;   in Loop: Header=BB229_3 Depth=1
	v_ashrrev_i32_e32 v1, 31, v0
	s_delay_alu instid0(VALU_DEP_1) | instskip(NEXT) | instid1(VALU_DEP_1)
	v_lshlrev_b64 v[0:1], 2, v[0:1]
	v_add_co_u32 v0, vcc_lo, s22, v0
	s_delay_alu instid0(VALU_DEP_2)
	v_add_co_ci_u32_e32 v1, vcc_lo, s23, v1, vcc_lo
	global_load_b32 v1, v[0:1], off
.LBB229_7:                              ;   in Loop: Header=BB229_3 Depth=1
	s_or_b32 exec_lo, exec_lo, s28
.LBB229_8:                              ;   in Loop: Header=BB229_3 Depth=1
	s_delay_alu instid0(SALU_CYCLE_1) | instskip(NEXT) | instid1(SALU_CYCLE_1)
	s_or_b32 exec_lo, exec_lo, s25
	s_and_not1_b32 vcc_lo, exec_lo, s34
	s_cbranch_vccnz .LBB229_2
; %bb.9:                                ;   in Loop: Header=BB229_3 Depth=1
	s_add_i32 s25, s15, s2
	s_waitcnt vmcnt(0)
	v_and_b32_e32 v0, 0xffffff, v1
	s_sub_i32 s25, s25, s24
	v_ashrrev_i32_e32 v8, 24, v1
	s_mul_i32 s25, s8, s25
	s_mov_b32 s41, 0
	s_add_i32 s24, s24, s25
	s_delay_alu instid0(SALU_CYCLE_1)
	s_sub_i32 s40, s24, s2
	s_branch .LBB229_13
.LBB229_10:                             ;   in Loop: Header=BB229_13 Depth=2
	s_or_b32 exec_lo, exec_lo, s2
.LBB229_11:                             ;   in Loop: Header=BB229_13 Depth=2
	s_add_i32 s41, s41, 1
	s_add_i32 s40, s40, s7
	s_cmp_eq_u32 s8, s41
	s_cselect_b32 s2, -1, 0
.LBB229_12:                             ;   in Loop: Header=BB229_13 Depth=2
	s_delay_alu instid0(SALU_CYCLE_1)
	s_and_b32 vcc_lo, exec_lo, s2
	s_cbranch_vccnz .LBB229_2
.LBB229_13:                             ;   Parent Loop BB229_3 Depth=1
                                        ; =>  This Inner Loop Header: Depth=2
	v_readlane_b32 s24, v0, s41
	v_readlane_b32 s29, v8, s41
	s_mov_b32 s2, -1
	s_delay_alu instid0(VALU_DEP_2)
	s_cmp_ge_i32 s24, s4
	s_cbranch_scc1 .LBB229_12
; %bb.14:                               ;   in Loop: Header=BB229_13 Depth=2
	s_mul_i32 s2, s24, s11
	s_delay_alu instid0(SALU_CYCLE_1) | instskip(SKIP_2) | instid1(SALU_CYCLE_1)
	s_add_i32 s2, s2, s29
	s_and_b32 s25, s35, exec_lo
	s_cselect_b32 s28, s24, s2
	s_mul_hi_i32 s25, s28, s13
	s_mul_i32 s24, s28, s13
	s_delay_alu instid0(SALU_CYCLE_1) | instskip(NEXT) | instid1(SALU_CYCLE_1)
	s_lshl_b64 s[24:25], s[24:25], 1
	s_add_u32 s24, s20, s24
	s_addc_u32 s2, s21, s25
	s_delay_alu instid0(SALU_CYCLE_1)
	s_and_b32 s25, s2, 0xffff
	s_cmp_lt_i32 s12, 8
	buffer_load_b128 v[14:17], v3, s[24:27], 0 offen
	s_waitcnt vmcnt(0)
	v_and_b32_e32 v9, 0xffff, v14
	v_lshrrev_b32_e32 v10, 16, v14
	v_and_b32_e32 v11, 0xffff, v15
	v_lshrrev_b32_e32 v12, 16, v15
	v_and_b32_e32 v18, 0xffff, v17
	v_cvt_f32_u32_e32 v13, v9
	v_cvt_f32_u32_e32 v14, v10
	v_and_b32_e32 v9, 0xffff, v16
	v_lshrrev_b32_e32 v10, 16, v16
	v_cvt_f32_u32_e32 v15, v11
	v_cvt_f32_u32_e32 v16, v12
	v_max3_f32 v11, v13, 0x2edbe6ff, v14
	v_cvt_f32_u32_e32 v12, v9
	v_cvt_f32_u32_e32 v9, v10
	v_lshrrev_b32_e32 v17, 16, v17
	v_cvt_f32_u32_e32 v10, v18
	v_max3_f32 v11, v11, v15, v16
	s_delay_alu instid0(VALU_DEP_1) | instskip(NEXT) | instid1(VALU_DEP_4)
	v_max3_f32 v18, v11, v12, v9
	v_cvt_f32_u32_e32 v11, v17
	s_delay_alu instid0(VALU_DEP_1)
	v_max3_f32 v17, v18, v10, v11
	s_cbranch_scc1 .LBB229_20
; %bb.15:                               ;   in Loop: Header=BB229_13 Depth=2
	s_cmp_lt_i32 s12, 16
	s_cbranch_scc1 .LBB229_21
; %bb.16:                               ;   in Loop: Header=BB229_13 Depth=2
	s_cmp_lt_i32 s12, 32
	s_cbranch_scc1 .LBB229_22
; %bb.17:                               ;   in Loop: Header=BB229_13 Depth=2
	v_mov_b32_e32 v18, v17
	s_cmp_eq_u32 s12, 32
	s_cbranch_scc0 .LBB229_19
; %bb.18:                               ;   in Loop: Header=BB229_13 Depth=2
	s_delay_alu instid0(VALU_DEP_1) | instskip(NEXT) | instid1(VALU_DEP_1)
	v_mov_b32_dpp v18, v17 quad_perm:[1,0,3,2] row_mask:0xf bank_mask:0xf
	v_cmp_gt_f32_e32 vcc_lo, v17, v18
	v_cndmask_b32_e32 v18, v18, v17, vcc_lo
	s_delay_alu instid0(VALU_DEP_1) | instskip(NEXT) | instid1(VALU_DEP_1)
	v_mov_b32_dpp v19, v18 quad_perm:[2,3,0,1] row_mask:0xf bank_mask:0xf
	v_cmp_gt_f32_e32 vcc_lo, v18, v19
	v_cndmask_b32_e32 v18, v19, v18, vcc_lo
	s_delay_alu instid0(VALU_DEP_1) | instskip(NEXT) | instid1(VALU_DEP_1)
	v_mov_b32_dpp v19, v18 row_xmask:7 row_mask:0xf bank_mask:0xf
	v_cmp_gt_f32_e32 vcc_lo, v18, v19
	v_cndmask_b32_e32 v18, v19, v18, vcc_lo
	s_delay_alu instid0(VALU_DEP_1) | instskip(NEXT) | instid1(VALU_DEP_1)
	v_mov_b32_dpp v19, v18 row_xmask:15 row_mask:0xf bank_mask:0xf
	v_cmp_gt_f32_e32 vcc_lo, v18, v19
	v_cndmask_b32_e32 v18, v19, v18, vcc_lo
	s_delay_alu instid0(VALU_DEP_1) | instskip(NEXT) | instid1(VALU_DEP_1)
	v_permlanex16_b32 v19, v18, s14, 0xfedcba98 op_sel:[1,1]
	v_cmp_gt_f32_e32 vcc_lo, v18, v19
	v_cndmask_b32_e32 v18, v19, v18, vcc_lo
.LBB229_19:                             ;   in Loop: Header=BB229_13 Depth=2
	s_cbranch_execz .LBB229_23
	s_branch .LBB229_25
.LBB229_20:                             ;   in Loop: Header=BB229_13 Depth=2
                                        ; implicit-def: $vgpr18
	s_branch .LBB229_29
.LBB229_21:                             ;   in Loop: Header=BB229_13 Depth=2
                                        ; implicit-def: $vgpr18
	s_branch .LBB229_26
.LBB229_22:                             ;   in Loop: Header=BB229_13 Depth=2
                                        ; implicit-def: $vgpr18
.LBB229_23:                             ;   in Loop: Header=BB229_13 Depth=2
	v_mov_b32_e32 v18, v17
	s_cmp_eq_u32 s12, 16
	s_cbranch_scc0 .LBB229_25
; %bb.24:                               ;   in Loop: Header=BB229_13 Depth=2
	s_delay_alu instid0(VALU_DEP_1) | instskip(NEXT) | instid1(VALU_DEP_1)
	v_mov_b32_dpp v18, v17 quad_perm:[1,0,3,2] row_mask:0xf bank_mask:0xf
	v_cmp_gt_f32_e32 vcc_lo, v17, v18
	v_cndmask_b32_e32 v18, v18, v17, vcc_lo
	s_delay_alu instid0(VALU_DEP_1) | instskip(NEXT) | instid1(VALU_DEP_1)
	v_mov_b32_dpp v19, v18 quad_perm:[2,3,0,1] row_mask:0xf bank_mask:0xf
	v_cmp_gt_f32_e32 vcc_lo, v18, v19
	v_cndmask_b32_e32 v18, v19, v18, vcc_lo
	s_delay_alu instid0(VALU_DEP_1) | instskip(NEXT) | instid1(VALU_DEP_1)
	v_mov_b32_dpp v19, v18 row_half_mirror row_mask:0xf bank_mask:0xf
	v_cmp_gt_f32_e32 vcc_lo, v18, v19
	v_cndmask_b32_e32 v18, v19, v18, vcc_lo
	s_delay_alu instid0(VALU_DEP_1) | instskip(NEXT) | instid1(VALU_DEP_1)
	v_mov_b32_dpp v19, v18 row_mirror row_mask:0xf bank_mask:0xf
	v_cmp_gt_f32_e32 vcc_lo, v18, v19
	v_cndmask_b32_e32 v18, v19, v18, vcc_lo
.LBB229_25:                             ;   in Loop: Header=BB229_13 Depth=2
	s_cbranch_execnz .LBB229_28
.LBB229_26:                             ;   in Loop: Header=BB229_13 Depth=2
	v_mov_b32_e32 v18, v17
	s_cmp_eq_u32 s12, 8
	s_cbranch_scc0 .LBB229_28
; %bb.27:                               ;   in Loop: Header=BB229_13 Depth=2
	s_delay_alu instid0(VALU_DEP_1) | instskip(NEXT) | instid1(VALU_DEP_1)
	v_mov_b32_dpp v18, v17 quad_perm:[1,0,3,2] row_mask:0xf bank_mask:0xf
	v_cmp_gt_f32_e32 vcc_lo, v17, v18
	v_cndmask_b32_e32 v18, v18, v17, vcc_lo
	s_delay_alu instid0(VALU_DEP_1) | instskip(NEXT) | instid1(VALU_DEP_1)
	v_mov_b32_dpp v19, v18 quad_perm:[2,3,0,1] row_mask:0xf bank_mask:0xf
	v_cmp_gt_f32_e32 vcc_lo, v18, v19
	v_cndmask_b32_e32 v18, v19, v18, vcc_lo
	s_delay_alu instid0(VALU_DEP_1) | instskip(NEXT) | instid1(VALU_DEP_1)
	v_mov_b32_dpp v19, v18 row_half_mirror row_mask:0xf bank_mask:0xf
	v_cmp_gt_f32_e32 vcc_lo, v18, v19
	v_cndmask_b32_e32 v18, v19, v18, vcc_lo
.LBB229_28:                             ;   in Loop: Header=BB229_13 Depth=2
	s_cbranch_execnz .LBB229_37
.LBB229_29:                             ;   in Loop: Header=BB229_13 Depth=2
	s_cmp_lt_i32 s12, 4
	s_cbranch_scc1 .LBB229_32
; %bb.30:                               ;   in Loop: Header=BB229_13 Depth=2
	v_mov_b32_e32 v18, v17
	s_cmp_eq_u32 s12, 4
	s_cbranch_scc0 .LBB229_33
; %bb.31:                               ;   in Loop: Header=BB229_13 Depth=2
	s_delay_alu instid0(VALU_DEP_1) | instskip(NEXT) | instid1(VALU_DEP_1)
	v_mov_b32_dpp v18, v17 quad_perm:[1,0,3,2] row_mask:0xf bank_mask:0xf
	v_cmp_gt_f32_e32 vcc_lo, v17, v18
	v_cndmask_b32_e32 v18, v18, v17, vcc_lo
	s_delay_alu instid0(VALU_DEP_1) | instskip(NEXT) | instid1(VALU_DEP_1)
	v_mov_b32_dpp v19, v18 quad_perm:[2,3,0,1] row_mask:0xf bank_mask:0xf
	v_cmp_gt_f32_e32 vcc_lo, v18, v19
	v_cndmask_b32_e32 v18, v19, v18, vcc_lo
	s_cbranch_execz .LBB229_34
	s_branch .LBB229_37
.LBB229_32:                             ;   in Loop: Header=BB229_13 Depth=2
                                        ; implicit-def: $vgpr18
	s_branch .LBB229_34
.LBB229_33:                             ;   in Loop: Header=BB229_13 Depth=2
	s_cbranch_execnz .LBB229_37
.LBB229_34:                             ;   in Loop: Header=BB229_13 Depth=2
	s_cmp_lg_u32 s12, 2
	s_cbranch_scc1 .LBB229_36
; %bb.35:                               ;   in Loop: Header=BB229_13 Depth=2
	v_mov_b32_dpp v18, v17 quad_perm:[1,0,3,2] row_mask:0xf bank_mask:0xf
	s_delay_alu instid0(VALU_DEP_1)
	v_cmp_gt_f32_e32 vcc_lo, v17, v18
	v_cndmask_b32_e32 v17, v18, v17, vcc_lo
.LBB229_36:                             ;   in Loop: Header=BB229_13 Depth=2
	s_delay_alu instid0(VALU_DEP_1)
	v_mov_b32_e32 v18, v17
.LBB229_37:                             ;   in Loop: Header=BB229_13 Depth=2
	s_delay_alu instid0(VALU_DEP_1) | instskip(NEXT) | instid1(VALU_DEP_1)
	v_mul_f32_e32 v17, 0x3b124925, v18
	v_bfe_u32 v18, v17, 23, 8
	v_and_b32_e32 v17, 0x7fffff, v17
	s_delay_alu instid0(VALU_DEP_2) | instskip(NEXT) | instid1(VALU_DEP_2)
	v_cmp_ne_u32_e32 vcc_lo, 0xff, v18
	v_cmp_ne_u32_e64 s2, 0, v17
	s_delay_alu instid0(VALU_DEP_1)
	s_and_b32 vcc_lo, s2, vcc_lo
	v_add_co_ci_u32_e32 v17, vcc_lo, 0, v18, vcc_lo
	s_and_saveexec_b32 s2, s37
	s_cbranch_execz .LBB229_39
; %bb.38:                               ;   in Loop: Header=BB229_13 Depth=2
	s_ashr_i32 s24, s40, 31
	s_delay_alu instid0(SALU_CYCLE_1)
	s_lshr_b32 s25, s24, 27
	s_lshr_b32 s24, s24, 28
	s_add_i32 s25, s40, s25
	s_add_i32 s24, s40, s24
	s_and_b32 s31, s25, 0xffe0
	s_and_b32 s24, s24, 0x3ffffff0
	s_sub_i32 s31, s40, s31
	s_sub_i32 s24, s40, s24
	s_bfe_i32 s42, s31, 0x80000
	s_lshl_b32 s24, s24, 2
	v_lshrrev_b16 v18, 11, s42
	s_delay_alu instid0(VALU_DEP_1) | instskip(NEXT) | instid1(VALU_DEP_1)
	v_and_b32_e32 v18, 15, v18
	v_add_nc_u16 v18, s31, v18
	s_delay_alu instid0(VALU_DEP_1) | instskip(NEXT) | instid1(VALU_DEP_1)
	v_bfe_i32 v18, v18, 0, 8
	v_ashrrev_i16 v18, 4, v18
	s_delay_alu instid0(VALU_DEP_1) | instskip(NEXT) | instid1(VALU_DEP_1)
	v_bfe_i32 v18, v18, 0, 16
	v_add_nc_u32_e32 v18, s24, v18
	s_ashr_i32 s24, s25, 5
	s_delay_alu instid0(SALU_CYCLE_1)
	s_mul_i32 s24, s33, s24
	s_delay_alu instid0(VALU_DEP_1) | instid1(SALU_CYCLE_1)
	v_add3_u32 v18, v18, s24, v7
	s_delay_alu instid0(VALU_DEP_1) | instskip(SKIP_1) | instid1(VALU_DEP_2)
	v_ashrrev_i32_e32 v19, 31, v18
	v_add_co_u32 v18, vcc_lo, s18, v18
	v_add_co_ci_u32_e32 v19, vcc_lo, s19, v19, vcc_lo
	global_store_b8 v[18:19], v17, off
.LBB229_39:                             ;   in Loop: Header=BB229_13 Depth=2
	s_or_b32 exec_lo, exec_lo, s2
	s_cmp_ge_i32 s29, s11
	s_cselect_b32 s2, -1, 0
	s_delay_alu instid0(SALU_CYCLE_1) | instskip(NEXT) | instid1(SALU_CYCLE_1)
	s_and_b32 s2, s38, s2
	s_and_b32 vcc_lo, exec_lo, s2
	s_cbranch_vccnz .LBB229_11
; %bb.40:                               ;   in Loop: Header=BB229_13 Depth=2
	s_and_saveexec_b32 s2, s1
	s_cbranch_execz .LBB229_10
; %bb.41:                               ;   in Loop: Header=BB229_13 Depth=2
	v_lshlrev_b32_e32 v17, 23, v17
	s_mul_i32 s24, s28, s6
	s_mul_hi_i32 s25, s28, s6
	s_add_u32 s28, s16, s24
	s_addc_u32 s24, s17, s25
	v_rcp_f32_e32 v17, v17
	s_mov_b32 s31, s27
	s_and_b32 s29, s24, 0xffff
	s_waitcnt_depctr 0xfff
	v_mul_f32_e32 v13, v17, v13
	v_mul_f32_e32 v14, v17, v14
	;; [unrolled: 1-line block ×4, first 2 shown]
	;;#ASMSTART
	v_med3_f32 v13, v13, v4, v5
v_med3_f32 v14, v14, v4, v5
v_cvt_pk_fp8_f32 v18, v13, v14
	;;#ASMEND
	;;#ASMSTART
	v_med3_f32 v15, v15, v4, v5
v_med3_f32 v16, v16, v4, v5
v_cvt_pk_fp8_f32 v13, v15, v16
	;;#ASMEND
	v_perm_b32 v14, v13, v18, 0x5040100
	v_dual_mul_f32 v12, v17, v12 :: v_dual_and_b32 v13, 0xffffff00, v13
	v_mul_f32_e32 v9, v17, v9
	v_mul_f32_e32 v11, v17, v11
	s_delay_alu instid0(VALU_DEP_4) | instskip(NEXT) | instid1(VALU_DEP_1)
	v_lshrrev_b32_e32 v15, 16, v14
	v_and_b32_e32 v15, 0xff, v15
	s_delay_alu instid0(VALU_DEP_1)
	v_or_b32_e32 v13, v15, v13
	v_mul_f32_e32 v10, v17, v10
	;;#ASMSTART
	v_med3_f32 v12, v12, v4, v5
v_med3_f32 v9, v9, v4, v5
v_cvt_pk_fp8_f32 v15, v12, v9
	;;#ASMEND
	;;#ASMSTART
	v_med3_f32 v10, v10, v4, v5
v_med3_f32 v11, v11, v4, v5
v_cvt_pk_fp8_f32 v9, v10, v11
	;;#ASMEND
	v_lshlrev_b32_e32 v9, 16, v9
	v_lshlrev_b32_e32 v11, 16, v13
	s_delay_alu instid0(VALU_DEP_2) | instskip(NEXT) | instid1(VALU_DEP_2)
	v_and_or_b32 v10, 0xffff, v15, v9
	v_and_or_b32 v9, 0xffff, v14, v11
	buffer_store_b64 v[9:10], v2, s[28:31], 0 offen
	;;#ASMSTART
	s_nop 0
	;;#ASMEND
	s_branch .LBB229_10
.LBB229_42:
	s_nop 0
	s_sendmsg sendmsg(MSG_DEALLOC_VGPRS)
	s_endpgm
	.section	.rodata,"a",@progbits
	.p2align	6, 0x0
	.amdhsa_kernel _ZN5aiter30fused_mx_quant_moe_sort_kernelItDB8_Li128ELi8EEEvPT0_PhPKT_PKiS9_iiiiiiiii
		.amdhsa_group_segment_fixed_size 0
		.amdhsa_private_segment_fixed_size 0
		.amdhsa_kernarg_size 76
		.amdhsa_user_sgpr_count 15
		.amdhsa_user_sgpr_dispatch_ptr 0
		.amdhsa_user_sgpr_queue_ptr 0
		.amdhsa_user_sgpr_kernarg_segment_ptr 1
		.amdhsa_user_sgpr_dispatch_id 0
		.amdhsa_user_sgpr_private_segment_size 0
		.amdhsa_wavefront_size32 1
		.amdhsa_uses_dynamic_stack 0
		.amdhsa_enable_private_segment 0
		.amdhsa_system_sgpr_workgroup_id_x 1
		.amdhsa_system_sgpr_workgroup_id_y 0
		.amdhsa_system_sgpr_workgroup_id_z 0
		.amdhsa_system_sgpr_workgroup_info 0
		.amdhsa_system_vgpr_workitem_id 0
		.amdhsa_next_free_vgpr 20
		.amdhsa_next_free_sgpr 43
		.amdhsa_reserve_vcc 1
		.amdhsa_float_round_mode_32 0
		.amdhsa_float_round_mode_16_64 0
		.amdhsa_float_denorm_mode_32 3
		.amdhsa_float_denorm_mode_16_64 3
		.amdhsa_dx10_clamp 1
		.amdhsa_ieee_mode 1
		.amdhsa_fp16_overflow 0
		.amdhsa_workgroup_processor_mode 1
		.amdhsa_memory_ordered 1
		.amdhsa_forward_progress 0
		.amdhsa_shared_vgpr_count 0
		.amdhsa_exception_fp_ieee_invalid_op 0
		.amdhsa_exception_fp_denorm_src 0
		.amdhsa_exception_fp_ieee_div_zero 0
		.amdhsa_exception_fp_ieee_overflow 0
		.amdhsa_exception_fp_ieee_underflow 0
		.amdhsa_exception_fp_ieee_inexact 0
		.amdhsa_exception_int_div_zero 0
	.end_amdhsa_kernel
	.section	.text._ZN5aiter30fused_mx_quant_moe_sort_kernelItDB8_Li128ELi8EEEvPT0_PhPKT_PKiS9_iiiiiiiii,"axG",@progbits,_ZN5aiter30fused_mx_quant_moe_sort_kernelItDB8_Li128ELi8EEEvPT0_PhPKT_PKiS9_iiiiiiiii,comdat
.Lfunc_end229:
	.size	_ZN5aiter30fused_mx_quant_moe_sort_kernelItDB8_Li128ELi8EEEvPT0_PhPKT_PKiS9_iiiiiiiii, .Lfunc_end229-_ZN5aiter30fused_mx_quant_moe_sort_kernelItDB8_Li128ELi8EEEvPT0_PhPKT_PKiS9_iiiiiiiii
                                        ; -- End function
	.section	.AMDGPU.csdata,"",@progbits
; Kernel info:
; codeLenInByte = 2304
; NumSgprs: 45
; NumVgprs: 20
; ScratchSize: 0
; MemoryBound: 0
; FloatMode: 240
; IeeeMode: 1
; LDSByteSize: 0 bytes/workgroup (compile time only)
; SGPRBlocks: 5
; VGPRBlocks: 2
; NumSGPRsForWavesPerEU: 45
; NumVGPRsForWavesPerEU: 20
; Occupancy: 16
; WaveLimiterHint : 0
; COMPUTE_PGM_RSRC2:SCRATCH_EN: 0
; COMPUTE_PGM_RSRC2:USER_SGPR: 15
; COMPUTE_PGM_RSRC2:TRAP_HANDLER: 0
; COMPUTE_PGM_RSRC2:TGID_X_EN: 1
; COMPUTE_PGM_RSRC2:TGID_Y_EN: 0
; COMPUTE_PGM_RSRC2:TGID_Z_EN: 0
; COMPUTE_PGM_RSRC2:TIDIG_COMP_CNT: 0
	.section	.text._ZN5aiter30fused_mx_quant_moe_sort_kernelIDF16_DB8_Li256ELi8EEEvPT0_PhPKT_PKiS9_iiiiiiiii,"axG",@progbits,_ZN5aiter30fused_mx_quant_moe_sort_kernelIDF16_DB8_Li256ELi8EEEvPT0_PhPKT_PKiS9_iiiiiiiii,comdat
	.protected	_ZN5aiter30fused_mx_quant_moe_sort_kernelIDF16_DB8_Li256ELi8EEEvPT0_PhPKT_PKiS9_iiiiiiiii ; -- Begin function _ZN5aiter30fused_mx_quant_moe_sort_kernelIDF16_DB8_Li256ELi8EEEvPT0_PhPKT_PKiS9_iiiiiiiii
	.globl	_ZN5aiter30fused_mx_quant_moe_sort_kernelIDF16_DB8_Li256ELi8EEEvPT0_PhPKT_PKiS9_iiiiiiiii
	.p2align	8
	.type	_ZN5aiter30fused_mx_quant_moe_sort_kernelIDF16_DB8_Li256ELi8EEEvPT0_PhPKT_PKiS9_iiiiiiiii,@function
_ZN5aiter30fused_mx_quant_moe_sort_kernelIDF16_DB8_Li256ELi8EEEvPT0_PhPKT_PKiS9_iiiiiiiii: ; @_ZN5aiter30fused_mx_quant_moe_sort_kernelIDF16_DB8_Li256ELi8EEEvPT0_PhPKT_PKiS9_iiiiiiiii
; %bb.0:
	s_load_b256 s[4:11], s[0:1], 0x28
	s_waitcnt lgkmcnt(0)
	s_abs_i32 s14, s6
	s_cmp_ge_i32 s15, s9
	v_cvt_f32_u32_e32 v1, s14
	s_delay_alu instid0(VALU_DEP_1) | instskip(SKIP_2) | instid1(VALU_DEP_1)
	v_rcp_iflag_f32_e32 v1, v1
	s_waitcnt_depctr 0xfff
	v_mul_f32_e32 v1, 0x4f7ffffe, v1
	v_cvt_u32_f32_e32 v1, v1
	s_delay_alu instid0(VALU_DEP_1)
	v_readfirstlane_b32 s24, v1
	s_cbranch_scc1 .LBB230_42
; %bb.1:
	s_ashr_i32 s25, s6, 31
	s_load_b256 s[16:23], s[0:1], 0x0
	s_lshr_b32 s2, s25, 29
	v_lshlrev_b32_e32 v3, 4, v0
	s_add_i32 s2, s6, s2
	s_mov_b32 s27, -1
	s_ashr_i32 s12, s2, 3
	s_clause 0x1
	s_load_b64 s[2:3], s[0:1], 0x20
	s_load_b32 s13, s[0:1], 0x48
	v_cvt_f32_u32_e32 v1, s12
	s_sub_i32 s1, 0, s14
	s_add_i32 s0, s5, s6
	s_mul_i32 s1, s1, s24
	s_add_i32 s0, s0, -1
	v_rcp_iflag_f32_e32 v1, v1
	s_mul_hi_u32 s1, s24, s1
	s_ashr_i32 s6, s0, 31
	s_abs_i32 s0, s0
	s_add_i32 s24, s24, s1
	s_xor_b32 s1, s6, s25
	s_mul_hi_u32 s6, s0, s24
	s_sub_i32 s24, 0, s12
	s_mul_i32 s25, s6, s14
	s_add_i32 s26, s6, 1
	s_waitcnt_depctr 0xfff
	v_dual_mul_f32 v1, 0x4f7ffffe, v1 :: v_dual_and_b32 v6, 31, v0
	s_sub_i32 s0, s0, s25
	s_waitcnt lgkmcnt(0)
	s_load_b32 s3, s[2:3], 0x0
	v_mov_b32_e32 v5, 0x43e00000
	v_cvt_u32_f32_e32 v1, v1
	s_delay_alu instid0(VALU_DEP_1)
	v_mul_lo_u32 v2, s24, v1
	s_sub_i32 s24, s0, s14
	s_cmp_ge_u32 s0, s14
	s_cselect_b32 s6, s26, s6
	s_cselect_b32 s0, s24, s0
	s_add_i32 s24, s6, 1
	s_cmp_ge_u32 s0, s14
	s_delay_alu instid0(VALU_DEP_1)
	v_mul_hi_u32 v4, v1, v2
	s_cselect_b32 s0, s24, s6
	s_mov_b32 s6, s5
	s_xor_b32 s0, s0, s1
	v_lshlrev_b32_e32 v2, 3, v0
	s_sub_i32 s1, s0, s1
	s_mov_b32 s14, 0x76543210
	s_add_i32 s0, s1, 7
	v_add_nc_u32_e32 v1, v1, v4
	s_ashr_i32 s24, s0, 31
	v_mov_b32_e32 v4, 0xc3e00000
	s_lshr_b32 s24, s24, 29
	s_delay_alu instid0(SALU_CYCLE_1)
	s_add_i32 s24, s0, s24
	v_mul_hi_u32 v1, v0, v1
	s_lshl_b32 s24, s24, 5
	v_cmp_gt_i32_e64 s0, s8, v6
	s_and_b32 s33, s24, 0xffffff00
	s_cmp_gt_i32 s8, 0
	v_mul_lo_u32 v6, v6, s7
	s_cselect_b32 s34, -1, 0
	s_cmp_eq_u32 s11, 1
	v_mul_lo_u32 v7, v1, s12
	s_cselect_b32 s35, -1, 0
	s_abs_i32 s36, s7
	s_lshl_b32 s26, s5, 1
	v_cvt_f32_u32_e32 v8, s36
	s_add_i32 s2, s5, 7
	s_add_i32 s5, s5, 3
	s_ashr_i32 s24, s2, 31
	v_sub_nc_u32_e32 v7, v0, v7
	v_rcp_iflag_f32_e32 v8, v8
	v_add_nc_u32_e32 v9, 1, v1
	s_ashr_i32 s25, s5, 31
	s_lshr_b32 s24, s24, 29
	v_subrev_nc_u32_e32 v10, s12, v7
	v_cmp_le_u32_e32 vcc_lo, s12, v7
	s_lshr_b32 s25, s25, 30
	s_add_i32 s2, s2, s24
	s_add_i32 s5, s5, s25
	s_sub_i32 s28, 0, s36
	s_waitcnt_depctr 0xfff
	v_dual_mul_f32 v8, 0x4f7ffffe, v8 :: v_dual_cndmask_b32 v1, v1, v9
	v_cndmask_b32_e32 v7, v7, v10, vcc_lo
	s_ashr_i32 s24, s2, 3
	s_and_b32 s30, s5, -4
	s_xor_b32 s38, s35, -1
	v_add_nc_u32_e32 v9, 1, v1
	v_cmp_le_u32_e32 vcc_lo, s12, v7
	v_cvt_u32_f32_e32 v7, v8
	s_delay_alu instid0(VALU_DEP_3) | instskip(NEXT) | instid1(VALU_DEP_2)
	v_cndmask_b32_e32 v1, v1, v9, vcc_lo
	v_readfirstlane_b32 s25, v7
	s_delay_alu instid0(VALU_DEP_2)
	v_mul_lo_u32 v8, v1, s12
	v_lshlrev_b32_e32 v7, 5, v1
	v_lshlrev_b32_e32 v9, 6, v1
	v_lshrrev_b32_e32 v10, 1, v1
	v_cmp_gt_i32_e32 vcc_lo, s1, v1
	s_mul_i32 s28, s28, s25
	v_and_b32_e32 v7, 0x7f00, v7
	v_and_b32_e32 v9, 0xc0, v9
	;; [unrolled: 1-line block ×3, first 2 shown]
	v_sub_nc_u32_e32 v8, v0, v8
	v_cmp_gt_u32_e64 s1, s24, v0
	s_mul_hi_u32 s5, s25, s28
                                        ; implicit-def: $vgpr1
	s_delay_alu instid0(VALU_DEP_3) | instskip(NEXT) | instid1(VALU_DEP_3)
	v_or3_b32 v7, v9, v7, v10
	v_cmp_eq_u32_e64 s2, 0, v8
	s_add_i32 s5, s25, s5
	s_delay_alu instid0(VALU_DEP_1)
	s_and_b32 s37, s2, vcc_lo
	s_branch .LBB230_3
.LBB230_2:                              ;   in Loop: Header=BB230_3 Depth=1
	s_add_i32 s15, s15, s10
	s_delay_alu instid0(SALU_CYCLE_1) | instskip(SKIP_1) | instid1(SALU_CYCLE_1)
	s_cmp_lt_i32 s15, s9
	s_cselect_b32 s2, -1, 0
	s_and_b32 s2, s39, s2
	s_delay_alu instid0(SALU_CYCLE_1)
	s_and_b32 vcc_lo, exec_lo, s2
	s_cbranch_vccz .LBB230_42
.LBB230_3:                              ; =>This Loop Header: Depth=1
                                        ;     Child Loop BB230_13 Depth 2
	s_abs_i32 s2, s15
	s_delay_alu instid0(SALU_CYCLE_1) | instskip(NEXT) | instid1(SALU_CYCLE_1)
	s_mul_hi_u32 s24, s2, s5
	s_mul_i32 s24, s24, s36
	s_delay_alu instid0(SALU_CYCLE_1) | instskip(SKIP_4) | instid1(SALU_CYCLE_1)
	s_sub_i32 s24, s2, s24
	s_ashr_i32 s2, s15, 31
	s_sub_i32 s25, s24, s36
	s_cmp_ge_u32 s24, s36
	s_cselect_b32 s24, s25, s24
	s_sub_i32 s25, s24, s36
	s_cmp_ge_u32 s24, s36
	s_cselect_b32 s24, s25, s24
	s_delay_alu instid0(SALU_CYCLE_1) | instskip(NEXT) | instid1(SALU_CYCLE_1)
	s_xor_b32 s24, s24, s2
	s_sub_i32 s25, s24, s2
	s_delay_alu instid0(SALU_CYCLE_1) | instskip(NEXT) | instid1(SALU_CYCLE_1)
	s_sub_i32 s28, s15, s25
	s_mul_i32 s28, s28, s8
	s_delay_alu instid0(SALU_CYCLE_1)
	s_add_i32 s28, s28, s25
	s_waitcnt lgkmcnt(0)
	s_cmp_lt_i32 s28, s3
	s_cselect_b32 s39, -1, 0
	s_cmp_ge_i32 s28, s3
	s_cbranch_scc1 .LBB230_2
; %bb.4:                                ;   in Loop: Header=BB230_3 Depth=1
	s_and_saveexec_b32 s25, s0
	s_cbranch_execz .LBB230_8
; %bb.5:                                ;   in Loop: Header=BB230_3 Depth=1
	s_waitcnt vmcnt(0)
	v_dual_mov_b32 v1, s4 :: v_dual_add_nc_u32 v0, s28, v6
	s_mov_b32 s28, exec_lo
	s_delay_alu instid0(VALU_DEP_1)
	v_cmpx_gt_i32_e64 s3, v0
	s_cbranch_execz .LBB230_7
; %bb.6:                                ;   in Loop: Header=BB230_3 Depth=1
	v_ashrrev_i32_e32 v1, 31, v0
	s_delay_alu instid0(VALU_DEP_1) | instskip(NEXT) | instid1(VALU_DEP_1)
	v_lshlrev_b64 v[0:1], 2, v[0:1]
	v_add_co_u32 v0, vcc_lo, s22, v0
	s_delay_alu instid0(VALU_DEP_2)
	v_add_co_ci_u32_e32 v1, vcc_lo, s23, v1, vcc_lo
	global_load_b32 v1, v[0:1], off
.LBB230_7:                              ;   in Loop: Header=BB230_3 Depth=1
	s_or_b32 exec_lo, exec_lo, s28
.LBB230_8:                              ;   in Loop: Header=BB230_3 Depth=1
	s_delay_alu instid0(SALU_CYCLE_1) | instskip(NEXT) | instid1(SALU_CYCLE_1)
	s_or_b32 exec_lo, exec_lo, s25
	s_and_not1_b32 vcc_lo, exec_lo, s34
	s_cbranch_vccnz .LBB230_2
; %bb.9:                                ;   in Loop: Header=BB230_3 Depth=1
	s_add_i32 s25, s15, s2
	s_waitcnt vmcnt(0)
	v_and_b32_e32 v0, 0xffffff, v1
	s_sub_i32 s25, s25, s24
	v_ashrrev_i32_e32 v8, 24, v1
	s_mul_i32 s25, s8, s25
	s_mov_b32 s41, 0
	s_add_i32 s24, s24, s25
	s_delay_alu instid0(SALU_CYCLE_1)
	s_sub_i32 s40, s24, s2
	s_branch .LBB230_13
.LBB230_10:                             ;   in Loop: Header=BB230_13 Depth=2
	s_or_b32 exec_lo, exec_lo, s2
.LBB230_11:                             ;   in Loop: Header=BB230_13 Depth=2
	s_add_i32 s41, s41, 1
	s_add_i32 s40, s40, s7
	s_cmp_eq_u32 s8, s41
	s_cselect_b32 s2, -1, 0
.LBB230_12:                             ;   in Loop: Header=BB230_13 Depth=2
	s_delay_alu instid0(SALU_CYCLE_1)
	s_and_b32 vcc_lo, exec_lo, s2
	s_cbranch_vccnz .LBB230_2
.LBB230_13:                             ;   Parent Loop BB230_3 Depth=1
                                        ; =>  This Inner Loop Header: Depth=2
	v_readlane_b32 s24, v0, s41
	v_readlane_b32 s29, v8, s41
	s_mov_b32 s2, -1
	s_delay_alu instid0(VALU_DEP_2)
	s_cmp_ge_i32 s24, s4
	s_cbranch_scc1 .LBB230_12
; %bb.14:                               ;   in Loop: Header=BB230_13 Depth=2
	s_mul_i32 s2, s24, s11
	s_delay_alu instid0(SALU_CYCLE_1) | instskip(SKIP_2) | instid1(SALU_CYCLE_1)
	s_add_i32 s2, s2, s29
	s_and_b32 s25, s35, exec_lo
	s_cselect_b32 s28, s24, s2
	s_mul_hi_i32 s25, s28, s13
	s_mul_i32 s24, s28, s13
	s_delay_alu instid0(SALU_CYCLE_1) | instskip(NEXT) | instid1(SALU_CYCLE_1)
	s_lshl_b64 s[24:25], s[24:25], 1
	s_add_u32 s24, s20, s24
	s_addc_u32 s2, s21, s25
	s_delay_alu instid0(SALU_CYCLE_1)
	s_and_b32 s25, s2, 0xffff
	s_cmp_lt_i32 s12, 8
	buffer_load_b128 v[9:12], v3, s[24:27], 0 offen
	s_waitcnt vmcnt(0)
	v_lshrrev_b32_e32 v14, 16, v9
	v_cvt_f32_f16_e32 v13, v9
	v_lshrrev_b32_e32 v9, 16, v10
	v_lshrrev_b32_e32 v18, 16, v12
	s_delay_alu instid0(VALU_DEP_4)
	v_cvt_f32_f16_e32 v15, v14
	v_cvt_f32_f16_e32 v14, v10
	v_lshrrev_b32_e32 v10, 16, v11
	v_cvt_f32_f16_e32 v16, v9
	v_cvt_f32_f16_e32 v11, v11
	v_max3_f32 v17, |v13|, 0x2edbe6ff, |v15|
	s_delay_alu instid0(VALU_DEP_4) | instskip(SKIP_2) | instid1(VALU_DEP_4)
	v_cvt_f32_f16_e32 v9, v10
	v_cvt_f32_f16_e32 v10, v12
	;; [unrolled: 1-line block ×3, first 2 shown]
	v_max3_f32 v17, v17, |v14|, |v16|
	s_delay_alu instid0(VALU_DEP_1) | instskip(NEXT) | instid1(VALU_DEP_1)
	v_max3_f32 v17, v17, |v11|, |v9|
	v_max3_f32 v17, v17, |v10|, |v12|
	s_cbranch_scc1 .LBB230_20
; %bb.15:                               ;   in Loop: Header=BB230_13 Depth=2
	s_cmp_lt_i32 s12, 16
	s_cbranch_scc1 .LBB230_21
; %bb.16:                               ;   in Loop: Header=BB230_13 Depth=2
	s_cmp_lt_i32 s12, 32
	s_cbranch_scc1 .LBB230_22
; %bb.17:                               ;   in Loop: Header=BB230_13 Depth=2
	v_mov_b32_e32 v18, v17
	s_cmp_eq_u32 s12, 32
	s_cbranch_scc0 .LBB230_19
; %bb.18:                               ;   in Loop: Header=BB230_13 Depth=2
	s_delay_alu instid0(VALU_DEP_1) | instskip(NEXT) | instid1(VALU_DEP_1)
	v_mov_b32_dpp v18, v17 quad_perm:[1,0,3,2] row_mask:0xf bank_mask:0xf
	v_cmp_gt_f32_e32 vcc_lo, v17, v18
	v_cndmask_b32_e32 v18, v18, v17, vcc_lo
	s_delay_alu instid0(VALU_DEP_1) | instskip(NEXT) | instid1(VALU_DEP_1)
	v_mov_b32_dpp v19, v18 quad_perm:[2,3,0,1] row_mask:0xf bank_mask:0xf
	v_cmp_gt_f32_e32 vcc_lo, v18, v19
	v_cndmask_b32_e32 v18, v19, v18, vcc_lo
	s_delay_alu instid0(VALU_DEP_1) | instskip(NEXT) | instid1(VALU_DEP_1)
	v_mov_b32_dpp v19, v18 row_xmask:7 row_mask:0xf bank_mask:0xf
	v_cmp_gt_f32_e32 vcc_lo, v18, v19
	v_cndmask_b32_e32 v18, v19, v18, vcc_lo
	s_delay_alu instid0(VALU_DEP_1) | instskip(NEXT) | instid1(VALU_DEP_1)
	v_mov_b32_dpp v19, v18 row_xmask:15 row_mask:0xf bank_mask:0xf
	v_cmp_gt_f32_e32 vcc_lo, v18, v19
	v_cndmask_b32_e32 v18, v19, v18, vcc_lo
	s_delay_alu instid0(VALU_DEP_1) | instskip(NEXT) | instid1(VALU_DEP_1)
	v_permlanex16_b32 v19, v18, s14, 0xfedcba98 op_sel:[1,1]
	v_cmp_gt_f32_e32 vcc_lo, v18, v19
	v_cndmask_b32_e32 v18, v19, v18, vcc_lo
.LBB230_19:                             ;   in Loop: Header=BB230_13 Depth=2
	s_cbranch_execz .LBB230_23
	s_branch .LBB230_25
.LBB230_20:                             ;   in Loop: Header=BB230_13 Depth=2
                                        ; implicit-def: $vgpr18
	s_branch .LBB230_29
.LBB230_21:                             ;   in Loop: Header=BB230_13 Depth=2
                                        ; implicit-def: $vgpr18
	s_branch .LBB230_26
.LBB230_22:                             ;   in Loop: Header=BB230_13 Depth=2
                                        ; implicit-def: $vgpr18
.LBB230_23:                             ;   in Loop: Header=BB230_13 Depth=2
	v_mov_b32_e32 v18, v17
	s_cmp_eq_u32 s12, 16
	s_cbranch_scc0 .LBB230_25
; %bb.24:                               ;   in Loop: Header=BB230_13 Depth=2
	s_delay_alu instid0(VALU_DEP_1) | instskip(NEXT) | instid1(VALU_DEP_1)
	v_mov_b32_dpp v18, v17 quad_perm:[1,0,3,2] row_mask:0xf bank_mask:0xf
	v_cmp_gt_f32_e32 vcc_lo, v17, v18
	v_cndmask_b32_e32 v18, v18, v17, vcc_lo
	s_delay_alu instid0(VALU_DEP_1) | instskip(NEXT) | instid1(VALU_DEP_1)
	v_mov_b32_dpp v19, v18 quad_perm:[2,3,0,1] row_mask:0xf bank_mask:0xf
	v_cmp_gt_f32_e32 vcc_lo, v18, v19
	v_cndmask_b32_e32 v18, v19, v18, vcc_lo
	s_delay_alu instid0(VALU_DEP_1) | instskip(NEXT) | instid1(VALU_DEP_1)
	v_mov_b32_dpp v19, v18 row_half_mirror row_mask:0xf bank_mask:0xf
	v_cmp_gt_f32_e32 vcc_lo, v18, v19
	v_cndmask_b32_e32 v18, v19, v18, vcc_lo
	s_delay_alu instid0(VALU_DEP_1) | instskip(NEXT) | instid1(VALU_DEP_1)
	v_mov_b32_dpp v19, v18 row_mirror row_mask:0xf bank_mask:0xf
	v_cmp_gt_f32_e32 vcc_lo, v18, v19
	v_cndmask_b32_e32 v18, v19, v18, vcc_lo
.LBB230_25:                             ;   in Loop: Header=BB230_13 Depth=2
	s_cbranch_execnz .LBB230_28
.LBB230_26:                             ;   in Loop: Header=BB230_13 Depth=2
	v_mov_b32_e32 v18, v17
	s_cmp_eq_u32 s12, 8
	s_cbranch_scc0 .LBB230_28
; %bb.27:                               ;   in Loop: Header=BB230_13 Depth=2
	s_delay_alu instid0(VALU_DEP_1) | instskip(NEXT) | instid1(VALU_DEP_1)
	v_mov_b32_dpp v18, v17 quad_perm:[1,0,3,2] row_mask:0xf bank_mask:0xf
	v_cmp_gt_f32_e32 vcc_lo, v17, v18
	v_cndmask_b32_e32 v18, v18, v17, vcc_lo
	s_delay_alu instid0(VALU_DEP_1) | instskip(NEXT) | instid1(VALU_DEP_1)
	v_mov_b32_dpp v19, v18 quad_perm:[2,3,0,1] row_mask:0xf bank_mask:0xf
	v_cmp_gt_f32_e32 vcc_lo, v18, v19
	v_cndmask_b32_e32 v18, v19, v18, vcc_lo
	s_delay_alu instid0(VALU_DEP_1) | instskip(NEXT) | instid1(VALU_DEP_1)
	v_mov_b32_dpp v19, v18 row_half_mirror row_mask:0xf bank_mask:0xf
	v_cmp_gt_f32_e32 vcc_lo, v18, v19
	v_cndmask_b32_e32 v18, v19, v18, vcc_lo
.LBB230_28:                             ;   in Loop: Header=BB230_13 Depth=2
	s_cbranch_execnz .LBB230_37
.LBB230_29:                             ;   in Loop: Header=BB230_13 Depth=2
	s_cmp_lt_i32 s12, 4
	s_cbranch_scc1 .LBB230_32
; %bb.30:                               ;   in Loop: Header=BB230_13 Depth=2
	v_mov_b32_e32 v18, v17
	s_cmp_eq_u32 s12, 4
	s_cbranch_scc0 .LBB230_33
; %bb.31:                               ;   in Loop: Header=BB230_13 Depth=2
	s_delay_alu instid0(VALU_DEP_1) | instskip(NEXT) | instid1(VALU_DEP_1)
	v_mov_b32_dpp v18, v17 quad_perm:[1,0,3,2] row_mask:0xf bank_mask:0xf
	v_cmp_gt_f32_e32 vcc_lo, v17, v18
	v_cndmask_b32_e32 v18, v18, v17, vcc_lo
	s_delay_alu instid0(VALU_DEP_1) | instskip(NEXT) | instid1(VALU_DEP_1)
	v_mov_b32_dpp v19, v18 quad_perm:[2,3,0,1] row_mask:0xf bank_mask:0xf
	v_cmp_gt_f32_e32 vcc_lo, v18, v19
	v_cndmask_b32_e32 v18, v19, v18, vcc_lo
	s_cbranch_execz .LBB230_34
	s_branch .LBB230_37
.LBB230_32:                             ;   in Loop: Header=BB230_13 Depth=2
                                        ; implicit-def: $vgpr18
	s_branch .LBB230_34
.LBB230_33:                             ;   in Loop: Header=BB230_13 Depth=2
	s_cbranch_execnz .LBB230_37
.LBB230_34:                             ;   in Loop: Header=BB230_13 Depth=2
	s_cmp_lg_u32 s12, 2
	s_cbranch_scc1 .LBB230_36
; %bb.35:                               ;   in Loop: Header=BB230_13 Depth=2
	v_mov_b32_dpp v18, v17 quad_perm:[1,0,3,2] row_mask:0xf bank_mask:0xf
	s_delay_alu instid0(VALU_DEP_1)
	v_cmp_gt_f32_e32 vcc_lo, v17, v18
	v_cndmask_b32_e32 v17, v18, v17, vcc_lo
.LBB230_36:                             ;   in Loop: Header=BB230_13 Depth=2
	s_delay_alu instid0(VALU_DEP_1)
	v_mov_b32_e32 v18, v17
.LBB230_37:                             ;   in Loop: Header=BB230_13 Depth=2
	s_delay_alu instid0(VALU_DEP_1) | instskip(NEXT) | instid1(VALU_DEP_1)
	v_mul_f32_e32 v17, 0x3b124925, v18
	v_bfe_u32 v18, v17, 23, 8
	v_and_b32_e32 v17, 0x7fffff, v17
	s_delay_alu instid0(VALU_DEP_2) | instskip(NEXT) | instid1(VALU_DEP_2)
	v_cmp_ne_u32_e32 vcc_lo, 0xff, v18
	v_cmp_ne_u32_e64 s2, 0, v17
	s_delay_alu instid0(VALU_DEP_1)
	s_and_b32 vcc_lo, s2, vcc_lo
	v_add_co_ci_u32_e32 v17, vcc_lo, 0, v18, vcc_lo
	s_and_saveexec_b32 s2, s37
	s_cbranch_execz .LBB230_39
; %bb.38:                               ;   in Loop: Header=BB230_13 Depth=2
	s_ashr_i32 s24, s40, 31
	s_delay_alu instid0(SALU_CYCLE_1)
	s_lshr_b32 s25, s24, 27
	s_lshr_b32 s24, s24, 28
	s_add_i32 s25, s40, s25
	s_add_i32 s24, s40, s24
	s_and_b32 s31, s25, 0xffe0
	s_and_b32 s24, s24, 0x3ffffff0
	s_sub_i32 s31, s40, s31
	s_sub_i32 s24, s40, s24
	s_bfe_i32 s42, s31, 0x80000
	s_lshl_b32 s24, s24, 2
	v_lshrrev_b16 v18, 11, s42
	s_delay_alu instid0(VALU_DEP_1) | instskip(NEXT) | instid1(VALU_DEP_1)
	v_and_b32_e32 v18, 15, v18
	v_add_nc_u16 v18, s31, v18
	s_delay_alu instid0(VALU_DEP_1) | instskip(NEXT) | instid1(VALU_DEP_1)
	v_bfe_i32 v18, v18, 0, 8
	v_ashrrev_i16 v18, 4, v18
	s_delay_alu instid0(VALU_DEP_1) | instskip(NEXT) | instid1(VALU_DEP_1)
	v_bfe_i32 v18, v18, 0, 16
	v_add_nc_u32_e32 v18, s24, v18
	s_ashr_i32 s24, s25, 5
	s_delay_alu instid0(SALU_CYCLE_1)
	s_mul_i32 s24, s33, s24
	s_delay_alu instid0(VALU_DEP_1) | instid1(SALU_CYCLE_1)
	v_add3_u32 v18, v18, s24, v7
	s_delay_alu instid0(VALU_DEP_1) | instskip(SKIP_1) | instid1(VALU_DEP_2)
	v_ashrrev_i32_e32 v19, 31, v18
	v_add_co_u32 v18, vcc_lo, s18, v18
	v_add_co_ci_u32_e32 v19, vcc_lo, s19, v19, vcc_lo
	global_store_b8 v[18:19], v17, off
.LBB230_39:                             ;   in Loop: Header=BB230_13 Depth=2
	s_or_b32 exec_lo, exec_lo, s2
	s_cmp_ge_i32 s29, s11
	s_cselect_b32 s2, -1, 0
	s_delay_alu instid0(SALU_CYCLE_1) | instskip(NEXT) | instid1(SALU_CYCLE_1)
	s_and_b32 s2, s38, s2
	s_and_b32 vcc_lo, exec_lo, s2
	s_cbranch_vccnz .LBB230_11
; %bb.40:                               ;   in Loop: Header=BB230_13 Depth=2
	s_and_saveexec_b32 s2, s1
	s_cbranch_execz .LBB230_10
; %bb.41:                               ;   in Loop: Header=BB230_13 Depth=2
	v_lshlrev_b32_e32 v17, 23, v17
	s_mul_i32 s24, s28, s6
	s_mul_hi_i32 s25, s28, s6
	s_add_u32 s28, s16, s24
	s_addc_u32 s24, s17, s25
	v_rcp_f32_e32 v17, v17
	s_mov_b32 s31, s27
	s_and_b32 s29, s24, 0xffff
	s_waitcnt_depctr 0xfff
	v_mul_f32_e32 v13, v17, v13
	v_mul_f32_e32 v15, v17, v15
	;; [unrolled: 1-line block ×4, first 2 shown]
	;;#ASMSTART
	v_med3_f32 v13, v13, v4, v5
v_med3_f32 v15, v15, v4, v5
v_cvt_pk_fp8_f32 v18, v13, v15
	;;#ASMEND
	;;#ASMSTART
	v_med3_f32 v14, v14, v4, v5
v_med3_f32 v16, v16, v4, v5
v_cvt_pk_fp8_f32 v13, v14, v16
	;;#ASMEND
	v_perm_b32 v14, v13, v18, 0x5040100
	v_and_b32_e32 v13, 0xffffff00, v13
	v_mul_f32_e32 v11, v17, v11
	v_mul_f32_e32 v9, v17, v9
	;; [unrolled: 1-line block ×3, first 2 shown]
	v_lshrrev_b32_e32 v15, 16, v14
	s_delay_alu instid0(VALU_DEP_1) | instskip(NEXT) | instid1(VALU_DEP_1)
	v_and_b32_e32 v15, 0xff, v15
	v_or_b32_e32 v13, v15, v13
	v_mul_f32_e32 v12, v17, v12
	;;#ASMSTART
	v_med3_f32 v11, v11, v4, v5
v_med3_f32 v9, v9, v4, v5
v_cvt_pk_fp8_f32 v15, v11, v9
	;;#ASMEND
	s_delay_alu instid0(VALU_DEP_2) | instskip(SKIP_2) | instid1(VALU_DEP_1)
	v_lshlrev_b32_e32 v11, 16, v13
	;;#ASMSTART
	v_med3_f32 v10, v10, v4, v5
v_med3_f32 v12, v12, v4, v5
v_cvt_pk_fp8_f32 v9, v10, v12
	;;#ASMEND
	v_lshlrev_b32_e32 v9, 16, v9
	v_and_or_b32 v10, 0xffff, v15, v9
	s_delay_alu instid0(VALU_DEP_3)
	v_and_or_b32 v9, 0xffff, v14, v11
	buffer_store_b64 v[9:10], v2, s[28:31], 0 offen
	;;#ASMSTART
	s_nop 0
	;;#ASMEND
	s_branch .LBB230_10
.LBB230_42:
	s_nop 0
	s_sendmsg sendmsg(MSG_DEALLOC_VGPRS)
	s_endpgm
	.section	.rodata,"a",@progbits
	.p2align	6, 0x0
	.amdhsa_kernel _ZN5aiter30fused_mx_quant_moe_sort_kernelIDF16_DB8_Li256ELi8EEEvPT0_PhPKT_PKiS9_iiiiiiiii
		.amdhsa_group_segment_fixed_size 0
		.amdhsa_private_segment_fixed_size 0
		.amdhsa_kernarg_size 76
		.amdhsa_user_sgpr_count 15
		.amdhsa_user_sgpr_dispatch_ptr 0
		.amdhsa_user_sgpr_queue_ptr 0
		.amdhsa_user_sgpr_kernarg_segment_ptr 1
		.amdhsa_user_sgpr_dispatch_id 0
		.amdhsa_user_sgpr_private_segment_size 0
		.amdhsa_wavefront_size32 1
		.amdhsa_uses_dynamic_stack 0
		.amdhsa_enable_private_segment 0
		.amdhsa_system_sgpr_workgroup_id_x 1
		.amdhsa_system_sgpr_workgroup_id_y 0
		.amdhsa_system_sgpr_workgroup_id_z 0
		.amdhsa_system_sgpr_workgroup_info 0
		.amdhsa_system_vgpr_workitem_id 0
		.amdhsa_next_free_vgpr 20
		.amdhsa_next_free_sgpr 43
		.amdhsa_reserve_vcc 1
		.amdhsa_float_round_mode_32 0
		.amdhsa_float_round_mode_16_64 0
		.amdhsa_float_denorm_mode_32 3
		.amdhsa_float_denorm_mode_16_64 3
		.amdhsa_dx10_clamp 1
		.amdhsa_ieee_mode 1
		.amdhsa_fp16_overflow 0
		.amdhsa_workgroup_processor_mode 1
		.amdhsa_memory_ordered 1
		.amdhsa_forward_progress 0
		.amdhsa_shared_vgpr_count 0
		.amdhsa_exception_fp_ieee_invalid_op 0
		.amdhsa_exception_fp_denorm_src 0
		.amdhsa_exception_fp_ieee_div_zero 0
		.amdhsa_exception_fp_ieee_overflow 0
		.amdhsa_exception_fp_ieee_underflow 0
		.amdhsa_exception_fp_ieee_inexact 0
		.amdhsa_exception_int_div_zero 0
	.end_amdhsa_kernel
	.section	.text._ZN5aiter30fused_mx_quant_moe_sort_kernelIDF16_DB8_Li256ELi8EEEvPT0_PhPKT_PKiS9_iiiiiiiii,"axG",@progbits,_ZN5aiter30fused_mx_quant_moe_sort_kernelIDF16_DB8_Li256ELi8EEEvPT0_PhPKT_PKiS9_iiiiiiiii,comdat
.Lfunc_end230:
	.size	_ZN5aiter30fused_mx_quant_moe_sort_kernelIDF16_DB8_Li256ELi8EEEvPT0_PhPKT_PKiS9_iiiiiiiii, .Lfunc_end230-_ZN5aiter30fused_mx_quant_moe_sort_kernelIDF16_DB8_Li256ELi8EEEvPT0_PhPKT_PKiS9_iiiiiiiii
                                        ; -- End function
	.section	.AMDGPU.csdata,"",@progbits
; Kernel info:
; codeLenInByte = 2276
; NumSgprs: 45
; NumVgprs: 20
; ScratchSize: 0
; MemoryBound: 0
; FloatMode: 240
; IeeeMode: 1
; LDSByteSize: 0 bytes/workgroup (compile time only)
; SGPRBlocks: 5
; VGPRBlocks: 2
; NumSGPRsForWavesPerEU: 45
; NumVGPRsForWavesPerEU: 20
; Occupancy: 16
; WaveLimiterHint : 0
; COMPUTE_PGM_RSRC2:SCRATCH_EN: 0
; COMPUTE_PGM_RSRC2:USER_SGPR: 15
; COMPUTE_PGM_RSRC2:TRAP_HANDLER: 0
; COMPUTE_PGM_RSRC2:TGID_X_EN: 1
; COMPUTE_PGM_RSRC2:TGID_Y_EN: 0
; COMPUTE_PGM_RSRC2:TGID_Z_EN: 0
; COMPUTE_PGM_RSRC2:TIDIG_COMP_CNT: 0
	.section	.text._ZN5aiter30fused_mx_quant_moe_sort_kernelItDB8_Li256ELi8EEEvPT0_PhPKT_PKiS9_iiiiiiiii,"axG",@progbits,_ZN5aiter30fused_mx_quant_moe_sort_kernelItDB8_Li256ELi8EEEvPT0_PhPKT_PKiS9_iiiiiiiii,comdat
	.protected	_ZN5aiter30fused_mx_quant_moe_sort_kernelItDB8_Li256ELi8EEEvPT0_PhPKT_PKiS9_iiiiiiiii ; -- Begin function _ZN5aiter30fused_mx_quant_moe_sort_kernelItDB8_Li256ELi8EEEvPT0_PhPKT_PKiS9_iiiiiiiii
	.globl	_ZN5aiter30fused_mx_quant_moe_sort_kernelItDB8_Li256ELi8EEEvPT0_PhPKT_PKiS9_iiiiiiiii
	.p2align	8
	.type	_ZN5aiter30fused_mx_quant_moe_sort_kernelItDB8_Li256ELi8EEEvPT0_PhPKT_PKiS9_iiiiiiiii,@function
_ZN5aiter30fused_mx_quant_moe_sort_kernelItDB8_Li256ELi8EEEvPT0_PhPKT_PKiS9_iiiiiiiii: ; @_ZN5aiter30fused_mx_quant_moe_sort_kernelItDB8_Li256ELi8EEEvPT0_PhPKT_PKiS9_iiiiiiiii
; %bb.0:
	s_load_b256 s[4:11], s[0:1], 0x28
	s_waitcnt lgkmcnt(0)
	s_abs_i32 s14, s6
	s_cmp_ge_i32 s15, s9
	v_cvt_f32_u32_e32 v1, s14
	s_delay_alu instid0(VALU_DEP_1) | instskip(SKIP_2) | instid1(VALU_DEP_1)
	v_rcp_iflag_f32_e32 v1, v1
	s_waitcnt_depctr 0xfff
	v_mul_f32_e32 v1, 0x4f7ffffe, v1
	v_cvt_u32_f32_e32 v1, v1
	s_delay_alu instid0(VALU_DEP_1)
	v_readfirstlane_b32 s24, v1
	s_cbranch_scc1 .LBB231_42
; %bb.1:
	s_ashr_i32 s25, s6, 31
	s_load_b256 s[16:23], s[0:1], 0x0
	s_lshr_b32 s2, s25, 29
	v_lshlrev_b32_e32 v3, 4, v0
	s_add_i32 s2, s6, s2
	s_mov_b32 s27, -1
	s_ashr_i32 s12, s2, 3
	s_clause 0x1
	s_load_b64 s[2:3], s[0:1], 0x20
	s_load_b32 s13, s[0:1], 0x48
	v_cvt_f32_u32_e32 v1, s12
	s_sub_i32 s1, 0, s14
	s_add_i32 s0, s5, s6
	s_mul_i32 s1, s1, s24
	s_add_i32 s0, s0, -1
	v_rcp_iflag_f32_e32 v1, v1
	s_mul_hi_u32 s1, s24, s1
	s_ashr_i32 s6, s0, 31
	s_abs_i32 s0, s0
	s_add_i32 s24, s24, s1
	s_xor_b32 s1, s6, s25
	s_mul_hi_u32 s6, s0, s24
	s_sub_i32 s24, 0, s12
	s_mul_i32 s25, s6, s14
	s_add_i32 s26, s6, 1
	s_waitcnt_depctr 0xfff
	v_dual_mul_f32 v1, 0x4f7ffffe, v1 :: v_dual_and_b32 v6, 31, v0
	s_sub_i32 s0, s0, s25
	s_waitcnt lgkmcnt(0)
	s_load_b32 s3, s[2:3], 0x0
	v_mov_b32_e32 v5, 0x43e00000
	v_cvt_u32_f32_e32 v1, v1
	s_delay_alu instid0(VALU_DEP_1)
	v_mul_lo_u32 v2, s24, v1
	s_sub_i32 s24, s0, s14
	s_cmp_ge_u32 s0, s14
	s_cselect_b32 s6, s26, s6
	s_cselect_b32 s0, s24, s0
	s_add_i32 s24, s6, 1
	s_cmp_ge_u32 s0, s14
	s_delay_alu instid0(VALU_DEP_1)
	v_mul_hi_u32 v4, v1, v2
	s_cselect_b32 s0, s24, s6
	s_mov_b32 s6, s5
	s_xor_b32 s0, s0, s1
	v_lshlrev_b32_e32 v2, 3, v0
	s_sub_i32 s1, s0, s1
	s_mov_b32 s14, 0x76543210
	s_add_i32 s0, s1, 7
	v_add_nc_u32_e32 v1, v1, v4
	s_ashr_i32 s24, s0, 31
	v_mov_b32_e32 v4, 0xc3e00000
	s_lshr_b32 s24, s24, 29
	s_delay_alu instid0(SALU_CYCLE_1)
	s_add_i32 s24, s0, s24
	v_mul_hi_u32 v1, v0, v1
	s_lshl_b32 s24, s24, 5
	v_cmp_gt_i32_e64 s0, s8, v6
	s_and_b32 s33, s24, 0xffffff00
	s_cmp_gt_i32 s8, 0
	v_mul_lo_u32 v6, v6, s7
	s_cselect_b32 s34, -1, 0
	s_cmp_eq_u32 s11, 1
	v_mul_lo_u32 v7, v1, s12
	s_cselect_b32 s35, -1, 0
	s_abs_i32 s36, s7
	s_lshl_b32 s26, s5, 1
	v_cvt_f32_u32_e32 v8, s36
	s_add_i32 s2, s5, 7
	s_add_i32 s5, s5, 3
	s_ashr_i32 s24, s2, 31
	v_sub_nc_u32_e32 v7, v0, v7
	v_rcp_iflag_f32_e32 v8, v8
	v_add_nc_u32_e32 v9, 1, v1
	s_ashr_i32 s25, s5, 31
	s_lshr_b32 s24, s24, 29
	v_subrev_nc_u32_e32 v10, s12, v7
	v_cmp_le_u32_e32 vcc_lo, s12, v7
	s_lshr_b32 s25, s25, 30
	s_add_i32 s2, s2, s24
	s_add_i32 s5, s5, s25
	s_sub_i32 s28, 0, s36
	s_waitcnt_depctr 0xfff
	v_dual_mul_f32 v8, 0x4f7ffffe, v8 :: v_dual_cndmask_b32 v1, v1, v9
	v_cndmask_b32_e32 v7, v7, v10, vcc_lo
	s_ashr_i32 s24, s2, 3
	s_and_b32 s30, s5, -4
	s_xor_b32 s38, s35, -1
	v_add_nc_u32_e32 v9, 1, v1
	v_cmp_le_u32_e32 vcc_lo, s12, v7
	v_cvt_u32_f32_e32 v7, v8
	s_delay_alu instid0(VALU_DEP_3) | instskip(NEXT) | instid1(VALU_DEP_2)
	v_cndmask_b32_e32 v1, v1, v9, vcc_lo
	v_readfirstlane_b32 s25, v7
	s_delay_alu instid0(VALU_DEP_2)
	v_mul_lo_u32 v8, v1, s12
	v_lshlrev_b32_e32 v7, 5, v1
	v_lshlrev_b32_e32 v9, 6, v1
	v_lshrrev_b32_e32 v10, 1, v1
	v_cmp_gt_i32_e32 vcc_lo, s1, v1
	s_mul_i32 s28, s28, s25
	v_and_b32_e32 v7, 0x7f00, v7
	v_and_b32_e32 v9, 0xc0, v9
	;; [unrolled: 1-line block ×3, first 2 shown]
	v_sub_nc_u32_e32 v8, v0, v8
	v_cmp_gt_u32_e64 s1, s24, v0
	s_mul_hi_u32 s5, s25, s28
                                        ; implicit-def: $vgpr1
	s_delay_alu instid0(VALU_DEP_3) | instskip(NEXT) | instid1(VALU_DEP_3)
	v_or3_b32 v7, v9, v7, v10
	v_cmp_eq_u32_e64 s2, 0, v8
	s_add_i32 s5, s25, s5
	s_delay_alu instid0(VALU_DEP_1)
	s_and_b32 s37, s2, vcc_lo
	s_branch .LBB231_3
.LBB231_2:                              ;   in Loop: Header=BB231_3 Depth=1
	s_add_i32 s15, s15, s10
	s_delay_alu instid0(SALU_CYCLE_1) | instskip(SKIP_1) | instid1(SALU_CYCLE_1)
	s_cmp_lt_i32 s15, s9
	s_cselect_b32 s2, -1, 0
	s_and_b32 s2, s39, s2
	s_delay_alu instid0(SALU_CYCLE_1)
	s_and_b32 vcc_lo, exec_lo, s2
	s_cbranch_vccz .LBB231_42
.LBB231_3:                              ; =>This Loop Header: Depth=1
                                        ;     Child Loop BB231_13 Depth 2
	s_abs_i32 s2, s15
	s_delay_alu instid0(SALU_CYCLE_1) | instskip(NEXT) | instid1(SALU_CYCLE_1)
	s_mul_hi_u32 s24, s2, s5
	s_mul_i32 s24, s24, s36
	s_delay_alu instid0(SALU_CYCLE_1) | instskip(SKIP_4) | instid1(SALU_CYCLE_1)
	s_sub_i32 s24, s2, s24
	s_ashr_i32 s2, s15, 31
	s_sub_i32 s25, s24, s36
	s_cmp_ge_u32 s24, s36
	s_cselect_b32 s24, s25, s24
	s_sub_i32 s25, s24, s36
	s_cmp_ge_u32 s24, s36
	s_cselect_b32 s24, s25, s24
	s_delay_alu instid0(SALU_CYCLE_1) | instskip(NEXT) | instid1(SALU_CYCLE_1)
	s_xor_b32 s24, s24, s2
	s_sub_i32 s25, s24, s2
	s_delay_alu instid0(SALU_CYCLE_1) | instskip(NEXT) | instid1(SALU_CYCLE_1)
	s_sub_i32 s28, s15, s25
	s_mul_i32 s28, s28, s8
	s_delay_alu instid0(SALU_CYCLE_1)
	s_add_i32 s28, s28, s25
	s_waitcnt lgkmcnt(0)
	s_cmp_lt_i32 s28, s3
	s_cselect_b32 s39, -1, 0
	s_cmp_ge_i32 s28, s3
	s_cbranch_scc1 .LBB231_2
; %bb.4:                                ;   in Loop: Header=BB231_3 Depth=1
	s_and_saveexec_b32 s25, s0
	s_cbranch_execz .LBB231_8
; %bb.5:                                ;   in Loop: Header=BB231_3 Depth=1
	s_waitcnt vmcnt(0)
	v_dual_mov_b32 v1, s4 :: v_dual_add_nc_u32 v0, s28, v6
	s_mov_b32 s28, exec_lo
	s_delay_alu instid0(VALU_DEP_1)
	v_cmpx_gt_i32_e64 s3, v0
	s_cbranch_execz .LBB231_7
; %bb.6:                                ;   in Loop: Header=BB231_3 Depth=1
	v_ashrrev_i32_e32 v1, 31, v0
	s_delay_alu instid0(VALU_DEP_1) | instskip(NEXT) | instid1(VALU_DEP_1)
	v_lshlrev_b64 v[0:1], 2, v[0:1]
	v_add_co_u32 v0, vcc_lo, s22, v0
	s_delay_alu instid0(VALU_DEP_2)
	v_add_co_ci_u32_e32 v1, vcc_lo, s23, v1, vcc_lo
	global_load_b32 v1, v[0:1], off
.LBB231_7:                              ;   in Loop: Header=BB231_3 Depth=1
	s_or_b32 exec_lo, exec_lo, s28
.LBB231_8:                              ;   in Loop: Header=BB231_3 Depth=1
	s_delay_alu instid0(SALU_CYCLE_1) | instskip(NEXT) | instid1(SALU_CYCLE_1)
	s_or_b32 exec_lo, exec_lo, s25
	s_and_not1_b32 vcc_lo, exec_lo, s34
	s_cbranch_vccnz .LBB231_2
; %bb.9:                                ;   in Loop: Header=BB231_3 Depth=1
	s_add_i32 s25, s15, s2
	s_waitcnt vmcnt(0)
	v_and_b32_e32 v0, 0xffffff, v1
	s_sub_i32 s25, s25, s24
	v_ashrrev_i32_e32 v8, 24, v1
	s_mul_i32 s25, s8, s25
	s_mov_b32 s41, 0
	s_add_i32 s24, s24, s25
	s_delay_alu instid0(SALU_CYCLE_1)
	s_sub_i32 s40, s24, s2
	s_branch .LBB231_13
.LBB231_10:                             ;   in Loop: Header=BB231_13 Depth=2
	s_or_b32 exec_lo, exec_lo, s2
.LBB231_11:                             ;   in Loop: Header=BB231_13 Depth=2
	s_add_i32 s41, s41, 1
	s_add_i32 s40, s40, s7
	s_cmp_eq_u32 s8, s41
	s_cselect_b32 s2, -1, 0
.LBB231_12:                             ;   in Loop: Header=BB231_13 Depth=2
	s_delay_alu instid0(SALU_CYCLE_1)
	s_and_b32 vcc_lo, exec_lo, s2
	s_cbranch_vccnz .LBB231_2
.LBB231_13:                             ;   Parent Loop BB231_3 Depth=1
                                        ; =>  This Inner Loop Header: Depth=2
	v_readlane_b32 s24, v0, s41
	v_readlane_b32 s29, v8, s41
	s_mov_b32 s2, -1
	s_delay_alu instid0(VALU_DEP_2)
	s_cmp_ge_i32 s24, s4
	s_cbranch_scc1 .LBB231_12
; %bb.14:                               ;   in Loop: Header=BB231_13 Depth=2
	s_mul_i32 s2, s24, s11
	s_delay_alu instid0(SALU_CYCLE_1) | instskip(SKIP_2) | instid1(SALU_CYCLE_1)
	s_add_i32 s2, s2, s29
	s_and_b32 s25, s35, exec_lo
	s_cselect_b32 s28, s24, s2
	s_mul_hi_i32 s25, s28, s13
	s_mul_i32 s24, s28, s13
	s_delay_alu instid0(SALU_CYCLE_1) | instskip(NEXT) | instid1(SALU_CYCLE_1)
	s_lshl_b64 s[24:25], s[24:25], 1
	s_add_u32 s24, s20, s24
	s_addc_u32 s2, s21, s25
	s_delay_alu instid0(SALU_CYCLE_1)
	s_and_b32 s25, s2, 0xffff
	s_cmp_lt_i32 s12, 8
	buffer_load_b128 v[14:17], v3, s[24:27], 0 offen
	s_waitcnt vmcnt(0)
	v_and_b32_e32 v9, 0xffff, v14
	v_lshrrev_b32_e32 v10, 16, v14
	v_and_b32_e32 v11, 0xffff, v15
	v_lshrrev_b32_e32 v12, 16, v15
	v_and_b32_e32 v18, 0xffff, v17
	v_cvt_f32_u32_e32 v13, v9
	v_cvt_f32_u32_e32 v14, v10
	v_and_b32_e32 v9, 0xffff, v16
	v_lshrrev_b32_e32 v10, 16, v16
	v_cvt_f32_u32_e32 v15, v11
	v_cvt_f32_u32_e32 v16, v12
	v_max3_f32 v11, v13, 0x2edbe6ff, v14
	v_cvt_f32_u32_e32 v12, v9
	v_cvt_f32_u32_e32 v9, v10
	v_lshrrev_b32_e32 v17, 16, v17
	v_cvt_f32_u32_e32 v10, v18
	v_max3_f32 v11, v11, v15, v16
	s_delay_alu instid0(VALU_DEP_1) | instskip(NEXT) | instid1(VALU_DEP_4)
	v_max3_f32 v18, v11, v12, v9
	v_cvt_f32_u32_e32 v11, v17
	s_delay_alu instid0(VALU_DEP_1)
	v_max3_f32 v17, v18, v10, v11
	s_cbranch_scc1 .LBB231_20
; %bb.15:                               ;   in Loop: Header=BB231_13 Depth=2
	s_cmp_lt_i32 s12, 16
	s_cbranch_scc1 .LBB231_21
; %bb.16:                               ;   in Loop: Header=BB231_13 Depth=2
	s_cmp_lt_i32 s12, 32
	s_cbranch_scc1 .LBB231_22
; %bb.17:                               ;   in Loop: Header=BB231_13 Depth=2
	v_mov_b32_e32 v18, v17
	s_cmp_eq_u32 s12, 32
	s_cbranch_scc0 .LBB231_19
; %bb.18:                               ;   in Loop: Header=BB231_13 Depth=2
	s_delay_alu instid0(VALU_DEP_1) | instskip(NEXT) | instid1(VALU_DEP_1)
	v_mov_b32_dpp v18, v17 quad_perm:[1,0,3,2] row_mask:0xf bank_mask:0xf
	v_cmp_gt_f32_e32 vcc_lo, v17, v18
	v_cndmask_b32_e32 v18, v18, v17, vcc_lo
	s_delay_alu instid0(VALU_DEP_1) | instskip(NEXT) | instid1(VALU_DEP_1)
	v_mov_b32_dpp v19, v18 quad_perm:[2,3,0,1] row_mask:0xf bank_mask:0xf
	v_cmp_gt_f32_e32 vcc_lo, v18, v19
	v_cndmask_b32_e32 v18, v19, v18, vcc_lo
	s_delay_alu instid0(VALU_DEP_1) | instskip(NEXT) | instid1(VALU_DEP_1)
	v_mov_b32_dpp v19, v18 row_xmask:7 row_mask:0xf bank_mask:0xf
	v_cmp_gt_f32_e32 vcc_lo, v18, v19
	v_cndmask_b32_e32 v18, v19, v18, vcc_lo
	s_delay_alu instid0(VALU_DEP_1) | instskip(NEXT) | instid1(VALU_DEP_1)
	v_mov_b32_dpp v19, v18 row_xmask:15 row_mask:0xf bank_mask:0xf
	v_cmp_gt_f32_e32 vcc_lo, v18, v19
	v_cndmask_b32_e32 v18, v19, v18, vcc_lo
	s_delay_alu instid0(VALU_DEP_1) | instskip(NEXT) | instid1(VALU_DEP_1)
	v_permlanex16_b32 v19, v18, s14, 0xfedcba98 op_sel:[1,1]
	v_cmp_gt_f32_e32 vcc_lo, v18, v19
	v_cndmask_b32_e32 v18, v19, v18, vcc_lo
.LBB231_19:                             ;   in Loop: Header=BB231_13 Depth=2
	s_cbranch_execz .LBB231_23
	s_branch .LBB231_25
.LBB231_20:                             ;   in Loop: Header=BB231_13 Depth=2
                                        ; implicit-def: $vgpr18
	s_branch .LBB231_29
.LBB231_21:                             ;   in Loop: Header=BB231_13 Depth=2
                                        ; implicit-def: $vgpr18
	s_branch .LBB231_26
.LBB231_22:                             ;   in Loop: Header=BB231_13 Depth=2
                                        ; implicit-def: $vgpr18
.LBB231_23:                             ;   in Loop: Header=BB231_13 Depth=2
	v_mov_b32_e32 v18, v17
	s_cmp_eq_u32 s12, 16
	s_cbranch_scc0 .LBB231_25
; %bb.24:                               ;   in Loop: Header=BB231_13 Depth=2
	s_delay_alu instid0(VALU_DEP_1) | instskip(NEXT) | instid1(VALU_DEP_1)
	v_mov_b32_dpp v18, v17 quad_perm:[1,0,3,2] row_mask:0xf bank_mask:0xf
	v_cmp_gt_f32_e32 vcc_lo, v17, v18
	v_cndmask_b32_e32 v18, v18, v17, vcc_lo
	s_delay_alu instid0(VALU_DEP_1) | instskip(NEXT) | instid1(VALU_DEP_1)
	v_mov_b32_dpp v19, v18 quad_perm:[2,3,0,1] row_mask:0xf bank_mask:0xf
	v_cmp_gt_f32_e32 vcc_lo, v18, v19
	v_cndmask_b32_e32 v18, v19, v18, vcc_lo
	s_delay_alu instid0(VALU_DEP_1) | instskip(NEXT) | instid1(VALU_DEP_1)
	v_mov_b32_dpp v19, v18 row_half_mirror row_mask:0xf bank_mask:0xf
	v_cmp_gt_f32_e32 vcc_lo, v18, v19
	v_cndmask_b32_e32 v18, v19, v18, vcc_lo
	s_delay_alu instid0(VALU_DEP_1) | instskip(NEXT) | instid1(VALU_DEP_1)
	v_mov_b32_dpp v19, v18 row_mirror row_mask:0xf bank_mask:0xf
	v_cmp_gt_f32_e32 vcc_lo, v18, v19
	v_cndmask_b32_e32 v18, v19, v18, vcc_lo
.LBB231_25:                             ;   in Loop: Header=BB231_13 Depth=2
	s_cbranch_execnz .LBB231_28
.LBB231_26:                             ;   in Loop: Header=BB231_13 Depth=2
	v_mov_b32_e32 v18, v17
	s_cmp_eq_u32 s12, 8
	s_cbranch_scc0 .LBB231_28
; %bb.27:                               ;   in Loop: Header=BB231_13 Depth=2
	s_delay_alu instid0(VALU_DEP_1) | instskip(NEXT) | instid1(VALU_DEP_1)
	v_mov_b32_dpp v18, v17 quad_perm:[1,0,3,2] row_mask:0xf bank_mask:0xf
	v_cmp_gt_f32_e32 vcc_lo, v17, v18
	v_cndmask_b32_e32 v18, v18, v17, vcc_lo
	s_delay_alu instid0(VALU_DEP_1) | instskip(NEXT) | instid1(VALU_DEP_1)
	v_mov_b32_dpp v19, v18 quad_perm:[2,3,0,1] row_mask:0xf bank_mask:0xf
	v_cmp_gt_f32_e32 vcc_lo, v18, v19
	v_cndmask_b32_e32 v18, v19, v18, vcc_lo
	s_delay_alu instid0(VALU_DEP_1) | instskip(NEXT) | instid1(VALU_DEP_1)
	v_mov_b32_dpp v19, v18 row_half_mirror row_mask:0xf bank_mask:0xf
	v_cmp_gt_f32_e32 vcc_lo, v18, v19
	v_cndmask_b32_e32 v18, v19, v18, vcc_lo
.LBB231_28:                             ;   in Loop: Header=BB231_13 Depth=2
	s_cbranch_execnz .LBB231_37
.LBB231_29:                             ;   in Loop: Header=BB231_13 Depth=2
	s_cmp_lt_i32 s12, 4
	s_cbranch_scc1 .LBB231_32
; %bb.30:                               ;   in Loop: Header=BB231_13 Depth=2
	v_mov_b32_e32 v18, v17
	s_cmp_eq_u32 s12, 4
	s_cbranch_scc0 .LBB231_33
; %bb.31:                               ;   in Loop: Header=BB231_13 Depth=2
	s_delay_alu instid0(VALU_DEP_1) | instskip(NEXT) | instid1(VALU_DEP_1)
	v_mov_b32_dpp v18, v17 quad_perm:[1,0,3,2] row_mask:0xf bank_mask:0xf
	v_cmp_gt_f32_e32 vcc_lo, v17, v18
	v_cndmask_b32_e32 v18, v18, v17, vcc_lo
	s_delay_alu instid0(VALU_DEP_1) | instskip(NEXT) | instid1(VALU_DEP_1)
	v_mov_b32_dpp v19, v18 quad_perm:[2,3,0,1] row_mask:0xf bank_mask:0xf
	v_cmp_gt_f32_e32 vcc_lo, v18, v19
	v_cndmask_b32_e32 v18, v19, v18, vcc_lo
	s_cbranch_execz .LBB231_34
	s_branch .LBB231_37
.LBB231_32:                             ;   in Loop: Header=BB231_13 Depth=2
                                        ; implicit-def: $vgpr18
	s_branch .LBB231_34
.LBB231_33:                             ;   in Loop: Header=BB231_13 Depth=2
	s_cbranch_execnz .LBB231_37
.LBB231_34:                             ;   in Loop: Header=BB231_13 Depth=2
	s_cmp_lg_u32 s12, 2
	s_cbranch_scc1 .LBB231_36
; %bb.35:                               ;   in Loop: Header=BB231_13 Depth=2
	v_mov_b32_dpp v18, v17 quad_perm:[1,0,3,2] row_mask:0xf bank_mask:0xf
	s_delay_alu instid0(VALU_DEP_1)
	v_cmp_gt_f32_e32 vcc_lo, v17, v18
	v_cndmask_b32_e32 v17, v18, v17, vcc_lo
.LBB231_36:                             ;   in Loop: Header=BB231_13 Depth=2
	s_delay_alu instid0(VALU_DEP_1)
	v_mov_b32_e32 v18, v17
.LBB231_37:                             ;   in Loop: Header=BB231_13 Depth=2
	s_delay_alu instid0(VALU_DEP_1) | instskip(NEXT) | instid1(VALU_DEP_1)
	v_mul_f32_e32 v17, 0x3b124925, v18
	v_bfe_u32 v18, v17, 23, 8
	v_and_b32_e32 v17, 0x7fffff, v17
	s_delay_alu instid0(VALU_DEP_2) | instskip(NEXT) | instid1(VALU_DEP_2)
	v_cmp_ne_u32_e32 vcc_lo, 0xff, v18
	v_cmp_ne_u32_e64 s2, 0, v17
	s_delay_alu instid0(VALU_DEP_1)
	s_and_b32 vcc_lo, s2, vcc_lo
	v_add_co_ci_u32_e32 v17, vcc_lo, 0, v18, vcc_lo
	s_and_saveexec_b32 s2, s37
	s_cbranch_execz .LBB231_39
; %bb.38:                               ;   in Loop: Header=BB231_13 Depth=2
	s_ashr_i32 s24, s40, 31
	s_delay_alu instid0(SALU_CYCLE_1)
	s_lshr_b32 s25, s24, 27
	s_lshr_b32 s24, s24, 28
	s_add_i32 s25, s40, s25
	s_add_i32 s24, s40, s24
	s_and_b32 s31, s25, 0xffe0
	s_and_b32 s24, s24, 0x3ffffff0
	s_sub_i32 s31, s40, s31
	s_sub_i32 s24, s40, s24
	s_bfe_i32 s42, s31, 0x80000
	s_lshl_b32 s24, s24, 2
	v_lshrrev_b16 v18, 11, s42
	s_delay_alu instid0(VALU_DEP_1) | instskip(NEXT) | instid1(VALU_DEP_1)
	v_and_b32_e32 v18, 15, v18
	v_add_nc_u16 v18, s31, v18
	s_delay_alu instid0(VALU_DEP_1) | instskip(NEXT) | instid1(VALU_DEP_1)
	v_bfe_i32 v18, v18, 0, 8
	v_ashrrev_i16 v18, 4, v18
	s_delay_alu instid0(VALU_DEP_1) | instskip(NEXT) | instid1(VALU_DEP_1)
	v_bfe_i32 v18, v18, 0, 16
	v_add_nc_u32_e32 v18, s24, v18
	s_ashr_i32 s24, s25, 5
	s_delay_alu instid0(SALU_CYCLE_1)
	s_mul_i32 s24, s33, s24
	s_delay_alu instid0(VALU_DEP_1) | instid1(SALU_CYCLE_1)
	v_add3_u32 v18, v18, s24, v7
	s_delay_alu instid0(VALU_DEP_1) | instskip(SKIP_1) | instid1(VALU_DEP_2)
	v_ashrrev_i32_e32 v19, 31, v18
	v_add_co_u32 v18, vcc_lo, s18, v18
	v_add_co_ci_u32_e32 v19, vcc_lo, s19, v19, vcc_lo
	global_store_b8 v[18:19], v17, off
.LBB231_39:                             ;   in Loop: Header=BB231_13 Depth=2
	s_or_b32 exec_lo, exec_lo, s2
	s_cmp_ge_i32 s29, s11
	s_cselect_b32 s2, -1, 0
	s_delay_alu instid0(SALU_CYCLE_1) | instskip(NEXT) | instid1(SALU_CYCLE_1)
	s_and_b32 s2, s38, s2
	s_and_b32 vcc_lo, exec_lo, s2
	s_cbranch_vccnz .LBB231_11
; %bb.40:                               ;   in Loop: Header=BB231_13 Depth=2
	s_and_saveexec_b32 s2, s1
	s_cbranch_execz .LBB231_10
; %bb.41:                               ;   in Loop: Header=BB231_13 Depth=2
	v_lshlrev_b32_e32 v17, 23, v17
	s_mul_i32 s24, s28, s6
	s_mul_hi_i32 s25, s28, s6
	s_add_u32 s28, s16, s24
	s_addc_u32 s24, s17, s25
	v_rcp_f32_e32 v17, v17
	s_mov_b32 s31, s27
	s_and_b32 s29, s24, 0xffff
	s_waitcnt_depctr 0xfff
	v_mul_f32_e32 v13, v17, v13
	v_mul_f32_e32 v14, v17, v14
	;; [unrolled: 1-line block ×4, first 2 shown]
	;;#ASMSTART
	v_med3_f32 v13, v13, v4, v5
v_med3_f32 v14, v14, v4, v5
v_cvt_pk_fp8_f32 v18, v13, v14
	;;#ASMEND
	;;#ASMSTART
	v_med3_f32 v15, v15, v4, v5
v_med3_f32 v16, v16, v4, v5
v_cvt_pk_fp8_f32 v13, v15, v16
	;;#ASMEND
	v_perm_b32 v14, v13, v18, 0x5040100
	v_dual_mul_f32 v12, v17, v12 :: v_dual_and_b32 v13, 0xffffff00, v13
	v_mul_f32_e32 v9, v17, v9
	v_mul_f32_e32 v11, v17, v11
	s_delay_alu instid0(VALU_DEP_4) | instskip(NEXT) | instid1(VALU_DEP_1)
	v_lshrrev_b32_e32 v15, 16, v14
	v_and_b32_e32 v15, 0xff, v15
	s_delay_alu instid0(VALU_DEP_1)
	v_or_b32_e32 v13, v15, v13
	v_mul_f32_e32 v10, v17, v10
	;;#ASMSTART
	v_med3_f32 v12, v12, v4, v5
v_med3_f32 v9, v9, v4, v5
v_cvt_pk_fp8_f32 v15, v12, v9
	;;#ASMEND
	;;#ASMSTART
	v_med3_f32 v10, v10, v4, v5
v_med3_f32 v11, v11, v4, v5
v_cvt_pk_fp8_f32 v9, v10, v11
	;;#ASMEND
	v_lshlrev_b32_e32 v9, 16, v9
	v_lshlrev_b32_e32 v11, 16, v13
	s_delay_alu instid0(VALU_DEP_2) | instskip(NEXT) | instid1(VALU_DEP_2)
	v_and_or_b32 v10, 0xffff, v15, v9
	v_and_or_b32 v9, 0xffff, v14, v11
	buffer_store_b64 v[9:10], v2, s[28:31], 0 offen
	;;#ASMSTART
	s_nop 0
	;;#ASMEND
	s_branch .LBB231_10
.LBB231_42:
	s_nop 0
	s_sendmsg sendmsg(MSG_DEALLOC_VGPRS)
	s_endpgm
	.section	.rodata,"a",@progbits
	.p2align	6, 0x0
	.amdhsa_kernel _ZN5aiter30fused_mx_quant_moe_sort_kernelItDB8_Li256ELi8EEEvPT0_PhPKT_PKiS9_iiiiiiiii
		.amdhsa_group_segment_fixed_size 0
		.amdhsa_private_segment_fixed_size 0
		.amdhsa_kernarg_size 76
		.amdhsa_user_sgpr_count 15
		.amdhsa_user_sgpr_dispatch_ptr 0
		.amdhsa_user_sgpr_queue_ptr 0
		.amdhsa_user_sgpr_kernarg_segment_ptr 1
		.amdhsa_user_sgpr_dispatch_id 0
		.amdhsa_user_sgpr_private_segment_size 0
		.amdhsa_wavefront_size32 1
		.amdhsa_uses_dynamic_stack 0
		.amdhsa_enable_private_segment 0
		.amdhsa_system_sgpr_workgroup_id_x 1
		.amdhsa_system_sgpr_workgroup_id_y 0
		.amdhsa_system_sgpr_workgroup_id_z 0
		.amdhsa_system_sgpr_workgroup_info 0
		.amdhsa_system_vgpr_workitem_id 0
		.amdhsa_next_free_vgpr 20
		.amdhsa_next_free_sgpr 43
		.amdhsa_reserve_vcc 1
		.amdhsa_float_round_mode_32 0
		.amdhsa_float_round_mode_16_64 0
		.amdhsa_float_denorm_mode_32 3
		.amdhsa_float_denorm_mode_16_64 3
		.amdhsa_dx10_clamp 1
		.amdhsa_ieee_mode 1
		.amdhsa_fp16_overflow 0
		.amdhsa_workgroup_processor_mode 1
		.amdhsa_memory_ordered 1
		.amdhsa_forward_progress 0
		.amdhsa_shared_vgpr_count 0
		.amdhsa_exception_fp_ieee_invalid_op 0
		.amdhsa_exception_fp_denorm_src 0
		.amdhsa_exception_fp_ieee_div_zero 0
		.amdhsa_exception_fp_ieee_overflow 0
		.amdhsa_exception_fp_ieee_underflow 0
		.amdhsa_exception_fp_ieee_inexact 0
		.amdhsa_exception_int_div_zero 0
	.end_amdhsa_kernel
	.section	.text._ZN5aiter30fused_mx_quant_moe_sort_kernelItDB8_Li256ELi8EEEvPT0_PhPKT_PKiS9_iiiiiiiii,"axG",@progbits,_ZN5aiter30fused_mx_quant_moe_sort_kernelItDB8_Li256ELi8EEEvPT0_PhPKT_PKiS9_iiiiiiiii,comdat
.Lfunc_end231:
	.size	_ZN5aiter30fused_mx_quant_moe_sort_kernelItDB8_Li256ELi8EEEvPT0_PhPKT_PKiS9_iiiiiiiii, .Lfunc_end231-_ZN5aiter30fused_mx_quant_moe_sort_kernelItDB8_Li256ELi8EEEvPT0_PhPKT_PKiS9_iiiiiiiii
                                        ; -- End function
	.section	.AMDGPU.csdata,"",@progbits
; Kernel info:
; codeLenInByte = 2304
; NumSgprs: 45
; NumVgprs: 20
; ScratchSize: 0
; MemoryBound: 0
; FloatMode: 240
; IeeeMode: 1
; LDSByteSize: 0 bytes/workgroup (compile time only)
; SGPRBlocks: 5
; VGPRBlocks: 2
; NumSGPRsForWavesPerEU: 45
; NumVGPRsForWavesPerEU: 20
; Occupancy: 16
; WaveLimiterHint : 0
; COMPUTE_PGM_RSRC2:SCRATCH_EN: 0
; COMPUTE_PGM_RSRC2:USER_SGPR: 15
; COMPUTE_PGM_RSRC2:TRAP_HANDLER: 0
; COMPUTE_PGM_RSRC2:TGID_X_EN: 1
; COMPUTE_PGM_RSRC2:TGID_Y_EN: 0
; COMPUTE_PGM_RSRC2:TGID_Z_EN: 0
; COMPUTE_PGM_RSRC2:TIDIG_COMP_CNT: 0
	.section	.text._ZN5aiter30fused_mx_quant_moe_sort_kernelIDF16_DB8_Li256ELi16EEEvPT0_PhPKT_PKiS9_iiiiiiiii,"axG",@progbits,_ZN5aiter30fused_mx_quant_moe_sort_kernelIDF16_DB8_Li256ELi16EEEvPT0_PhPKT_PKiS9_iiiiiiiii,comdat
	.protected	_ZN5aiter30fused_mx_quant_moe_sort_kernelIDF16_DB8_Li256ELi16EEEvPT0_PhPKT_PKiS9_iiiiiiiii ; -- Begin function _ZN5aiter30fused_mx_quant_moe_sort_kernelIDF16_DB8_Li256ELi16EEEvPT0_PhPKT_PKiS9_iiiiiiiii
	.globl	_ZN5aiter30fused_mx_quant_moe_sort_kernelIDF16_DB8_Li256ELi16EEEvPT0_PhPKT_PKiS9_iiiiiiiii
	.p2align	8
	.type	_ZN5aiter30fused_mx_quant_moe_sort_kernelIDF16_DB8_Li256ELi16EEEvPT0_PhPKT_PKiS9_iiiiiiiii,@function
_ZN5aiter30fused_mx_quant_moe_sort_kernelIDF16_DB8_Li256ELi16EEEvPT0_PhPKT_PKiS9_iiiiiiiii: ; @_ZN5aiter30fused_mx_quant_moe_sort_kernelIDF16_DB8_Li256ELi16EEEvPT0_PhPKT_PKiS9_iiiiiiiii
; %bb.0:
	s_load_b256 s[4:11], s[0:1], 0x28
	s_waitcnt lgkmcnt(0)
	s_abs_i32 s14, s6
	s_cmp_ge_i32 s15, s9
	v_cvt_f32_u32_e32 v1, s14
	s_delay_alu instid0(VALU_DEP_1) | instskip(SKIP_2) | instid1(VALU_DEP_1)
	v_rcp_iflag_f32_e32 v1, v1
	s_waitcnt_depctr 0xfff
	v_mul_f32_e32 v1, 0x4f7ffffe, v1
	v_cvt_u32_f32_e32 v1, v1
	s_delay_alu instid0(VALU_DEP_1)
	v_readfirstlane_b32 s24, v1
	s_cbranch_scc1 .LBB232_42
; %bb.1:
	s_ashr_i32 s25, s6, 31
	s_load_b256 s[16:23], s[0:1], 0x0
	s_lshr_b32 s2, s25, 28
	v_lshlrev_b32_e32 v3, 5, v0
	s_add_i32 s2, s6, s2
	s_mov_b32 s27, -1
	s_ashr_i32 s12, s2, 4
	s_clause 0x1
	s_load_b64 s[2:3], s[0:1], 0x20
	s_load_b32 s13, s[0:1], 0x48
	v_cvt_f32_u32_e32 v1, s12
	s_sub_i32 s1, 0, s14
	s_add_i32 s0, s5, s6
	s_mul_i32 s1, s1, s24
	s_add_i32 s0, s0, -1
	v_rcp_iflag_f32_e32 v1, v1
	s_mul_hi_u32 s1, s24, s1
	s_ashr_i32 s6, s0, 31
	s_abs_i32 s0, s0
	s_add_i32 s24, s24, s1
	s_xor_b32 s1, s6, s25
	s_mul_hi_u32 s6, s0, s24
	s_sub_i32 s24, 0, s12
	s_mul_i32 s25, s6, s14
	s_add_i32 s26, s6, 1
	s_waitcnt_depctr 0xfff
	v_dual_mul_f32 v1, 0x4f7ffffe, v1 :: v_dual_and_b32 v6, 31, v0
	s_sub_i32 s0, s0, s25
	s_waitcnt lgkmcnt(0)
	s_load_b32 s3, s[2:3], 0x0
	v_mov_b32_e32 v5, 0x43e00000
	v_cvt_u32_f32_e32 v1, v1
	s_delay_alu instid0(VALU_DEP_1)
	v_mul_lo_u32 v2, s24, v1
	s_sub_i32 s24, s0, s14
	s_cmp_ge_u32 s0, s14
	s_cselect_b32 s6, s26, s6
	s_cselect_b32 s0, s24, s0
	s_add_i32 s24, s6, 1
	s_cmp_ge_u32 s0, s14
	s_delay_alu instid0(VALU_DEP_1)
	v_mul_hi_u32 v4, v1, v2
	s_cselect_b32 s0, s24, s6
	s_mov_b32 s6, s5
	s_xor_b32 s0, s0, s1
	v_lshlrev_b32_e32 v2, 4, v0
	s_sub_i32 s1, s0, s1
	s_mov_b32 s14, 0x76543210
	s_add_i32 s0, s1, 7
	v_add_nc_u32_e32 v1, v1, v4
	s_ashr_i32 s24, s0, 31
	v_mov_b32_e32 v4, 0xc3e00000
	s_lshr_b32 s24, s24, 29
	s_delay_alu instid0(SALU_CYCLE_1)
	s_add_i32 s24, s0, s24
	v_mul_hi_u32 v1, v0, v1
	s_lshl_b32 s24, s24, 5
	v_cmp_gt_i32_e64 s0, s8, v6
	s_and_b32 s33, s24, 0xffffff00
	s_cmp_gt_i32 s8, 0
	v_mul_lo_u32 v6, v6, s7
	s_cselect_b32 s34, -1, 0
	s_cmp_eq_u32 s11, 1
	v_mul_lo_u32 v7, v1, s12
	s_cselect_b32 s35, -1, 0
	s_abs_i32 s36, s7
	s_lshl_b32 s26, s5, 1
	v_cvt_f32_u32_e32 v8, s36
	s_add_i32 s2, s5, 15
	s_add_i32 s5, s5, 3
	s_ashr_i32 s24, s2, 31
	v_sub_nc_u32_e32 v7, v0, v7
	v_rcp_iflag_f32_e32 v8, v8
	v_add_nc_u32_e32 v9, 1, v1
	s_ashr_i32 s25, s5, 31
	s_lshr_b32 s24, s24, 28
	v_subrev_nc_u32_e32 v10, s12, v7
	v_cmp_le_u32_e32 vcc_lo, s12, v7
	s_lshr_b32 s25, s25, 30
	s_add_i32 s2, s2, s24
	s_add_i32 s5, s5, s25
	s_sub_i32 s28, 0, s36
	s_waitcnt_depctr 0xfff
	v_dual_mul_f32 v8, 0x4f7ffffe, v8 :: v_dual_cndmask_b32 v1, v1, v9
	v_cndmask_b32_e32 v7, v7, v10, vcc_lo
	s_ashr_i32 s24, s2, 4
	s_and_b32 s30, s5, -4
	s_xor_b32 s38, s35, -1
	v_add_nc_u32_e32 v9, 1, v1
	v_cmp_le_u32_e32 vcc_lo, s12, v7
	v_cvt_u32_f32_e32 v7, v8
	s_delay_alu instid0(VALU_DEP_3) | instskip(NEXT) | instid1(VALU_DEP_2)
	v_cndmask_b32_e32 v1, v1, v9, vcc_lo
	v_readfirstlane_b32 s25, v7
	s_delay_alu instid0(VALU_DEP_2)
	v_mul_lo_u32 v8, v1, s12
	v_lshlrev_b32_e32 v7, 5, v1
	v_lshlrev_b32_e32 v9, 6, v1
	v_lshrrev_b32_e32 v10, 1, v1
	v_cmp_gt_i32_e32 vcc_lo, s1, v1
	s_mul_i32 s28, s28, s25
	v_and_b32_e32 v7, 0x7f00, v7
	v_and_b32_e32 v9, 0xc0, v9
	;; [unrolled: 1-line block ×3, first 2 shown]
	v_sub_nc_u32_e32 v8, v0, v8
	v_cmp_gt_u32_e64 s1, s24, v0
	s_mul_hi_u32 s5, s25, s28
                                        ; implicit-def: $vgpr1
	s_delay_alu instid0(VALU_DEP_3) | instskip(NEXT) | instid1(VALU_DEP_3)
	v_or3_b32 v7, v9, v7, v10
	v_cmp_eq_u32_e64 s2, 0, v8
	s_add_i32 s5, s25, s5
	s_delay_alu instid0(VALU_DEP_1)
	s_and_b32 s37, s2, vcc_lo
	s_branch .LBB232_3
.LBB232_2:                              ;   in Loop: Header=BB232_3 Depth=1
	s_add_i32 s15, s15, s10
	s_delay_alu instid0(SALU_CYCLE_1) | instskip(SKIP_1) | instid1(SALU_CYCLE_1)
	s_cmp_lt_i32 s15, s9
	s_cselect_b32 s2, -1, 0
	s_and_b32 s2, s39, s2
	s_delay_alu instid0(SALU_CYCLE_1)
	s_and_b32 vcc_lo, exec_lo, s2
	s_cbranch_vccz .LBB232_42
.LBB232_3:                              ; =>This Loop Header: Depth=1
                                        ;     Child Loop BB232_13 Depth 2
	s_abs_i32 s2, s15
	s_delay_alu instid0(SALU_CYCLE_1) | instskip(NEXT) | instid1(SALU_CYCLE_1)
	s_mul_hi_u32 s24, s2, s5
	s_mul_i32 s24, s24, s36
	s_delay_alu instid0(SALU_CYCLE_1) | instskip(SKIP_4) | instid1(SALU_CYCLE_1)
	s_sub_i32 s24, s2, s24
	s_ashr_i32 s2, s15, 31
	s_sub_i32 s25, s24, s36
	s_cmp_ge_u32 s24, s36
	s_cselect_b32 s24, s25, s24
	s_sub_i32 s25, s24, s36
	s_cmp_ge_u32 s24, s36
	s_cselect_b32 s24, s25, s24
	s_delay_alu instid0(SALU_CYCLE_1) | instskip(NEXT) | instid1(SALU_CYCLE_1)
	s_xor_b32 s24, s24, s2
	s_sub_i32 s25, s24, s2
	s_delay_alu instid0(SALU_CYCLE_1) | instskip(NEXT) | instid1(SALU_CYCLE_1)
	s_sub_i32 s28, s15, s25
	s_mul_i32 s28, s28, s8
	s_delay_alu instid0(SALU_CYCLE_1)
	s_add_i32 s28, s28, s25
	s_waitcnt lgkmcnt(0)
	s_cmp_lt_i32 s28, s3
	s_cselect_b32 s39, -1, 0
	s_cmp_ge_i32 s28, s3
	s_cbranch_scc1 .LBB232_2
; %bb.4:                                ;   in Loop: Header=BB232_3 Depth=1
	s_and_saveexec_b32 s25, s0
	s_cbranch_execz .LBB232_8
; %bb.5:                                ;   in Loop: Header=BB232_3 Depth=1
	s_waitcnt vmcnt(0)
	v_dual_mov_b32 v1, s4 :: v_dual_add_nc_u32 v0, s28, v6
	s_mov_b32 s28, exec_lo
	s_delay_alu instid0(VALU_DEP_1)
	v_cmpx_gt_i32_e64 s3, v0
	s_cbranch_execz .LBB232_7
; %bb.6:                                ;   in Loop: Header=BB232_3 Depth=1
	v_ashrrev_i32_e32 v1, 31, v0
	s_delay_alu instid0(VALU_DEP_1) | instskip(NEXT) | instid1(VALU_DEP_1)
	v_lshlrev_b64 v[0:1], 2, v[0:1]
	v_add_co_u32 v0, vcc_lo, s22, v0
	s_delay_alu instid0(VALU_DEP_2)
	v_add_co_ci_u32_e32 v1, vcc_lo, s23, v1, vcc_lo
	global_load_b32 v1, v[0:1], off
.LBB232_7:                              ;   in Loop: Header=BB232_3 Depth=1
	s_or_b32 exec_lo, exec_lo, s28
.LBB232_8:                              ;   in Loop: Header=BB232_3 Depth=1
	s_delay_alu instid0(SALU_CYCLE_1) | instskip(NEXT) | instid1(SALU_CYCLE_1)
	s_or_b32 exec_lo, exec_lo, s25
	s_and_not1_b32 vcc_lo, exec_lo, s34
	s_cbranch_vccnz .LBB232_2
; %bb.9:                                ;   in Loop: Header=BB232_3 Depth=1
	s_add_i32 s25, s15, s2
	s_waitcnt vmcnt(0)
	v_and_b32_e32 v0, 0xffffff, v1
	s_sub_i32 s25, s25, s24
	v_ashrrev_i32_e32 v8, 24, v1
	s_mul_i32 s25, s8, s25
	s_mov_b32 s41, 0
	s_add_i32 s24, s24, s25
	s_delay_alu instid0(SALU_CYCLE_1)
	s_sub_i32 s40, s24, s2
	s_branch .LBB232_13
.LBB232_10:                             ;   in Loop: Header=BB232_13 Depth=2
	s_or_b32 exec_lo, exec_lo, s2
.LBB232_11:                             ;   in Loop: Header=BB232_13 Depth=2
	s_add_i32 s41, s41, 1
	s_add_i32 s40, s40, s7
	s_cmp_eq_u32 s8, s41
	s_cselect_b32 s2, -1, 0
.LBB232_12:                             ;   in Loop: Header=BB232_13 Depth=2
	s_delay_alu instid0(SALU_CYCLE_1)
	s_and_b32 vcc_lo, exec_lo, s2
	s_cbranch_vccnz .LBB232_2
.LBB232_13:                             ;   Parent Loop BB232_3 Depth=1
                                        ; =>  This Inner Loop Header: Depth=2
	v_readlane_b32 s24, v0, s41
	v_readlane_b32 s29, v8, s41
	s_mov_b32 s2, -1
	s_delay_alu instid0(VALU_DEP_2)
	s_cmp_ge_i32 s24, s4
	s_cbranch_scc1 .LBB232_12
; %bb.14:                               ;   in Loop: Header=BB232_13 Depth=2
	s_mul_i32 s2, s24, s11
	s_delay_alu instid0(SALU_CYCLE_1) | instskip(SKIP_2) | instid1(SALU_CYCLE_1)
	s_add_i32 s2, s2, s29
	s_and_b32 s25, s35, exec_lo
	s_cselect_b32 s28, s24, s2
	s_mul_hi_i32 s25, s28, s13
	s_mul_i32 s24, s28, s13
	s_delay_alu instid0(SALU_CYCLE_1) | instskip(NEXT) | instid1(SALU_CYCLE_1)
	s_lshl_b64 s[24:25], s[24:25], 1
	s_add_u32 s24, s20, s24
	s_addc_u32 s2, s21, s25
	s_delay_alu instid0(SALU_CYCLE_1)
	s_and_b32 s25, s2, 0xffff
	s_clause 0x1
	buffer_load_b128 v[9:12], v3, s[24:27], 0 offen
	buffer_load_b128 v[23:26], v3, s[24:27], 16 offen
	s_cmp_lt_i32 s12, 8
	s_waitcnt vmcnt(1)
	v_lshrrev_b32_e32 v13, 16, v9
	v_cvt_f32_f16_e32 v9, v9
	v_lshrrev_b32_e32 v14, 16, v10
	v_cvt_f32_f16_e32 v10, v10
	;; [unrolled: 2-line block ×4, first 2 shown]
	v_cvt_f32_f16_e32 v11, v11
	v_cvt_f32_f16_e32 v21, v16
	v_max3_f32 v14, |v9|, 0x2edbe6ff, |v15|
	v_cvt_f32_f16_e32 v19, v13
	s_waitcnt vmcnt(0)
	v_cvt_f32_f16_e32 v16, v23
	v_lshrrev_b32_e32 v17, 16, v24
	v_cvt_f32_f16_e32 v20, v24
	v_max3_f32 v13, v14, |v10|, |v18|
	v_cvt_f32_f16_e32 v14, v12
	v_lshrrev_b32_e32 v12, 16, v23
	v_cvt_f32_f16_e32 v24, v17
	v_cvt_f32_f16_e32 v22, v25
	v_max3_f32 v13, v13, |v11|, |v19|
	s_delay_alu instid0(VALU_DEP_4) | instskip(NEXT) | instid1(VALU_DEP_2)
	v_cvt_f32_f16_e32 v23, v12
	v_max3_f32 v12, v13, |v14|, |v21|
	v_lshrrev_b32_e32 v13, 16, v25
	v_lshrrev_b32_e32 v25, 16, v26
	s_delay_alu instid0(VALU_DEP_3) | instskip(NEXT) | instid1(VALU_DEP_3)
	v_max3_f32 v12, v12, |v16|, |v23|
	v_cvt_f32_f16_e32 v17, v13
	s_delay_alu instid0(VALU_DEP_2) | instskip(SKIP_1) | instid1(VALU_DEP_2)
	v_max3_f32 v13, v12, |v20|, |v24|
	v_cvt_f32_f16_e32 v12, v26
	v_max3_f32 v26, v13, |v22|, |v17|
	v_cvt_f32_f16_e32 v13, v25
	s_delay_alu instid0(VALU_DEP_1)
	v_max3_f32 v25, v26, |v12|, |v13|
	s_cbranch_scc1 .LBB232_20
; %bb.15:                               ;   in Loop: Header=BB232_13 Depth=2
	s_cmp_lt_i32 s12, 16
	s_cbranch_scc1 .LBB232_21
; %bb.16:                               ;   in Loop: Header=BB232_13 Depth=2
	s_cmp_lt_i32 s12, 32
	s_cbranch_scc1 .LBB232_22
; %bb.17:                               ;   in Loop: Header=BB232_13 Depth=2
	v_mov_b32_e32 v26, v25
	s_cmp_eq_u32 s12, 32
	s_cbranch_scc0 .LBB232_19
; %bb.18:                               ;   in Loop: Header=BB232_13 Depth=2
	s_delay_alu instid0(VALU_DEP_1) | instskip(NEXT) | instid1(VALU_DEP_1)
	v_mov_b32_dpp v26, v25 quad_perm:[1,0,3,2] row_mask:0xf bank_mask:0xf
	v_cmp_gt_f32_e32 vcc_lo, v25, v26
	v_cndmask_b32_e32 v26, v26, v25, vcc_lo
	s_delay_alu instid0(VALU_DEP_1) | instskip(NEXT) | instid1(VALU_DEP_1)
	v_mov_b32_dpp v27, v26 quad_perm:[2,3,0,1] row_mask:0xf bank_mask:0xf
	v_cmp_gt_f32_e32 vcc_lo, v26, v27
	v_cndmask_b32_e32 v26, v27, v26, vcc_lo
	s_delay_alu instid0(VALU_DEP_1) | instskip(NEXT) | instid1(VALU_DEP_1)
	v_mov_b32_dpp v27, v26 row_xmask:7 row_mask:0xf bank_mask:0xf
	v_cmp_gt_f32_e32 vcc_lo, v26, v27
	v_cndmask_b32_e32 v26, v27, v26, vcc_lo
	s_delay_alu instid0(VALU_DEP_1) | instskip(NEXT) | instid1(VALU_DEP_1)
	v_mov_b32_dpp v27, v26 row_xmask:15 row_mask:0xf bank_mask:0xf
	v_cmp_gt_f32_e32 vcc_lo, v26, v27
	v_cndmask_b32_e32 v26, v27, v26, vcc_lo
	s_delay_alu instid0(VALU_DEP_1) | instskip(NEXT) | instid1(VALU_DEP_1)
	v_permlanex16_b32 v27, v26, s14, 0xfedcba98 op_sel:[1,1]
	v_cmp_gt_f32_e32 vcc_lo, v26, v27
	v_cndmask_b32_e32 v26, v27, v26, vcc_lo
.LBB232_19:                             ;   in Loop: Header=BB232_13 Depth=2
	s_cbranch_execz .LBB232_23
	s_branch .LBB232_25
.LBB232_20:                             ;   in Loop: Header=BB232_13 Depth=2
                                        ; implicit-def: $vgpr26
	s_branch .LBB232_29
.LBB232_21:                             ;   in Loop: Header=BB232_13 Depth=2
                                        ; implicit-def: $vgpr26
	s_branch .LBB232_26
.LBB232_22:                             ;   in Loop: Header=BB232_13 Depth=2
                                        ; implicit-def: $vgpr26
.LBB232_23:                             ;   in Loop: Header=BB232_13 Depth=2
	v_mov_b32_e32 v26, v25
	s_cmp_eq_u32 s12, 16
	s_cbranch_scc0 .LBB232_25
; %bb.24:                               ;   in Loop: Header=BB232_13 Depth=2
	s_delay_alu instid0(VALU_DEP_1) | instskip(NEXT) | instid1(VALU_DEP_1)
	v_mov_b32_dpp v26, v25 quad_perm:[1,0,3,2] row_mask:0xf bank_mask:0xf
	v_cmp_gt_f32_e32 vcc_lo, v25, v26
	v_cndmask_b32_e32 v26, v26, v25, vcc_lo
	s_delay_alu instid0(VALU_DEP_1) | instskip(NEXT) | instid1(VALU_DEP_1)
	v_mov_b32_dpp v27, v26 quad_perm:[2,3,0,1] row_mask:0xf bank_mask:0xf
	v_cmp_gt_f32_e32 vcc_lo, v26, v27
	v_cndmask_b32_e32 v26, v27, v26, vcc_lo
	s_delay_alu instid0(VALU_DEP_1) | instskip(NEXT) | instid1(VALU_DEP_1)
	v_mov_b32_dpp v27, v26 row_half_mirror row_mask:0xf bank_mask:0xf
	v_cmp_gt_f32_e32 vcc_lo, v26, v27
	v_cndmask_b32_e32 v26, v27, v26, vcc_lo
	s_delay_alu instid0(VALU_DEP_1) | instskip(NEXT) | instid1(VALU_DEP_1)
	v_mov_b32_dpp v27, v26 row_mirror row_mask:0xf bank_mask:0xf
	v_cmp_gt_f32_e32 vcc_lo, v26, v27
	v_cndmask_b32_e32 v26, v27, v26, vcc_lo
.LBB232_25:                             ;   in Loop: Header=BB232_13 Depth=2
	s_cbranch_execnz .LBB232_28
.LBB232_26:                             ;   in Loop: Header=BB232_13 Depth=2
	v_mov_b32_e32 v26, v25
	s_cmp_eq_u32 s12, 8
	s_cbranch_scc0 .LBB232_28
; %bb.27:                               ;   in Loop: Header=BB232_13 Depth=2
	s_delay_alu instid0(VALU_DEP_1) | instskip(NEXT) | instid1(VALU_DEP_1)
	v_mov_b32_dpp v26, v25 quad_perm:[1,0,3,2] row_mask:0xf bank_mask:0xf
	v_cmp_gt_f32_e32 vcc_lo, v25, v26
	v_cndmask_b32_e32 v26, v26, v25, vcc_lo
	s_delay_alu instid0(VALU_DEP_1) | instskip(NEXT) | instid1(VALU_DEP_1)
	v_mov_b32_dpp v27, v26 quad_perm:[2,3,0,1] row_mask:0xf bank_mask:0xf
	v_cmp_gt_f32_e32 vcc_lo, v26, v27
	v_cndmask_b32_e32 v26, v27, v26, vcc_lo
	s_delay_alu instid0(VALU_DEP_1) | instskip(NEXT) | instid1(VALU_DEP_1)
	v_mov_b32_dpp v27, v26 row_half_mirror row_mask:0xf bank_mask:0xf
	v_cmp_gt_f32_e32 vcc_lo, v26, v27
	v_cndmask_b32_e32 v26, v27, v26, vcc_lo
.LBB232_28:                             ;   in Loop: Header=BB232_13 Depth=2
	s_cbranch_execnz .LBB232_37
.LBB232_29:                             ;   in Loop: Header=BB232_13 Depth=2
	s_cmp_lt_i32 s12, 4
	s_cbranch_scc1 .LBB232_32
; %bb.30:                               ;   in Loop: Header=BB232_13 Depth=2
	v_mov_b32_e32 v26, v25
	s_cmp_eq_u32 s12, 4
	s_cbranch_scc0 .LBB232_33
; %bb.31:                               ;   in Loop: Header=BB232_13 Depth=2
	s_delay_alu instid0(VALU_DEP_1) | instskip(NEXT) | instid1(VALU_DEP_1)
	v_mov_b32_dpp v26, v25 quad_perm:[1,0,3,2] row_mask:0xf bank_mask:0xf
	v_cmp_gt_f32_e32 vcc_lo, v25, v26
	v_cndmask_b32_e32 v26, v26, v25, vcc_lo
	s_delay_alu instid0(VALU_DEP_1) | instskip(NEXT) | instid1(VALU_DEP_1)
	v_mov_b32_dpp v27, v26 quad_perm:[2,3,0,1] row_mask:0xf bank_mask:0xf
	v_cmp_gt_f32_e32 vcc_lo, v26, v27
	v_cndmask_b32_e32 v26, v27, v26, vcc_lo
	s_cbranch_execz .LBB232_34
	s_branch .LBB232_37
.LBB232_32:                             ;   in Loop: Header=BB232_13 Depth=2
                                        ; implicit-def: $vgpr26
	s_branch .LBB232_34
.LBB232_33:                             ;   in Loop: Header=BB232_13 Depth=2
	s_cbranch_execnz .LBB232_37
.LBB232_34:                             ;   in Loop: Header=BB232_13 Depth=2
	s_cmp_lg_u32 s12, 2
	s_cbranch_scc1 .LBB232_36
; %bb.35:                               ;   in Loop: Header=BB232_13 Depth=2
	v_mov_b32_dpp v26, v25 quad_perm:[1,0,3,2] row_mask:0xf bank_mask:0xf
	s_delay_alu instid0(VALU_DEP_1)
	v_cmp_gt_f32_e32 vcc_lo, v25, v26
	v_cndmask_b32_e32 v25, v26, v25, vcc_lo
.LBB232_36:                             ;   in Loop: Header=BB232_13 Depth=2
	s_delay_alu instid0(VALU_DEP_1)
	v_mov_b32_e32 v26, v25
.LBB232_37:                             ;   in Loop: Header=BB232_13 Depth=2
	s_delay_alu instid0(VALU_DEP_1) | instskip(NEXT) | instid1(VALU_DEP_1)
	v_mul_f32_e32 v25, 0x3b124925, v26
	v_bfe_u32 v26, v25, 23, 8
	v_and_b32_e32 v25, 0x7fffff, v25
	s_delay_alu instid0(VALU_DEP_2) | instskip(NEXT) | instid1(VALU_DEP_2)
	v_cmp_ne_u32_e32 vcc_lo, 0xff, v26
	v_cmp_ne_u32_e64 s2, 0, v25
	s_delay_alu instid0(VALU_DEP_1)
	s_and_b32 vcc_lo, s2, vcc_lo
	v_add_co_ci_u32_e32 v25, vcc_lo, 0, v26, vcc_lo
	s_and_saveexec_b32 s2, s37
	s_cbranch_execz .LBB232_39
; %bb.38:                               ;   in Loop: Header=BB232_13 Depth=2
	s_ashr_i32 s24, s40, 31
	s_delay_alu instid0(SALU_CYCLE_1)
	s_lshr_b32 s25, s24, 27
	s_lshr_b32 s24, s24, 28
	s_add_i32 s25, s40, s25
	s_add_i32 s24, s40, s24
	s_and_b32 s31, s25, 0xffe0
	s_and_b32 s24, s24, 0x3ffffff0
	s_sub_i32 s31, s40, s31
	s_sub_i32 s24, s40, s24
	s_bfe_i32 s42, s31, 0x80000
	s_lshl_b32 s24, s24, 2
	v_lshrrev_b16 v26, 11, s42
	s_delay_alu instid0(VALU_DEP_1) | instskip(NEXT) | instid1(VALU_DEP_1)
	v_and_b32_e32 v26, 15, v26
	v_add_nc_u16 v26, s31, v26
	s_delay_alu instid0(VALU_DEP_1) | instskip(NEXT) | instid1(VALU_DEP_1)
	v_bfe_i32 v26, v26, 0, 8
	v_ashrrev_i16 v26, 4, v26
	s_delay_alu instid0(VALU_DEP_1) | instskip(NEXT) | instid1(VALU_DEP_1)
	v_bfe_i32 v26, v26, 0, 16
	v_add_nc_u32_e32 v26, s24, v26
	s_ashr_i32 s24, s25, 5
	s_delay_alu instid0(SALU_CYCLE_1)
	s_mul_i32 s24, s33, s24
	s_delay_alu instid0(VALU_DEP_1) | instid1(SALU_CYCLE_1)
	v_add3_u32 v26, v26, s24, v7
	s_delay_alu instid0(VALU_DEP_1) | instskip(SKIP_1) | instid1(VALU_DEP_2)
	v_ashrrev_i32_e32 v27, 31, v26
	v_add_co_u32 v26, vcc_lo, s18, v26
	v_add_co_ci_u32_e32 v27, vcc_lo, s19, v27, vcc_lo
	global_store_b8 v[26:27], v25, off
.LBB232_39:                             ;   in Loop: Header=BB232_13 Depth=2
	s_or_b32 exec_lo, exec_lo, s2
	s_cmp_ge_i32 s29, s11
	s_cselect_b32 s2, -1, 0
	s_delay_alu instid0(SALU_CYCLE_1) | instskip(NEXT) | instid1(SALU_CYCLE_1)
	s_and_b32 s2, s38, s2
	s_and_b32 vcc_lo, exec_lo, s2
	s_cbranch_vccnz .LBB232_11
; %bb.40:                               ;   in Loop: Header=BB232_13 Depth=2
	s_and_saveexec_b32 s2, s1
	s_cbranch_execz .LBB232_10
; %bb.41:                               ;   in Loop: Header=BB232_13 Depth=2
	v_lshlrev_b32_e32 v25, 23, v25
	s_mul_i32 s24, s28, s6
	s_mul_hi_i32 s25, s28, s6
	s_add_u32 s28, s16, s24
	s_addc_u32 s24, s17, s25
	v_rcp_f32_e32 v25, v25
	s_and_b32 s29, s24, 0xffff
	s_mov_b32 s31, s27
	s_waitcnt_depctr 0xfff
	v_mul_f32_e32 v9, v25, v9
	v_mul_f32_e32 v15, v25, v15
	;; [unrolled: 1-line block ×4, first 2 shown]
	;;#ASMSTART
	v_med3_f32 v9, v9, v4, v5
v_med3_f32 v15, v15, v4, v5
v_cvt_pk_fp8_f32 v26, v9, v15
	;;#ASMEND
	;;#ASMSTART
	v_med3_f32 v10, v10, v4, v5
v_med3_f32 v18, v18, v4, v5
v_cvt_pk_fp8_f32 v9, v10, v18
	;;#ASMEND
	v_perm_b32 v15, v9, v26, 0x5040100
	v_mul_f32_e32 v11, v25, v11
	v_mul_f32_e32 v19, v25, v19
	;; [unrolled: 1-line block ×4, first 2 shown]
	;;#ASMSTART
	v_med3_f32 v11, v11, v4, v5
v_med3_f32 v19, v19, v4, v5
v_cvt_pk_fp8_f32 v10, v11, v19
	;;#ASMEND
	v_mul_f32_e32 v16, v25, v16
	v_mul_f32_e32 v23, v25, v23
	v_mul_f32_e32 v20, v25, v20
	v_mul_f32_e32 v24, v25, v24
	;;#ASMSTART
	v_med3_f32 v14, v14, v4, v5
v_med3_f32 v21, v21, v4, v5
v_cvt_pk_fp8_f32 v11, v14, v21
	;;#ASMEND
	v_mul_f32_e32 v22, v25, v22
	v_mul_f32_e32 v17, v25, v17
	v_perm_b32 v10, v10, v11, 0x1000504
	v_mul_f32_e32 v12, v25, v12
	v_mul_f32_e32 v13, v25, v13
	;;#ASMSTART
	v_med3_f32 v16, v16, v4, v5
v_med3_f32 v23, v23, v4, v5
v_cvt_pk_fp8_f32 v11, v16, v23
	;;#ASMEND
	;;#ASMSTART
	v_med3_f32 v20, v20, v4, v5
v_med3_f32 v24, v24, v4, v5
v_cvt_pk_fp8_f32 v14, v20, v24
	;;#ASMEND
	v_perm_b32 v9, v15, v9, 0x1060504
	v_perm_b32 v11, v11, v14, 0x1000504
	;;#ASMSTART
	v_med3_f32 v22, v22, v4, v5
v_med3_f32 v17, v17, v4, v5
v_cvt_pk_fp8_f32 v14, v22, v17
	;;#ASMEND
	;;#ASMSTART
	v_med3_f32 v12, v12, v4, v5
v_med3_f32 v13, v13, v4, v5
v_cvt_pk_fp8_f32 v15, v12, v13
	;;#ASMEND
	v_perm_b32 v12, v14, v15, 0x1000504
	buffer_store_b128 v[9:12], v2, s[28:31], 0 offen
	;;#ASMSTART
	s_nop 0
	;;#ASMEND
	s_branch .LBB232_10
.LBB232_42:
	s_nop 0
	s_sendmsg sendmsg(MSG_DEALLOC_VGPRS)
	s_endpgm
	.section	.rodata,"a",@progbits
	.p2align	6, 0x0
	.amdhsa_kernel _ZN5aiter30fused_mx_quant_moe_sort_kernelIDF16_DB8_Li256ELi16EEEvPT0_PhPKT_PKiS9_iiiiiiiii
		.amdhsa_group_segment_fixed_size 0
		.amdhsa_private_segment_fixed_size 0
		.amdhsa_kernarg_size 76
		.amdhsa_user_sgpr_count 15
		.amdhsa_user_sgpr_dispatch_ptr 0
		.amdhsa_user_sgpr_queue_ptr 0
		.amdhsa_user_sgpr_kernarg_segment_ptr 1
		.amdhsa_user_sgpr_dispatch_id 0
		.amdhsa_user_sgpr_private_segment_size 0
		.amdhsa_wavefront_size32 1
		.amdhsa_uses_dynamic_stack 0
		.amdhsa_enable_private_segment 0
		.amdhsa_system_sgpr_workgroup_id_x 1
		.amdhsa_system_sgpr_workgroup_id_y 0
		.amdhsa_system_sgpr_workgroup_id_z 0
		.amdhsa_system_sgpr_workgroup_info 0
		.amdhsa_system_vgpr_workitem_id 0
		.amdhsa_next_free_vgpr 28
		.amdhsa_next_free_sgpr 43
		.amdhsa_reserve_vcc 1
		.amdhsa_float_round_mode_32 0
		.amdhsa_float_round_mode_16_64 0
		.amdhsa_float_denorm_mode_32 3
		.amdhsa_float_denorm_mode_16_64 3
		.amdhsa_dx10_clamp 1
		.amdhsa_ieee_mode 1
		.amdhsa_fp16_overflow 0
		.amdhsa_workgroup_processor_mode 1
		.amdhsa_memory_ordered 1
		.amdhsa_forward_progress 0
		.amdhsa_shared_vgpr_count 0
		.amdhsa_exception_fp_ieee_invalid_op 0
		.amdhsa_exception_fp_denorm_src 0
		.amdhsa_exception_fp_ieee_div_zero 0
		.amdhsa_exception_fp_ieee_overflow 0
		.amdhsa_exception_fp_ieee_underflow 0
		.amdhsa_exception_fp_ieee_inexact 0
		.amdhsa_exception_int_div_zero 0
	.end_amdhsa_kernel
	.section	.text._ZN5aiter30fused_mx_quant_moe_sort_kernelIDF16_DB8_Li256ELi16EEEvPT0_PhPKT_PKiS9_iiiiiiiii,"axG",@progbits,_ZN5aiter30fused_mx_quant_moe_sort_kernelIDF16_DB8_Li256ELi16EEEvPT0_PhPKT_PKiS9_iiiiiiiii,comdat
.Lfunc_end232:
	.size	_ZN5aiter30fused_mx_quant_moe_sort_kernelIDF16_DB8_Li256ELi16EEEvPT0_PhPKT_PKiS9_iiiiiiiii, .Lfunc_end232-_ZN5aiter30fused_mx_quant_moe_sort_kernelIDF16_DB8_Li256ELi16EEEvPT0_PhPKT_PKiS9_iiiiiiiii
                                        ; -- End function
	.section	.AMDGPU.csdata,"",@progbits
; Kernel info:
; codeLenInByte = 2628
; NumSgprs: 45
; NumVgprs: 28
; ScratchSize: 0
; MemoryBound: 0
; FloatMode: 240
; IeeeMode: 1
; LDSByteSize: 0 bytes/workgroup (compile time only)
; SGPRBlocks: 5
; VGPRBlocks: 3
; NumSGPRsForWavesPerEU: 45
; NumVGPRsForWavesPerEU: 28
; Occupancy: 16
; WaveLimiterHint : 0
; COMPUTE_PGM_RSRC2:SCRATCH_EN: 0
; COMPUTE_PGM_RSRC2:USER_SGPR: 15
; COMPUTE_PGM_RSRC2:TRAP_HANDLER: 0
; COMPUTE_PGM_RSRC2:TGID_X_EN: 1
; COMPUTE_PGM_RSRC2:TGID_Y_EN: 0
; COMPUTE_PGM_RSRC2:TGID_Z_EN: 0
; COMPUTE_PGM_RSRC2:TIDIG_COMP_CNT: 0
	.section	.text._ZN5aiter30fused_mx_quant_moe_sort_kernelItDB8_Li256ELi16EEEvPT0_PhPKT_PKiS9_iiiiiiiii,"axG",@progbits,_ZN5aiter30fused_mx_quant_moe_sort_kernelItDB8_Li256ELi16EEEvPT0_PhPKT_PKiS9_iiiiiiiii,comdat
	.protected	_ZN5aiter30fused_mx_quant_moe_sort_kernelItDB8_Li256ELi16EEEvPT0_PhPKT_PKiS9_iiiiiiiii ; -- Begin function _ZN5aiter30fused_mx_quant_moe_sort_kernelItDB8_Li256ELi16EEEvPT0_PhPKT_PKiS9_iiiiiiiii
	.globl	_ZN5aiter30fused_mx_quant_moe_sort_kernelItDB8_Li256ELi16EEEvPT0_PhPKT_PKiS9_iiiiiiiii
	.p2align	8
	.type	_ZN5aiter30fused_mx_quant_moe_sort_kernelItDB8_Li256ELi16EEEvPT0_PhPKT_PKiS9_iiiiiiiii,@function
_ZN5aiter30fused_mx_quant_moe_sort_kernelItDB8_Li256ELi16EEEvPT0_PhPKT_PKiS9_iiiiiiiii: ; @_ZN5aiter30fused_mx_quant_moe_sort_kernelItDB8_Li256ELi16EEEvPT0_PhPKT_PKiS9_iiiiiiiii
; %bb.0:
	s_load_b256 s[4:11], s[0:1], 0x28
	s_waitcnt lgkmcnt(0)
	s_abs_i32 s14, s6
	s_cmp_ge_i32 s15, s9
	v_cvt_f32_u32_e32 v1, s14
	s_delay_alu instid0(VALU_DEP_1) | instskip(SKIP_2) | instid1(VALU_DEP_1)
	v_rcp_iflag_f32_e32 v1, v1
	s_waitcnt_depctr 0xfff
	v_mul_f32_e32 v1, 0x4f7ffffe, v1
	v_cvt_u32_f32_e32 v1, v1
	s_delay_alu instid0(VALU_DEP_1)
	v_readfirstlane_b32 s24, v1
	s_cbranch_scc1 .LBB233_42
; %bb.1:
	s_ashr_i32 s25, s6, 31
	s_load_b256 s[16:23], s[0:1], 0x0
	s_lshr_b32 s2, s25, 28
	v_lshlrev_b32_e32 v3, 5, v0
	s_add_i32 s2, s6, s2
	s_mov_b32 s27, -1
	s_ashr_i32 s12, s2, 4
	s_clause 0x1
	s_load_b64 s[2:3], s[0:1], 0x20
	s_load_b32 s13, s[0:1], 0x48
	v_cvt_f32_u32_e32 v1, s12
	s_sub_i32 s1, 0, s14
	s_add_i32 s0, s5, s6
	s_mul_i32 s1, s1, s24
	s_add_i32 s0, s0, -1
	v_rcp_iflag_f32_e32 v1, v1
	s_mul_hi_u32 s1, s24, s1
	s_ashr_i32 s6, s0, 31
	s_abs_i32 s0, s0
	s_add_i32 s24, s24, s1
	s_xor_b32 s1, s6, s25
	s_mul_hi_u32 s6, s0, s24
	s_sub_i32 s24, 0, s12
	s_mul_i32 s25, s6, s14
	s_add_i32 s26, s6, 1
	s_waitcnt_depctr 0xfff
	v_dual_mul_f32 v1, 0x4f7ffffe, v1 :: v_dual_and_b32 v6, 31, v0
	s_sub_i32 s0, s0, s25
	s_waitcnt lgkmcnt(0)
	s_load_b32 s3, s[2:3], 0x0
	v_mov_b32_e32 v5, 0x43e00000
	v_cvt_u32_f32_e32 v1, v1
	s_delay_alu instid0(VALU_DEP_1)
	v_mul_lo_u32 v2, s24, v1
	s_sub_i32 s24, s0, s14
	s_cmp_ge_u32 s0, s14
	s_cselect_b32 s6, s26, s6
	s_cselect_b32 s0, s24, s0
	s_add_i32 s24, s6, 1
	s_cmp_ge_u32 s0, s14
	s_delay_alu instid0(VALU_DEP_1)
	v_mul_hi_u32 v4, v1, v2
	s_cselect_b32 s0, s24, s6
	s_mov_b32 s6, s5
	s_xor_b32 s0, s0, s1
	v_lshlrev_b32_e32 v2, 4, v0
	s_sub_i32 s1, s0, s1
	s_mov_b32 s14, 0x76543210
	s_add_i32 s0, s1, 7
	v_add_nc_u32_e32 v1, v1, v4
	s_ashr_i32 s24, s0, 31
	v_mov_b32_e32 v4, 0xc3e00000
	s_lshr_b32 s24, s24, 29
	s_delay_alu instid0(SALU_CYCLE_1)
	s_add_i32 s24, s0, s24
	v_mul_hi_u32 v1, v0, v1
	s_lshl_b32 s24, s24, 5
	v_cmp_gt_i32_e64 s0, s8, v6
	s_and_b32 s33, s24, 0xffffff00
	s_cmp_gt_i32 s8, 0
	v_mul_lo_u32 v6, v6, s7
	s_cselect_b32 s34, -1, 0
	s_cmp_eq_u32 s11, 1
	v_mul_lo_u32 v7, v1, s12
	s_cselect_b32 s35, -1, 0
	s_abs_i32 s36, s7
	s_lshl_b32 s26, s5, 1
	v_cvt_f32_u32_e32 v8, s36
	s_add_i32 s2, s5, 15
	s_add_i32 s5, s5, 3
	s_ashr_i32 s24, s2, 31
	v_sub_nc_u32_e32 v7, v0, v7
	v_rcp_iflag_f32_e32 v8, v8
	v_add_nc_u32_e32 v9, 1, v1
	s_ashr_i32 s25, s5, 31
	s_lshr_b32 s24, s24, 28
	v_subrev_nc_u32_e32 v10, s12, v7
	v_cmp_le_u32_e32 vcc_lo, s12, v7
	s_lshr_b32 s25, s25, 30
	s_add_i32 s2, s2, s24
	s_add_i32 s5, s5, s25
	s_sub_i32 s28, 0, s36
	s_waitcnt_depctr 0xfff
	v_dual_mul_f32 v8, 0x4f7ffffe, v8 :: v_dual_cndmask_b32 v1, v1, v9
	v_cndmask_b32_e32 v7, v7, v10, vcc_lo
	s_ashr_i32 s24, s2, 4
	s_and_b32 s30, s5, -4
	s_xor_b32 s38, s35, -1
	v_add_nc_u32_e32 v9, 1, v1
	v_cmp_le_u32_e32 vcc_lo, s12, v7
	v_cvt_u32_f32_e32 v7, v8
	s_delay_alu instid0(VALU_DEP_3) | instskip(NEXT) | instid1(VALU_DEP_2)
	v_cndmask_b32_e32 v1, v1, v9, vcc_lo
	v_readfirstlane_b32 s25, v7
	s_delay_alu instid0(VALU_DEP_2)
	v_mul_lo_u32 v8, v1, s12
	v_lshlrev_b32_e32 v7, 5, v1
	v_lshlrev_b32_e32 v9, 6, v1
	v_lshrrev_b32_e32 v10, 1, v1
	v_cmp_gt_i32_e32 vcc_lo, s1, v1
	s_mul_i32 s28, s28, s25
	v_and_b32_e32 v7, 0x7f00, v7
	v_and_b32_e32 v9, 0xc0, v9
	;; [unrolled: 1-line block ×3, first 2 shown]
	v_sub_nc_u32_e32 v8, v0, v8
	v_cmp_gt_u32_e64 s1, s24, v0
	s_mul_hi_u32 s5, s25, s28
                                        ; implicit-def: $vgpr1
	s_delay_alu instid0(VALU_DEP_3) | instskip(NEXT) | instid1(VALU_DEP_3)
	v_or3_b32 v7, v9, v7, v10
	v_cmp_eq_u32_e64 s2, 0, v8
	s_add_i32 s5, s25, s5
	s_delay_alu instid0(VALU_DEP_1)
	s_and_b32 s37, s2, vcc_lo
	s_branch .LBB233_3
.LBB233_2:                              ;   in Loop: Header=BB233_3 Depth=1
	s_add_i32 s15, s15, s10
	s_delay_alu instid0(SALU_CYCLE_1) | instskip(SKIP_1) | instid1(SALU_CYCLE_1)
	s_cmp_lt_i32 s15, s9
	s_cselect_b32 s2, -1, 0
	s_and_b32 s2, s39, s2
	s_delay_alu instid0(SALU_CYCLE_1)
	s_and_b32 vcc_lo, exec_lo, s2
	s_cbranch_vccz .LBB233_42
.LBB233_3:                              ; =>This Loop Header: Depth=1
                                        ;     Child Loop BB233_13 Depth 2
	s_abs_i32 s2, s15
	s_delay_alu instid0(SALU_CYCLE_1) | instskip(NEXT) | instid1(SALU_CYCLE_1)
	s_mul_hi_u32 s24, s2, s5
	s_mul_i32 s24, s24, s36
	s_delay_alu instid0(SALU_CYCLE_1) | instskip(SKIP_4) | instid1(SALU_CYCLE_1)
	s_sub_i32 s24, s2, s24
	s_ashr_i32 s2, s15, 31
	s_sub_i32 s25, s24, s36
	s_cmp_ge_u32 s24, s36
	s_cselect_b32 s24, s25, s24
	s_sub_i32 s25, s24, s36
	s_cmp_ge_u32 s24, s36
	s_cselect_b32 s24, s25, s24
	s_delay_alu instid0(SALU_CYCLE_1) | instskip(NEXT) | instid1(SALU_CYCLE_1)
	s_xor_b32 s24, s24, s2
	s_sub_i32 s25, s24, s2
	s_delay_alu instid0(SALU_CYCLE_1) | instskip(NEXT) | instid1(SALU_CYCLE_1)
	s_sub_i32 s28, s15, s25
	s_mul_i32 s28, s28, s8
	s_delay_alu instid0(SALU_CYCLE_1)
	s_add_i32 s28, s28, s25
	s_waitcnt lgkmcnt(0)
	s_cmp_lt_i32 s28, s3
	s_cselect_b32 s39, -1, 0
	s_cmp_ge_i32 s28, s3
	s_cbranch_scc1 .LBB233_2
; %bb.4:                                ;   in Loop: Header=BB233_3 Depth=1
	s_and_saveexec_b32 s25, s0
	s_cbranch_execz .LBB233_8
; %bb.5:                                ;   in Loop: Header=BB233_3 Depth=1
	s_waitcnt vmcnt(0)
	v_dual_mov_b32 v1, s4 :: v_dual_add_nc_u32 v0, s28, v6
	s_mov_b32 s28, exec_lo
	s_delay_alu instid0(VALU_DEP_1)
	v_cmpx_gt_i32_e64 s3, v0
	s_cbranch_execz .LBB233_7
; %bb.6:                                ;   in Loop: Header=BB233_3 Depth=1
	v_ashrrev_i32_e32 v1, 31, v0
	s_delay_alu instid0(VALU_DEP_1) | instskip(NEXT) | instid1(VALU_DEP_1)
	v_lshlrev_b64 v[0:1], 2, v[0:1]
	v_add_co_u32 v0, vcc_lo, s22, v0
	s_delay_alu instid0(VALU_DEP_2)
	v_add_co_ci_u32_e32 v1, vcc_lo, s23, v1, vcc_lo
	global_load_b32 v1, v[0:1], off
.LBB233_7:                              ;   in Loop: Header=BB233_3 Depth=1
	s_or_b32 exec_lo, exec_lo, s28
.LBB233_8:                              ;   in Loop: Header=BB233_3 Depth=1
	s_delay_alu instid0(SALU_CYCLE_1) | instskip(NEXT) | instid1(SALU_CYCLE_1)
	s_or_b32 exec_lo, exec_lo, s25
	s_and_not1_b32 vcc_lo, exec_lo, s34
	s_cbranch_vccnz .LBB233_2
; %bb.9:                                ;   in Loop: Header=BB233_3 Depth=1
	s_add_i32 s25, s15, s2
	s_waitcnt vmcnt(0)
	v_and_b32_e32 v0, 0xffffff, v1
	s_sub_i32 s25, s25, s24
	v_ashrrev_i32_e32 v8, 24, v1
	s_mul_i32 s25, s8, s25
	s_mov_b32 s41, 0
	s_add_i32 s24, s24, s25
	s_delay_alu instid0(SALU_CYCLE_1)
	s_sub_i32 s40, s24, s2
	s_branch .LBB233_13
.LBB233_10:                             ;   in Loop: Header=BB233_13 Depth=2
	s_or_b32 exec_lo, exec_lo, s2
.LBB233_11:                             ;   in Loop: Header=BB233_13 Depth=2
	s_add_i32 s41, s41, 1
	s_add_i32 s40, s40, s7
	s_cmp_eq_u32 s8, s41
	s_cselect_b32 s2, -1, 0
.LBB233_12:                             ;   in Loop: Header=BB233_13 Depth=2
	s_delay_alu instid0(SALU_CYCLE_1)
	s_and_b32 vcc_lo, exec_lo, s2
	s_cbranch_vccnz .LBB233_2
.LBB233_13:                             ;   Parent Loop BB233_3 Depth=1
                                        ; =>  This Inner Loop Header: Depth=2
	v_readlane_b32 s24, v0, s41
	v_readlane_b32 s29, v8, s41
	s_mov_b32 s2, -1
	s_delay_alu instid0(VALU_DEP_2)
	s_cmp_ge_i32 s24, s4
	s_cbranch_scc1 .LBB233_12
; %bb.14:                               ;   in Loop: Header=BB233_13 Depth=2
	s_mul_i32 s2, s24, s11
	s_delay_alu instid0(SALU_CYCLE_1) | instskip(SKIP_2) | instid1(SALU_CYCLE_1)
	s_add_i32 s2, s2, s29
	s_and_b32 s25, s35, exec_lo
	s_cselect_b32 s28, s24, s2
	s_mul_hi_i32 s25, s28, s13
	s_mul_i32 s24, s28, s13
	s_delay_alu instid0(SALU_CYCLE_1) | instskip(NEXT) | instid1(SALU_CYCLE_1)
	s_lshl_b64 s[24:25], s[24:25], 1
	s_add_u32 s24, s20, s24
	s_addc_u32 s2, s21, s25
	s_delay_alu instid0(SALU_CYCLE_1)
	s_and_b32 s25, s2, 0xffff
	s_clause 0x1
	buffer_load_b128 v[10:13], v3, s[24:27], 0 offen
	buffer_load_b128 v[22:25], v3, s[24:27], 16 offen
	s_cmp_lt_i32 s12, 8
	s_waitcnt vmcnt(1)
	v_and_b32_e32 v9, 0xffff, v10
	v_lshrrev_b32_e32 v10, 16, v10
	v_and_b32_e32 v14, 0xffff, v11
	v_lshrrev_b32_e32 v15, 16, v11
	v_and_b32_e32 v16, 0xffff, v12
	v_cvt_f32_u32_e32 v9, v9
	v_cvt_f32_u32_e32 v10, v10
	v_lshrrev_b32_e32 v17, 16, v12
	v_cvt_f32_u32_e32 v11, v14
	v_cvt_f32_u32_e32 v12, v15
	v_and_b32_e32 v18, 0xffff, v13
	v_max3_f32 v15, v9, 0x2edbe6ff, v10
	v_lshrrev_b32_e32 v19, 16, v13
	v_cvt_f32_u32_e32 v13, v16
	v_cvt_f32_u32_e32 v14, v17
	s_waitcnt vmcnt(0)
	v_and_b32_e32 v16, 0xffff, v22
	v_max3_f32 v15, v15, v11, v12
	v_lshrrev_b32_e32 v20, 16, v22
	v_cvt_f32_u32_e32 v17, v18
	v_cvt_f32_u32_e32 v18, v19
	v_and_b32_e32 v21, 0xffff, v23
	v_max3_f32 v15, v15, v13, v14
	v_lshrrev_b32_e32 v23, 16, v23
	v_cvt_f32_u32_e32 v19, v16
	v_cvt_f32_u32_e32 v20, v20
	;; [unrolled: 5-line block ×3, first 2 shown]
	v_and_b32_e32 v27, 0xffff, v25
	v_max3_f32 v15, v15, v19, v20
	v_cvt_f32_u32_e32 v24, v16
	v_cvt_f32_u32_e32 v21, v26
	v_lshrrev_b32_e32 v25, 16, v25
	s_delay_alu instid0(VALU_DEP_4) | instskip(SKIP_1) | instid1(VALU_DEP_2)
	v_max3_f32 v16, v15, v22, v23
	v_cvt_f32_u32_e32 v15, v27
	v_max3_f32 v26, v16, v24, v21
	s_delay_alu instid0(VALU_DEP_4) | instskip(NEXT) | instid1(VALU_DEP_1)
	v_cvt_f32_u32_e32 v16, v25
	v_max3_f32 v25, v26, v15, v16
	s_cbranch_scc1 .LBB233_20
; %bb.15:                               ;   in Loop: Header=BB233_13 Depth=2
	s_cmp_lt_i32 s12, 16
	s_cbranch_scc1 .LBB233_21
; %bb.16:                               ;   in Loop: Header=BB233_13 Depth=2
	s_cmp_lt_i32 s12, 32
	s_cbranch_scc1 .LBB233_22
; %bb.17:                               ;   in Loop: Header=BB233_13 Depth=2
	v_mov_b32_e32 v26, v25
	s_cmp_eq_u32 s12, 32
	s_cbranch_scc0 .LBB233_19
; %bb.18:                               ;   in Loop: Header=BB233_13 Depth=2
	s_delay_alu instid0(VALU_DEP_1) | instskip(NEXT) | instid1(VALU_DEP_1)
	v_mov_b32_dpp v26, v25 quad_perm:[1,0,3,2] row_mask:0xf bank_mask:0xf
	v_cmp_gt_f32_e32 vcc_lo, v25, v26
	v_cndmask_b32_e32 v26, v26, v25, vcc_lo
	s_delay_alu instid0(VALU_DEP_1) | instskip(NEXT) | instid1(VALU_DEP_1)
	v_mov_b32_dpp v27, v26 quad_perm:[2,3,0,1] row_mask:0xf bank_mask:0xf
	v_cmp_gt_f32_e32 vcc_lo, v26, v27
	v_cndmask_b32_e32 v26, v27, v26, vcc_lo
	s_delay_alu instid0(VALU_DEP_1) | instskip(NEXT) | instid1(VALU_DEP_1)
	v_mov_b32_dpp v27, v26 row_xmask:7 row_mask:0xf bank_mask:0xf
	v_cmp_gt_f32_e32 vcc_lo, v26, v27
	v_cndmask_b32_e32 v26, v27, v26, vcc_lo
	s_delay_alu instid0(VALU_DEP_1) | instskip(NEXT) | instid1(VALU_DEP_1)
	v_mov_b32_dpp v27, v26 row_xmask:15 row_mask:0xf bank_mask:0xf
	v_cmp_gt_f32_e32 vcc_lo, v26, v27
	v_cndmask_b32_e32 v26, v27, v26, vcc_lo
	s_delay_alu instid0(VALU_DEP_1) | instskip(NEXT) | instid1(VALU_DEP_1)
	v_permlanex16_b32 v27, v26, s14, 0xfedcba98 op_sel:[1,1]
	v_cmp_gt_f32_e32 vcc_lo, v26, v27
	v_cndmask_b32_e32 v26, v27, v26, vcc_lo
.LBB233_19:                             ;   in Loop: Header=BB233_13 Depth=2
	s_cbranch_execz .LBB233_23
	s_branch .LBB233_25
.LBB233_20:                             ;   in Loop: Header=BB233_13 Depth=2
                                        ; implicit-def: $vgpr26
	s_branch .LBB233_29
.LBB233_21:                             ;   in Loop: Header=BB233_13 Depth=2
                                        ; implicit-def: $vgpr26
	s_branch .LBB233_26
.LBB233_22:                             ;   in Loop: Header=BB233_13 Depth=2
                                        ; implicit-def: $vgpr26
.LBB233_23:                             ;   in Loop: Header=BB233_13 Depth=2
	v_mov_b32_e32 v26, v25
	s_cmp_eq_u32 s12, 16
	s_cbranch_scc0 .LBB233_25
; %bb.24:                               ;   in Loop: Header=BB233_13 Depth=2
	s_delay_alu instid0(VALU_DEP_1) | instskip(NEXT) | instid1(VALU_DEP_1)
	v_mov_b32_dpp v26, v25 quad_perm:[1,0,3,2] row_mask:0xf bank_mask:0xf
	v_cmp_gt_f32_e32 vcc_lo, v25, v26
	v_cndmask_b32_e32 v26, v26, v25, vcc_lo
	s_delay_alu instid0(VALU_DEP_1) | instskip(NEXT) | instid1(VALU_DEP_1)
	v_mov_b32_dpp v27, v26 quad_perm:[2,3,0,1] row_mask:0xf bank_mask:0xf
	v_cmp_gt_f32_e32 vcc_lo, v26, v27
	v_cndmask_b32_e32 v26, v27, v26, vcc_lo
	s_delay_alu instid0(VALU_DEP_1) | instskip(NEXT) | instid1(VALU_DEP_1)
	v_mov_b32_dpp v27, v26 row_half_mirror row_mask:0xf bank_mask:0xf
	v_cmp_gt_f32_e32 vcc_lo, v26, v27
	v_cndmask_b32_e32 v26, v27, v26, vcc_lo
	s_delay_alu instid0(VALU_DEP_1) | instskip(NEXT) | instid1(VALU_DEP_1)
	v_mov_b32_dpp v27, v26 row_mirror row_mask:0xf bank_mask:0xf
	v_cmp_gt_f32_e32 vcc_lo, v26, v27
	v_cndmask_b32_e32 v26, v27, v26, vcc_lo
.LBB233_25:                             ;   in Loop: Header=BB233_13 Depth=2
	s_cbranch_execnz .LBB233_28
.LBB233_26:                             ;   in Loop: Header=BB233_13 Depth=2
	v_mov_b32_e32 v26, v25
	s_cmp_eq_u32 s12, 8
	s_cbranch_scc0 .LBB233_28
; %bb.27:                               ;   in Loop: Header=BB233_13 Depth=2
	s_delay_alu instid0(VALU_DEP_1) | instskip(NEXT) | instid1(VALU_DEP_1)
	v_mov_b32_dpp v26, v25 quad_perm:[1,0,3,2] row_mask:0xf bank_mask:0xf
	v_cmp_gt_f32_e32 vcc_lo, v25, v26
	v_cndmask_b32_e32 v26, v26, v25, vcc_lo
	s_delay_alu instid0(VALU_DEP_1) | instskip(NEXT) | instid1(VALU_DEP_1)
	v_mov_b32_dpp v27, v26 quad_perm:[2,3,0,1] row_mask:0xf bank_mask:0xf
	v_cmp_gt_f32_e32 vcc_lo, v26, v27
	v_cndmask_b32_e32 v26, v27, v26, vcc_lo
	s_delay_alu instid0(VALU_DEP_1) | instskip(NEXT) | instid1(VALU_DEP_1)
	v_mov_b32_dpp v27, v26 row_half_mirror row_mask:0xf bank_mask:0xf
	v_cmp_gt_f32_e32 vcc_lo, v26, v27
	v_cndmask_b32_e32 v26, v27, v26, vcc_lo
.LBB233_28:                             ;   in Loop: Header=BB233_13 Depth=2
	s_cbranch_execnz .LBB233_37
.LBB233_29:                             ;   in Loop: Header=BB233_13 Depth=2
	s_cmp_lt_i32 s12, 4
	s_cbranch_scc1 .LBB233_32
; %bb.30:                               ;   in Loop: Header=BB233_13 Depth=2
	v_mov_b32_e32 v26, v25
	s_cmp_eq_u32 s12, 4
	s_cbranch_scc0 .LBB233_33
; %bb.31:                               ;   in Loop: Header=BB233_13 Depth=2
	s_delay_alu instid0(VALU_DEP_1) | instskip(NEXT) | instid1(VALU_DEP_1)
	v_mov_b32_dpp v26, v25 quad_perm:[1,0,3,2] row_mask:0xf bank_mask:0xf
	v_cmp_gt_f32_e32 vcc_lo, v25, v26
	v_cndmask_b32_e32 v26, v26, v25, vcc_lo
	s_delay_alu instid0(VALU_DEP_1) | instskip(NEXT) | instid1(VALU_DEP_1)
	v_mov_b32_dpp v27, v26 quad_perm:[2,3,0,1] row_mask:0xf bank_mask:0xf
	v_cmp_gt_f32_e32 vcc_lo, v26, v27
	v_cndmask_b32_e32 v26, v27, v26, vcc_lo
	s_cbranch_execz .LBB233_34
	s_branch .LBB233_37
.LBB233_32:                             ;   in Loop: Header=BB233_13 Depth=2
                                        ; implicit-def: $vgpr26
	s_branch .LBB233_34
.LBB233_33:                             ;   in Loop: Header=BB233_13 Depth=2
	s_cbranch_execnz .LBB233_37
.LBB233_34:                             ;   in Loop: Header=BB233_13 Depth=2
	s_cmp_lg_u32 s12, 2
	s_cbranch_scc1 .LBB233_36
; %bb.35:                               ;   in Loop: Header=BB233_13 Depth=2
	v_mov_b32_dpp v26, v25 quad_perm:[1,0,3,2] row_mask:0xf bank_mask:0xf
	s_delay_alu instid0(VALU_DEP_1)
	v_cmp_gt_f32_e32 vcc_lo, v25, v26
	v_cndmask_b32_e32 v25, v26, v25, vcc_lo
.LBB233_36:                             ;   in Loop: Header=BB233_13 Depth=2
	s_delay_alu instid0(VALU_DEP_1)
	v_mov_b32_e32 v26, v25
.LBB233_37:                             ;   in Loop: Header=BB233_13 Depth=2
	s_delay_alu instid0(VALU_DEP_1) | instskip(NEXT) | instid1(VALU_DEP_1)
	v_mul_f32_e32 v25, 0x3b124925, v26
	v_bfe_u32 v26, v25, 23, 8
	v_and_b32_e32 v25, 0x7fffff, v25
	s_delay_alu instid0(VALU_DEP_2) | instskip(NEXT) | instid1(VALU_DEP_2)
	v_cmp_ne_u32_e32 vcc_lo, 0xff, v26
	v_cmp_ne_u32_e64 s2, 0, v25
	s_delay_alu instid0(VALU_DEP_1)
	s_and_b32 vcc_lo, s2, vcc_lo
	v_add_co_ci_u32_e32 v25, vcc_lo, 0, v26, vcc_lo
	s_and_saveexec_b32 s2, s37
	s_cbranch_execz .LBB233_39
; %bb.38:                               ;   in Loop: Header=BB233_13 Depth=2
	s_ashr_i32 s24, s40, 31
	s_delay_alu instid0(SALU_CYCLE_1)
	s_lshr_b32 s25, s24, 27
	s_lshr_b32 s24, s24, 28
	s_add_i32 s25, s40, s25
	s_add_i32 s24, s40, s24
	s_and_b32 s31, s25, 0xffe0
	s_and_b32 s24, s24, 0x3ffffff0
	s_sub_i32 s31, s40, s31
	s_sub_i32 s24, s40, s24
	s_bfe_i32 s42, s31, 0x80000
	s_lshl_b32 s24, s24, 2
	v_lshrrev_b16 v26, 11, s42
	s_delay_alu instid0(VALU_DEP_1) | instskip(NEXT) | instid1(VALU_DEP_1)
	v_and_b32_e32 v26, 15, v26
	v_add_nc_u16 v26, s31, v26
	s_delay_alu instid0(VALU_DEP_1) | instskip(NEXT) | instid1(VALU_DEP_1)
	v_bfe_i32 v26, v26, 0, 8
	v_ashrrev_i16 v26, 4, v26
	s_delay_alu instid0(VALU_DEP_1) | instskip(NEXT) | instid1(VALU_DEP_1)
	v_bfe_i32 v26, v26, 0, 16
	v_add_nc_u32_e32 v26, s24, v26
	s_ashr_i32 s24, s25, 5
	s_delay_alu instid0(SALU_CYCLE_1)
	s_mul_i32 s24, s33, s24
	s_delay_alu instid0(VALU_DEP_1) | instid1(SALU_CYCLE_1)
	v_add3_u32 v26, v26, s24, v7
	s_delay_alu instid0(VALU_DEP_1) | instskip(SKIP_1) | instid1(VALU_DEP_2)
	v_ashrrev_i32_e32 v27, 31, v26
	v_add_co_u32 v26, vcc_lo, s18, v26
	v_add_co_ci_u32_e32 v27, vcc_lo, s19, v27, vcc_lo
	global_store_b8 v[26:27], v25, off
.LBB233_39:                             ;   in Loop: Header=BB233_13 Depth=2
	s_or_b32 exec_lo, exec_lo, s2
	s_cmp_ge_i32 s29, s11
	s_cselect_b32 s2, -1, 0
	s_delay_alu instid0(SALU_CYCLE_1) | instskip(NEXT) | instid1(SALU_CYCLE_1)
	s_and_b32 s2, s38, s2
	s_and_b32 vcc_lo, exec_lo, s2
	s_cbranch_vccnz .LBB233_11
; %bb.40:                               ;   in Loop: Header=BB233_13 Depth=2
	s_and_saveexec_b32 s2, s1
	s_cbranch_execz .LBB233_10
; %bb.41:                               ;   in Loop: Header=BB233_13 Depth=2
	v_lshlrev_b32_e32 v25, 23, v25
	s_mul_i32 s24, s28, s6
	s_mul_hi_i32 s25, s28, s6
	s_add_u32 s28, s16, s24
	s_addc_u32 s24, s17, s25
	v_rcp_f32_e32 v25, v25
	s_and_b32 s29, s24, 0xffff
	s_mov_b32 s31, s27
	s_waitcnt_depctr 0xfff
	v_mul_f32_e32 v9, v25, v9
	v_mul_f32_e32 v10, v25, v10
	;; [unrolled: 1-line block ×4, first 2 shown]
	;;#ASMSTART
	v_med3_f32 v9, v9, v4, v5
v_med3_f32 v10, v10, v4, v5
v_cvt_pk_fp8_f32 v26, v9, v10
	;;#ASMEND
	;;#ASMSTART
	v_med3_f32 v11, v11, v4, v5
v_med3_f32 v12, v12, v4, v5
v_cvt_pk_fp8_f32 v9, v11, v12
	;;#ASMEND
	v_perm_b32 v11, v9, v26, 0x5040100
	v_mul_f32_e32 v13, v25, v13
	v_mul_f32_e32 v14, v25, v14
	;; [unrolled: 1-line block ×4, first 2 shown]
	;;#ASMSTART
	v_med3_f32 v13, v13, v4, v5
v_med3_f32 v14, v14, v4, v5
v_cvt_pk_fp8_f32 v10, v13, v14
	;;#ASMEND
	v_mul_f32_e32 v19, v25, v19
	v_mul_f32_e32 v20, v25, v20
	;; [unrolled: 1-line block ×4, first 2 shown]
	;;#ASMSTART
	v_med3_f32 v17, v17, v4, v5
v_med3_f32 v18, v18, v4, v5
v_cvt_pk_fp8_f32 v13, v17, v18
	;;#ASMEND
	v_mul_f32_e32 v24, v25, v24
	v_mul_f32_e32 v12, v25, v21
	v_perm_b32 v10, v10, v13, 0x1000504
	v_perm_b32 v9, v11, v9, 0x1060504
	v_mul_f32_e32 v13, v25, v15
	;;#ASMSTART
	v_med3_f32 v19, v19, v4, v5
v_med3_f32 v20, v20, v4, v5
v_cvt_pk_fp8_f32 v11, v19, v20
	;;#ASMEND
	;;#ASMSTART
	v_med3_f32 v22, v22, v4, v5
v_med3_f32 v23, v23, v4, v5
v_cvt_pk_fp8_f32 v15, v22, v23
	;;#ASMEND
	v_mul_f32_e32 v14, v25, v16
	v_perm_b32 v11, v11, v15, 0x1000504
	;;#ASMSTART
	v_med3_f32 v24, v24, v4, v5
v_med3_f32 v12, v12, v4, v5
v_cvt_pk_fp8_f32 v15, v24, v12
	;;#ASMEND
	;;#ASMSTART
	v_med3_f32 v13, v13, v4, v5
v_med3_f32 v14, v14, v4, v5
v_cvt_pk_fp8_f32 v12, v13, v14
	;;#ASMEND
	v_perm_b32 v12, v15, v12, 0x1000504
	buffer_store_b128 v[9:12], v2, s[28:31], 0 offen
	;;#ASMSTART
	s_nop 0
	;;#ASMEND
	s_branch .LBB233_10
.LBB233_42:
	s_nop 0
	s_sendmsg sendmsg(MSG_DEALLOC_VGPRS)
	s_endpgm
	.section	.rodata,"a",@progbits
	.p2align	6, 0x0
	.amdhsa_kernel _ZN5aiter30fused_mx_quant_moe_sort_kernelItDB8_Li256ELi16EEEvPT0_PhPKT_PKiS9_iiiiiiiii
		.amdhsa_group_segment_fixed_size 0
		.amdhsa_private_segment_fixed_size 0
		.amdhsa_kernarg_size 76
		.amdhsa_user_sgpr_count 15
		.amdhsa_user_sgpr_dispatch_ptr 0
		.amdhsa_user_sgpr_queue_ptr 0
		.amdhsa_user_sgpr_kernarg_segment_ptr 1
		.amdhsa_user_sgpr_dispatch_id 0
		.amdhsa_user_sgpr_private_segment_size 0
		.amdhsa_wavefront_size32 1
		.amdhsa_uses_dynamic_stack 0
		.amdhsa_enable_private_segment 0
		.amdhsa_system_sgpr_workgroup_id_x 1
		.amdhsa_system_sgpr_workgroup_id_y 0
		.amdhsa_system_sgpr_workgroup_id_z 0
		.amdhsa_system_sgpr_workgroup_info 0
		.amdhsa_system_vgpr_workitem_id 0
		.amdhsa_next_free_vgpr 28
		.amdhsa_next_free_sgpr 43
		.amdhsa_reserve_vcc 1
		.amdhsa_float_round_mode_32 0
		.amdhsa_float_round_mode_16_64 0
		.amdhsa_float_denorm_mode_32 3
		.amdhsa_float_denorm_mode_16_64 3
		.amdhsa_dx10_clamp 1
		.amdhsa_ieee_mode 1
		.amdhsa_fp16_overflow 0
		.amdhsa_workgroup_processor_mode 1
		.amdhsa_memory_ordered 1
		.amdhsa_forward_progress 0
		.amdhsa_shared_vgpr_count 0
		.amdhsa_exception_fp_ieee_invalid_op 0
		.amdhsa_exception_fp_denorm_src 0
		.amdhsa_exception_fp_ieee_div_zero 0
		.amdhsa_exception_fp_ieee_overflow 0
		.amdhsa_exception_fp_ieee_underflow 0
		.amdhsa_exception_fp_ieee_inexact 0
		.amdhsa_exception_int_div_zero 0
	.end_amdhsa_kernel
	.section	.text._ZN5aiter30fused_mx_quant_moe_sort_kernelItDB8_Li256ELi16EEEvPT0_PhPKT_PKiS9_iiiiiiiii,"axG",@progbits,_ZN5aiter30fused_mx_quant_moe_sort_kernelItDB8_Li256ELi16EEEvPT0_PhPKT_PKiS9_iiiiiiiii,comdat
.Lfunc_end233:
	.size	_ZN5aiter30fused_mx_quant_moe_sort_kernelItDB8_Li256ELi16EEEvPT0_PhPKT_PKiS9_iiiiiiiii, .Lfunc_end233-_ZN5aiter30fused_mx_quant_moe_sort_kernelItDB8_Li256ELi16EEEvPT0_PhPKT_PKiS9_iiiiiiiii
                                        ; -- End function
	.section	.AMDGPU.csdata,"",@progbits
; Kernel info:
; codeLenInByte = 2684
; NumSgprs: 45
; NumVgprs: 28
; ScratchSize: 0
; MemoryBound: 0
; FloatMode: 240
; IeeeMode: 1
; LDSByteSize: 0 bytes/workgroup (compile time only)
; SGPRBlocks: 5
; VGPRBlocks: 3
; NumSGPRsForWavesPerEU: 45
; NumVGPRsForWavesPerEU: 28
; Occupancy: 16
; WaveLimiterHint : 0
; COMPUTE_PGM_RSRC2:SCRATCH_EN: 0
; COMPUTE_PGM_RSRC2:USER_SGPR: 15
; COMPUTE_PGM_RSRC2:TRAP_HANDLER: 0
; COMPUTE_PGM_RSRC2:TGID_X_EN: 1
; COMPUTE_PGM_RSRC2:TGID_Y_EN: 0
; COMPUTE_PGM_RSRC2:TGID_Z_EN: 0
; COMPUTE_PGM_RSRC2:TIDIG_COMP_CNT: 0
	.section	.text._ZN5aiter30fused_mx_quant_moe_sort_kernelIDF16_DB8_Li256ELi32EEEvPT0_PhPKT_PKiS9_iiiiiiiii,"axG",@progbits,_ZN5aiter30fused_mx_quant_moe_sort_kernelIDF16_DB8_Li256ELi32EEEvPT0_PhPKT_PKiS9_iiiiiiiii,comdat
	.protected	_ZN5aiter30fused_mx_quant_moe_sort_kernelIDF16_DB8_Li256ELi32EEEvPT0_PhPKT_PKiS9_iiiiiiiii ; -- Begin function _ZN5aiter30fused_mx_quant_moe_sort_kernelIDF16_DB8_Li256ELi32EEEvPT0_PhPKT_PKiS9_iiiiiiiii
	.globl	_ZN5aiter30fused_mx_quant_moe_sort_kernelIDF16_DB8_Li256ELi32EEEvPT0_PhPKT_PKiS9_iiiiiiiii
	.p2align	8
	.type	_ZN5aiter30fused_mx_quant_moe_sort_kernelIDF16_DB8_Li256ELi32EEEvPT0_PhPKT_PKiS9_iiiiiiiii,@function
_ZN5aiter30fused_mx_quant_moe_sort_kernelIDF16_DB8_Li256ELi32EEEvPT0_PhPKT_PKiS9_iiiiiiiii: ; @_ZN5aiter30fused_mx_quant_moe_sort_kernelIDF16_DB8_Li256ELi32EEEvPT0_PhPKT_PKiS9_iiiiiiiii
; %bb.0:
	s_load_b256 s[4:11], s[0:1], 0x28
	s_waitcnt lgkmcnt(0)
	s_abs_i32 s14, s6
	s_cmp_ge_i32 s15, s9
	v_cvt_f32_u32_e32 v1, s14
	s_delay_alu instid0(VALU_DEP_1) | instskip(SKIP_2) | instid1(VALU_DEP_1)
	v_rcp_iflag_f32_e32 v1, v1
	s_waitcnt_depctr 0xfff
	v_mul_f32_e32 v1, 0x4f7ffffe, v1
	v_cvt_u32_f32_e32 v1, v1
	s_delay_alu instid0(VALU_DEP_1)
	v_readfirstlane_b32 s24, v1
	s_cbranch_scc1 .LBB234_42
; %bb.1:
	s_ashr_i32 s25, s6, 31
	s_load_b256 s[16:23], s[0:1], 0x0
	s_lshr_b32 s2, s25, 27
	v_lshlrev_b32_e32 v3, 6, v0
	s_add_i32 s2, s6, s2
	s_mov_b32 s27, -1
	s_ashr_i32 s12, s2, 5
	s_clause 0x1
	s_load_b64 s[2:3], s[0:1], 0x20
	s_load_b32 s13, s[0:1], 0x48
	v_cvt_f32_u32_e32 v1, s12
	s_sub_i32 s1, 0, s14
	s_add_i32 s0, s5, s6
	s_mul_i32 s1, s1, s24
	s_add_i32 s0, s0, -1
	v_rcp_iflag_f32_e32 v1, v1
	s_mul_hi_u32 s1, s24, s1
	s_ashr_i32 s6, s0, 31
	s_abs_i32 s0, s0
	s_add_i32 s24, s24, s1
	s_xor_b32 s1, s6, s25
	s_mul_hi_u32 s6, s0, s24
	s_sub_i32 s24, 0, s12
	s_mul_i32 s25, s6, s14
	s_add_i32 s26, s6, 1
	s_waitcnt_depctr 0xfff
	v_dual_mul_f32 v1, 0x4f7ffffe, v1 :: v_dual_and_b32 v6, 31, v0
	s_sub_i32 s0, s0, s25
	s_waitcnt lgkmcnt(0)
	s_load_b32 s3, s[2:3], 0x0
	v_mov_b32_e32 v5, 0x43e00000
	v_cvt_u32_f32_e32 v1, v1
	s_delay_alu instid0(VALU_DEP_1)
	v_mul_lo_u32 v2, s24, v1
	s_sub_i32 s24, s0, s14
	s_cmp_ge_u32 s0, s14
	s_cselect_b32 s6, s26, s6
	s_cselect_b32 s0, s24, s0
	s_add_i32 s24, s6, 1
	s_cmp_ge_u32 s0, s14
	s_delay_alu instid0(VALU_DEP_1)
	v_mul_hi_u32 v4, v1, v2
	s_cselect_b32 s0, s24, s6
	s_mov_b32 s6, s5
	s_xor_b32 s0, s0, s1
	v_lshlrev_b32_e32 v2, 5, v0
	s_sub_i32 s1, s0, s1
	s_mov_b32 s14, 0x76543210
	s_add_i32 s0, s1, 7
	v_add_nc_u32_e32 v1, v1, v4
	s_ashr_i32 s24, s0, 31
	v_mov_b32_e32 v4, 0xc3e00000
	s_lshr_b32 s24, s24, 29
	s_delay_alu instid0(SALU_CYCLE_1)
	s_add_i32 s24, s0, s24
	v_mul_hi_u32 v1, v0, v1
	s_lshl_b32 s24, s24, 5
	v_cmp_gt_i32_e64 s0, s8, v6
	s_and_b32 s33, s24, 0xffffff00
	s_cmp_gt_i32 s8, 0
	v_mul_lo_u32 v6, v6, s7
	s_cselect_b32 s34, -1, 0
	s_cmp_eq_u32 s11, 1
	v_mul_lo_u32 v7, v1, s12
	s_cselect_b32 s35, -1, 0
	s_abs_i32 s36, s7
	s_lshl_b32 s26, s5, 1
	v_cvt_f32_u32_e32 v8, s36
	s_add_i32 s2, s5, 31
	s_add_i32 s5, s5, 3
	s_ashr_i32 s24, s2, 31
	v_sub_nc_u32_e32 v7, v0, v7
	v_rcp_iflag_f32_e32 v8, v8
	v_add_nc_u32_e32 v9, 1, v1
	s_ashr_i32 s25, s5, 31
	s_lshr_b32 s24, s24, 27
	v_subrev_nc_u32_e32 v10, s12, v7
	v_cmp_le_u32_e32 vcc_lo, s12, v7
	s_lshr_b32 s25, s25, 30
	s_add_i32 s2, s2, s24
	s_add_i32 s5, s5, s25
	s_sub_i32 s28, 0, s36
	s_waitcnt_depctr 0xfff
	v_dual_mul_f32 v8, 0x4f7ffffe, v8 :: v_dual_cndmask_b32 v1, v1, v9
	v_cndmask_b32_e32 v7, v7, v10, vcc_lo
	s_ashr_i32 s24, s2, 5
	s_and_b32 s30, s5, -4
	s_xor_b32 s38, s35, -1
	v_add_nc_u32_e32 v9, 1, v1
	v_cmp_le_u32_e32 vcc_lo, s12, v7
	v_cvt_u32_f32_e32 v7, v8
	s_delay_alu instid0(VALU_DEP_3) | instskip(NEXT) | instid1(VALU_DEP_2)
	v_cndmask_b32_e32 v1, v1, v9, vcc_lo
	v_readfirstlane_b32 s25, v7
	s_delay_alu instid0(VALU_DEP_2)
	v_mul_lo_u32 v8, v1, s12
	v_lshlrev_b32_e32 v7, 5, v1
	v_lshlrev_b32_e32 v9, 6, v1
	v_lshrrev_b32_e32 v10, 1, v1
	v_cmp_gt_i32_e32 vcc_lo, s1, v1
	s_mul_i32 s28, s28, s25
	v_and_b32_e32 v7, 0x7f00, v7
	v_and_b32_e32 v9, 0xc0, v9
	;; [unrolled: 1-line block ×3, first 2 shown]
	v_sub_nc_u32_e32 v8, v0, v8
	v_cmp_gt_u32_e64 s1, s24, v0
	s_mul_hi_u32 s5, s25, s28
                                        ; implicit-def: $vgpr1
	s_delay_alu instid0(VALU_DEP_3) | instskip(NEXT) | instid1(VALU_DEP_3)
	v_or3_b32 v7, v9, v7, v10
	v_cmp_eq_u32_e64 s2, 0, v8
	s_add_i32 s5, s25, s5
	s_delay_alu instid0(VALU_DEP_1)
	s_and_b32 s37, s2, vcc_lo
	s_branch .LBB234_3
.LBB234_2:                              ;   in Loop: Header=BB234_3 Depth=1
	s_add_i32 s15, s15, s10
	s_delay_alu instid0(SALU_CYCLE_1) | instskip(SKIP_1) | instid1(SALU_CYCLE_1)
	s_cmp_lt_i32 s15, s9
	s_cselect_b32 s2, -1, 0
	s_and_b32 s2, s39, s2
	s_delay_alu instid0(SALU_CYCLE_1)
	s_and_b32 vcc_lo, exec_lo, s2
	s_cbranch_vccz .LBB234_42
.LBB234_3:                              ; =>This Loop Header: Depth=1
                                        ;     Child Loop BB234_13 Depth 2
	s_abs_i32 s2, s15
	s_delay_alu instid0(SALU_CYCLE_1) | instskip(NEXT) | instid1(SALU_CYCLE_1)
	s_mul_hi_u32 s24, s2, s5
	s_mul_i32 s24, s24, s36
	s_delay_alu instid0(SALU_CYCLE_1) | instskip(SKIP_4) | instid1(SALU_CYCLE_1)
	s_sub_i32 s24, s2, s24
	s_ashr_i32 s2, s15, 31
	s_sub_i32 s25, s24, s36
	s_cmp_ge_u32 s24, s36
	s_cselect_b32 s24, s25, s24
	s_sub_i32 s25, s24, s36
	s_cmp_ge_u32 s24, s36
	s_cselect_b32 s24, s25, s24
	s_delay_alu instid0(SALU_CYCLE_1) | instskip(NEXT) | instid1(SALU_CYCLE_1)
	s_xor_b32 s24, s24, s2
	s_sub_i32 s25, s24, s2
	s_delay_alu instid0(SALU_CYCLE_1) | instskip(NEXT) | instid1(SALU_CYCLE_1)
	s_sub_i32 s28, s15, s25
	s_mul_i32 s28, s28, s8
	s_delay_alu instid0(SALU_CYCLE_1)
	s_add_i32 s28, s28, s25
	s_waitcnt lgkmcnt(0)
	s_cmp_lt_i32 s28, s3
	s_cselect_b32 s39, -1, 0
	s_cmp_ge_i32 s28, s3
	s_cbranch_scc1 .LBB234_2
; %bb.4:                                ;   in Loop: Header=BB234_3 Depth=1
	s_and_saveexec_b32 s25, s0
	s_cbranch_execz .LBB234_8
; %bb.5:                                ;   in Loop: Header=BB234_3 Depth=1
	s_waitcnt vmcnt(0)
	v_dual_mov_b32 v1, s4 :: v_dual_add_nc_u32 v0, s28, v6
	s_mov_b32 s28, exec_lo
	s_delay_alu instid0(VALU_DEP_1)
	v_cmpx_gt_i32_e64 s3, v0
	s_cbranch_execz .LBB234_7
; %bb.6:                                ;   in Loop: Header=BB234_3 Depth=1
	v_ashrrev_i32_e32 v1, 31, v0
	s_delay_alu instid0(VALU_DEP_1) | instskip(NEXT) | instid1(VALU_DEP_1)
	v_lshlrev_b64 v[0:1], 2, v[0:1]
	v_add_co_u32 v0, vcc_lo, s22, v0
	s_delay_alu instid0(VALU_DEP_2)
	v_add_co_ci_u32_e32 v1, vcc_lo, s23, v1, vcc_lo
	global_load_b32 v1, v[0:1], off
.LBB234_7:                              ;   in Loop: Header=BB234_3 Depth=1
	s_or_b32 exec_lo, exec_lo, s28
.LBB234_8:                              ;   in Loop: Header=BB234_3 Depth=1
	s_delay_alu instid0(SALU_CYCLE_1) | instskip(NEXT) | instid1(SALU_CYCLE_1)
	s_or_b32 exec_lo, exec_lo, s25
	s_and_not1_b32 vcc_lo, exec_lo, s34
	s_cbranch_vccnz .LBB234_2
; %bb.9:                                ;   in Loop: Header=BB234_3 Depth=1
	s_add_i32 s25, s15, s2
	s_waitcnt vmcnt(0)
	v_and_b32_e32 v0, 0xffffff, v1
	s_sub_i32 s25, s25, s24
	v_ashrrev_i32_e32 v8, 24, v1
	s_mul_i32 s25, s8, s25
	s_mov_b32 s41, 0
	s_add_i32 s24, s24, s25
	s_delay_alu instid0(SALU_CYCLE_1)
	s_sub_i32 s40, s24, s2
	s_branch .LBB234_13
.LBB234_10:                             ;   in Loop: Header=BB234_13 Depth=2
	s_or_b32 exec_lo, exec_lo, s2
.LBB234_11:                             ;   in Loop: Header=BB234_13 Depth=2
	s_add_i32 s41, s41, 1
	s_add_i32 s40, s40, s7
	s_cmp_eq_u32 s8, s41
	s_cselect_b32 s2, -1, 0
.LBB234_12:                             ;   in Loop: Header=BB234_13 Depth=2
	s_delay_alu instid0(SALU_CYCLE_1)
	s_and_b32 vcc_lo, exec_lo, s2
	s_cbranch_vccnz .LBB234_2
.LBB234_13:                             ;   Parent Loop BB234_3 Depth=1
                                        ; =>  This Inner Loop Header: Depth=2
	v_readlane_b32 s24, v0, s41
	v_readlane_b32 s29, v8, s41
	s_mov_b32 s2, -1
	s_delay_alu instid0(VALU_DEP_2)
	s_cmp_ge_i32 s24, s4
	s_cbranch_scc1 .LBB234_12
; %bb.14:                               ;   in Loop: Header=BB234_13 Depth=2
	s_mul_i32 s2, s24, s11
	s_delay_alu instid0(SALU_CYCLE_1) | instskip(SKIP_2) | instid1(SALU_CYCLE_1)
	s_add_i32 s2, s2, s29
	s_and_b32 s25, s35, exec_lo
	s_cselect_b32 s28, s24, s2
	s_mul_hi_i32 s25, s28, s13
	s_mul_i32 s24, s28, s13
	s_delay_alu instid0(SALU_CYCLE_1) | instskip(NEXT) | instid1(SALU_CYCLE_1)
	s_lshl_b64 s[24:25], s[24:25], 1
	s_add_u32 s24, s20, s24
	s_addc_u32 s2, s21, s25
	s_delay_alu instid0(SALU_CYCLE_1)
	s_and_b32 s25, s2, 0xffff
	s_clause 0x3
	buffer_load_b128 v[9:12], v3, s[24:27], 0 offen
	buffer_load_b128 v[13:16], v3, s[24:27], 16 offen
	;; [unrolled: 1-line block ×4, first 2 shown]
	s_cmp_lt_i32 s12, 8
	s_waitcnt vmcnt(3)
	v_lshrrev_b32_e32 v17, 16, v9
	v_cvt_f32_f16_e32 v25, v9
	v_lshrrev_b32_e32 v9, 16, v10
	v_cvt_f32_f16_e32 v27, v10
	;; [unrolled: 2-line block ×3, first 2 shown]
	v_cvt_f32_f16_e32 v28, v11
	v_cvt_f32_f16_e32 v34, v9
	v_lshrrev_b32_e32 v11, 16, v12
	v_cvt_f32_f16_e32 v35, v10
	v_max3_f32 v9, |v25|, 0x2edbe6ff, |v31|
	v_cvt_f32_f16_e32 v30, v12
	s_waitcnt vmcnt(2)
	v_lshrrev_b32_e32 v10, 16, v13
	v_cvt_f32_f16_e32 v38, v11
	v_cvt_f32_f16_e32 v32, v13
	v_max3_f32 v9, v9, |v27|, |v34|
	v_lshrrev_b32_e32 v11, 16, v14
	v_cvt_f32_f16_e32 v40, v10
	v_cvt_f32_f16_e32 v36, v14
	v_lshrrev_b32_e32 v10, 16, v15
	v_max3_f32 v9, v9, |v28|, |v35|
	v_cvt_f32_f16_e32 v39, v11
	v_cvt_f32_f16_e32 v26, v15
	v_lshrrev_b32_e32 v11, 16, v16
	v_cvt_f32_f16_e32 v33, v10
	v_max3_f32 v9, v9, |v30|, |v38|
	v_cvt_f32_f16_e32 v29, v16
	s_waitcnt vmcnt(1)
	v_lshrrev_b32_e32 v12, 16, v18
	v_cvt_f32_f16_e32 v37, v11
	v_cvt_f32_f16_e32 v10, v18
	v_max3_f32 v9, v9, |v32|, |v40|
	v_lshrrev_b32_e32 v11, 16, v19
	v_cvt_f32_f16_e32 v18, v12
	v_cvt_f32_f16_e32 v13, v19
	v_lshrrev_b32_e32 v12, 16, v20
	v_max3_f32 v9, v9, |v36|, |v39|
	v_cvt_f32_f16_e32 v23, v11
	v_lshrrev_b32_e32 v14, 16, v21
	s_waitcnt vmcnt(0)
	v_lshrrev_b32_e32 v16, 16, v41
	v_cvt_f32_f16_e32 v15, v12
	v_max3_f32 v9, v9, |v26|, |v33|
	v_cvt_f32_f16_e32 v12, v21
	v_cvt_f32_f16_e32 v21, v14
	v_lshrrev_b32_e32 v17, 16, v42
	v_cvt_f32_f16_e32 v19, v16
	v_max3_f32 v9, v9, |v29|, |v37|
	s_delay_alu instid0(VALU_DEP_3) | instskip(NEXT) | instid1(VALU_DEP_2)
	v_cvt_f32_f16_e32 v24, v17
	v_max3_f32 v11, v9, |v10|, |v18|
	v_cvt_f32_f16_e32 v9, v20
	v_lshrrev_b32_e32 v20, 16, v43
	s_delay_alu instid0(VALU_DEP_3) | instskip(NEXT) | instid1(VALU_DEP_2)
	v_max3_f32 v11, v11, |v13|, |v23|
	v_cvt_f32_f16_e32 v17, v20
	v_cvt_f32_f16_e32 v20, v44
	s_delay_alu instid0(VALU_DEP_3) | instskip(SKIP_2) | instid1(VALU_DEP_3)
	v_max3_f32 v14, v11, |v9|, |v15|
	v_cvt_f32_f16_e32 v11, v41
	v_lshrrev_b32_e32 v41, 16, v44
	v_max3_f32 v16, v14, |v12|, |v21|
	v_cvt_f32_f16_e32 v14, v42
	s_delay_alu instid0(VALU_DEP_2) | instskip(SKIP_1) | instid1(VALU_DEP_2)
	v_max3_f32 v22, v16, |v11|, |v19|
	v_cvt_f32_f16_e32 v16, v43
	v_max3_f32 v22, v22, |v14|, |v24|
	s_delay_alu instid0(VALU_DEP_1) | instskip(SKIP_1) | instid1(VALU_DEP_1)
	v_max3_f32 v42, v22, |v16|, |v17|
	v_cvt_f32_f16_e32 v22, v41
	v_max3_f32 v41, v42, |v20|, |v22|
	s_cbranch_scc1 .LBB234_20
; %bb.15:                               ;   in Loop: Header=BB234_13 Depth=2
	s_cmp_lt_i32 s12, 16
	s_cbranch_scc1 .LBB234_21
; %bb.16:                               ;   in Loop: Header=BB234_13 Depth=2
	s_cmp_lt_i32 s12, 32
	s_cbranch_scc1 .LBB234_22
; %bb.17:                               ;   in Loop: Header=BB234_13 Depth=2
	v_mov_b32_e32 v42, v41
	s_cmp_eq_u32 s12, 32
	s_cbranch_scc0 .LBB234_19
; %bb.18:                               ;   in Loop: Header=BB234_13 Depth=2
	s_delay_alu instid0(VALU_DEP_1) | instskip(NEXT) | instid1(VALU_DEP_1)
	v_mov_b32_dpp v42, v41 quad_perm:[1,0,3,2] row_mask:0xf bank_mask:0xf
	v_cmp_gt_f32_e32 vcc_lo, v41, v42
	v_cndmask_b32_e32 v42, v42, v41, vcc_lo
	s_delay_alu instid0(VALU_DEP_1) | instskip(NEXT) | instid1(VALU_DEP_1)
	v_mov_b32_dpp v43, v42 quad_perm:[2,3,0,1] row_mask:0xf bank_mask:0xf
	v_cmp_gt_f32_e32 vcc_lo, v42, v43
	v_cndmask_b32_e32 v42, v43, v42, vcc_lo
	s_delay_alu instid0(VALU_DEP_1) | instskip(NEXT) | instid1(VALU_DEP_1)
	v_mov_b32_dpp v43, v42 row_xmask:7 row_mask:0xf bank_mask:0xf
	v_cmp_gt_f32_e32 vcc_lo, v42, v43
	v_cndmask_b32_e32 v42, v43, v42, vcc_lo
	s_delay_alu instid0(VALU_DEP_1) | instskip(NEXT) | instid1(VALU_DEP_1)
	v_mov_b32_dpp v43, v42 row_xmask:15 row_mask:0xf bank_mask:0xf
	v_cmp_gt_f32_e32 vcc_lo, v42, v43
	v_cndmask_b32_e32 v42, v43, v42, vcc_lo
	s_delay_alu instid0(VALU_DEP_1) | instskip(NEXT) | instid1(VALU_DEP_1)
	v_permlanex16_b32 v43, v42, s14, 0xfedcba98 op_sel:[1,1]
	v_cmp_gt_f32_e32 vcc_lo, v42, v43
	v_cndmask_b32_e32 v42, v43, v42, vcc_lo
.LBB234_19:                             ;   in Loop: Header=BB234_13 Depth=2
	s_cbranch_execz .LBB234_23
	s_branch .LBB234_25
.LBB234_20:                             ;   in Loop: Header=BB234_13 Depth=2
                                        ; implicit-def: $vgpr42
	s_branch .LBB234_29
.LBB234_21:                             ;   in Loop: Header=BB234_13 Depth=2
                                        ; implicit-def: $vgpr42
	s_branch .LBB234_26
.LBB234_22:                             ;   in Loop: Header=BB234_13 Depth=2
                                        ; implicit-def: $vgpr42
.LBB234_23:                             ;   in Loop: Header=BB234_13 Depth=2
	v_mov_b32_e32 v42, v41
	s_cmp_eq_u32 s12, 16
	s_cbranch_scc0 .LBB234_25
; %bb.24:                               ;   in Loop: Header=BB234_13 Depth=2
	s_delay_alu instid0(VALU_DEP_1) | instskip(NEXT) | instid1(VALU_DEP_1)
	v_mov_b32_dpp v42, v41 quad_perm:[1,0,3,2] row_mask:0xf bank_mask:0xf
	v_cmp_gt_f32_e32 vcc_lo, v41, v42
	v_cndmask_b32_e32 v42, v42, v41, vcc_lo
	s_delay_alu instid0(VALU_DEP_1) | instskip(NEXT) | instid1(VALU_DEP_1)
	v_mov_b32_dpp v43, v42 quad_perm:[2,3,0,1] row_mask:0xf bank_mask:0xf
	v_cmp_gt_f32_e32 vcc_lo, v42, v43
	v_cndmask_b32_e32 v42, v43, v42, vcc_lo
	s_delay_alu instid0(VALU_DEP_1) | instskip(NEXT) | instid1(VALU_DEP_1)
	v_mov_b32_dpp v43, v42 row_half_mirror row_mask:0xf bank_mask:0xf
	v_cmp_gt_f32_e32 vcc_lo, v42, v43
	v_cndmask_b32_e32 v42, v43, v42, vcc_lo
	s_delay_alu instid0(VALU_DEP_1) | instskip(NEXT) | instid1(VALU_DEP_1)
	v_mov_b32_dpp v43, v42 row_mirror row_mask:0xf bank_mask:0xf
	v_cmp_gt_f32_e32 vcc_lo, v42, v43
	v_cndmask_b32_e32 v42, v43, v42, vcc_lo
.LBB234_25:                             ;   in Loop: Header=BB234_13 Depth=2
	s_cbranch_execnz .LBB234_28
.LBB234_26:                             ;   in Loop: Header=BB234_13 Depth=2
	v_mov_b32_e32 v42, v41
	s_cmp_eq_u32 s12, 8
	s_cbranch_scc0 .LBB234_28
; %bb.27:                               ;   in Loop: Header=BB234_13 Depth=2
	s_delay_alu instid0(VALU_DEP_1) | instskip(NEXT) | instid1(VALU_DEP_1)
	v_mov_b32_dpp v42, v41 quad_perm:[1,0,3,2] row_mask:0xf bank_mask:0xf
	v_cmp_gt_f32_e32 vcc_lo, v41, v42
	v_cndmask_b32_e32 v42, v42, v41, vcc_lo
	s_delay_alu instid0(VALU_DEP_1) | instskip(NEXT) | instid1(VALU_DEP_1)
	v_mov_b32_dpp v43, v42 quad_perm:[2,3,0,1] row_mask:0xf bank_mask:0xf
	v_cmp_gt_f32_e32 vcc_lo, v42, v43
	v_cndmask_b32_e32 v42, v43, v42, vcc_lo
	s_delay_alu instid0(VALU_DEP_1) | instskip(NEXT) | instid1(VALU_DEP_1)
	v_mov_b32_dpp v43, v42 row_half_mirror row_mask:0xf bank_mask:0xf
	v_cmp_gt_f32_e32 vcc_lo, v42, v43
	v_cndmask_b32_e32 v42, v43, v42, vcc_lo
.LBB234_28:                             ;   in Loop: Header=BB234_13 Depth=2
	s_cbranch_execnz .LBB234_37
.LBB234_29:                             ;   in Loop: Header=BB234_13 Depth=2
	s_cmp_lt_i32 s12, 4
	s_cbranch_scc1 .LBB234_32
; %bb.30:                               ;   in Loop: Header=BB234_13 Depth=2
	v_mov_b32_e32 v42, v41
	s_cmp_eq_u32 s12, 4
	s_cbranch_scc0 .LBB234_33
; %bb.31:                               ;   in Loop: Header=BB234_13 Depth=2
	s_delay_alu instid0(VALU_DEP_1) | instskip(NEXT) | instid1(VALU_DEP_1)
	v_mov_b32_dpp v42, v41 quad_perm:[1,0,3,2] row_mask:0xf bank_mask:0xf
	v_cmp_gt_f32_e32 vcc_lo, v41, v42
	v_cndmask_b32_e32 v42, v42, v41, vcc_lo
	s_delay_alu instid0(VALU_DEP_1) | instskip(NEXT) | instid1(VALU_DEP_1)
	v_mov_b32_dpp v43, v42 quad_perm:[2,3,0,1] row_mask:0xf bank_mask:0xf
	v_cmp_gt_f32_e32 vcc_lo, v42, v43
	v_cndmask_b32_e32 v42, v43, v42, vcc_lo
	s_cbranch_execz .LBB234_34
	s_branch .LBB234_37
.LBB234_32:                             ;   in Loop: Header=BB234_13 Depth=2
                                        ; implicit-def: $vgpr42
	s_branch .LBB234_34
.LBB234_33:                             ;   in Loop: Header=BB234_13 Depth=2
	s_cbranch_execnz .LBB234_37
.LBB234_34:                             ;   in Loop: Header=BB234_13 Depth=2
	s_cmp_lg_u32 s12, 2
	s_cbranch_scc1 .LBB234_36
; %bb.35:                               ;   in Loop: Header=BB234_13 Depth=2
	v_mov_b32_dpp v42, v41 quad_perm:[1,0,3,2] row_mask:0xf bank_mask:0xf
	s_delay_alu instid0(VALU_DEP_1)
	v_cmp_gt_f32_e32 vcc_lo, v41, v42
	v_cndmask_b32_e32 v41, v42, v41, vcc_lo
.LBB234_36:                             ;   in Loop: Header=BB234_13 Depth=2
	s_delay_alu instid0(VALU_DEP_1)
	v_mov_b32_e32 v42, v41
.LBB234_37:                             ;   in Loop: Header=BB234_13 Depth=2
	s_delay_alu instid0(VALU_DEP_1) | instskip(NEXT) | instid1(VALU_DEP_1)
	v_mul_f32_e32 v41, 0x3b124925, v42
	v_bfe_u32 v42, v41, 23, 8
	v_and_b32_e32 v41, 0x7fffff, v41
	s_delay_alu instid0(VALU_DEP_2) | instskip(NEXT) | instid1(VALU_DEP_2)
	v_cmp_ne_u32_e32 vcc_lo, 0xff, v42
	v_cmp_ne_u32_e64 s2, 0, v41
	s_delay_alu instid0(VALU_DEP_1)
	s_and_b32 vcc_lo, s2, vcc_lo
	v_add_co_ci_u32_e32 v41, vcc_lo, 0, v42, vcc_lo
	s_and_saveexec_b32 s2, s37
	s_cbranch_execz .LBB234_39
; %bb.38:                               ;   in Loop: Header=BB234_13 Depth=2
	s_ashr_i32 s24, s40, 31
	s_delay_alu instid0(SALU_CYCLE_1)
	s_lshr_b32 s25, s24, 27
	s_lshr_b32 s24, s24, 28
	s_add_i32 s25, s40, s25
	s_add_i32 s24, s40, s24
	s_and_b32 s31, s25, 0xffe0
	s_and_b32 s24, s24, 0x3ffffff0
	s_sub_i32 s31, s40, s31
	s_sub_i32 s24, s40, s24
	s_bfe_i32 s42, s31, 0x80000
	s_lshl_b32 s24, s24, 2
	v_lshrrev_b16 v42, 11, s42
	s_delay_alu instid0(VALU_DEP_1) | instskip(NEXT) | instid1(VALU_DEP_1)
	v_and_b32_e32 v42, 15, v42
	v_add_nc_u16 v42, s31, v42
	s_delay_alu instid0(VALU_DEP_1) | instskip(NEXT) | instid1(VALU_DEP_1)
	v_bfe_i32 v42, v42, 0, 8
	v_ashrrev_i16 v42, 4, v42
	s_delay_alu instid0(VALU_DEP_1) | instskip(NEXT) | instid1(VALU_DEP_1)
	v_bfe_i32 v42, v42, 0, 16
	v_add_nc_u32_e32 v42, s24, v42
	s_ashr_i32 s24, s25, 5
	s_delay_alu instid0(SALU_CYCLE_1)
	s_mul_i32 s24, s33, s24
	s_delay_alu instid0(VALU_DEP_1) | instid1(SALU_CYCLE_1)
	v_add3_u32 v42, v42, s24, v7
	s_delay_alu instid0(VALU_DEP_1) | instskip(SKIP_1) | instid1(VALU_DEP_2)
	v_ashrrev_i32_e32 v43, 31, v42
	v_add_co_u32 v42, vcc_lo, s18, v42
	v_add_co_ci_u32_e32 v43, vcc_lo, s19, v43, vcc_lo
	global_store_b8 v[42:43], v41, off
.LBB234_39:                             ;   in Loop: Header=BB234_13 Depth=2
	s_or_b32 exec_lo, exec_lo, s2
	s_cmp_ge_i32 s29, s11
	s_cselect_b32 s2, -1, 0
	s_delay_alu instid0(SALU_CYCLE_1) | instskip(NEXT) | instid1(SALU_CYCLE_1)
	s_and_b32 s2, s38, s2
	s_and_b32 vcc_lo, exec_lo, s2
	s_cbranch_vccnz .LBB234_11
; %bb.40:                               ;   in Loop: Header=BB234_13 Depth=2
	s_and_saveexec_b32 s2, s1
	s_cbranch_execz .LBB234_10
; %bb.41:                               ;   in Loop: Header=BB234_13 Depth=2
	v_lshlrev_b32_e32 v41, 23, v41
	s_mul_i32 s24, s28, s6
	s_mul_hi_i32 s25, s28, s6
	s_add_u32 s28, s16, s24
	s_addc_u32 s24, s17, s25
	v_rcp_f32_e32 v41, v41
	s_mov_b32 s31, s27
	s_and_b32 s29, s24, 0xffff
	s_waitcnt_depctr 0xfff
	v_mul_f32_e32 v25, v41, v25
	v_mul_f32_e32 v31, v41, v31
	;; [unrolled: 1-line block ×4, first 2 shown]
	;;#ASMSTART
	v_med3_f32 v25, v25, v4, v5
v_med3_f32 v31, v31, v4, v5
v_cvt_pk_fp8_f32 v42, v25, v31
	;;#ASMEND
	;;#ASMSTART
	v_med3_f32 v27, v27, v4, v5
v_med3_f32 v34, v34, v4, v5
v_cvt_pk_fp8_f32 v25, v27, v34
	;;#ASMEND
	v_perm_b32 v27, v25, v42, 0x5040100
	v_mul_f32_e32 v28, v41, v28
	v_mul_f32_e32 v35, v41, v35
	;; [unrolled: 1-line block ×4, first 2 shown]
	;;#ASMSTART
	v_med3_f32 v28, v28, v4, v5
v_med3_f32 v35, v35, v4, v5
v_cvt_pk_fp8_f32 v34, v28, v35
	;;#ASMEND
	v_mul_f32_e32 v32, v41, v32
	v_mul_f32_e32 v40, v41, v40
	;;#ASMSTART
	v_med3_f32 v30, v30, v4, v5
v_med3_f32 v38, v38, v4, v5
v_cvt_pk_fp8_f32 v28, v30, v38
	;;#ASMEND
	v_mul_f32_e32 v36, v41, v36
	v_mul_f32_e32 v31, v41, v39
	v_mul_f32_e32 v30, v41, v29
	;;#ASMSTART
	v_med3_f32 v32, v32, v4, v5
v_med3_f32 v40, v40, v4, v5
v_cvt_pk_fp8_f32 v29, v32, v40
	;;#ASMEND
	v_perm_b32 v27, v27, v25, 0x1060504
	v_mul_f32_e32 v25, v41, v26
	v_mul_f32_e32 v26, v41, v33
	;;#ASMSTART
	v_med3_f32 v36, v36, v4, v5
v_med3_f32 v31, v31, v4, v5
v_cvt_pk_fp8_f32 v32, v36, v31
	;;#ASMEND
	v_mul_f32_e32 v33, v41, v37
	;;#ASMSTART
	v_med3_f32 v25, v25, v4, v5
v_med3_f32 v26, v26, v4, v5
v_cvt_pk_fp8_f32 v31, v25, v26
	;;#ASMEND
	;;#ASMSTART
	v_med3_f32 v30, v30, v4, v5
v_med3_f32 v33, v33, v4, v5
v_cvt_pk_fp8_f32 v25, v30, v33
	;;#ASMEND
	v_perm_b32 v28, v34, v28, 0x1000504
	v_perm_b32 v29, v29, v32, 0x1000504
	;; [unrolled: 1-line block ×3, first 2 shown]
	v_mul_f32_e32 v10, v41, v10
	v_mul_f32_e32 v18, v41, v18
	;; [unrolled: 1-line block ×4, first 2 shown]
	buffer_store_b128 v[27:30], v2, s[28:31], 0 offen
	;;#ASMSTART
	s_nop 0
	;;#ASMEND
	;;#ASMSTART
	v_med3_f32 v10, v10, v4, v5
v_med3_f32 v18, v18, v4, v5
v_cvt_pk_fp8_f32 v25, v10, v18
	;;#ASMEND
	;;#ASMSTART
	v_med3_f32 v13, v13, v4, v5
v_med3_f32 v23, v23, v4, v5
v_cvt_pk_fp8_f32 v10, v13, v23
	;;#ASMEND
	v_perm_b32 v13, v10, v25, 0x5040100
	v_mul_f32_e32 v18, v41, v9
	v_mul_f32_e32 v15, v41, v15
	;; [unrolled: 1-line block ×4, first 2 shown]
	v_perm_b32 v9, v13, v10, 0x1060504
	;;#ASMSTART
	v_med3_f32 v18, v18, v4, v5
v_med3_f32 v15, v15, v4, v5
v_cvt_pk_fp8_f32 v10, v18, v15
	;;#ASMEND
	;;#ASMSTART
	v_med3_f32 v12, v12, v4, v5
v_med3_f32 v21, v21, v4, v5
v_cvt_pk_fp8_f32 v13, v12, v21
	;;#ASMEND
	v_mul_f32_e32 v11, v41, v11
	v_mul_f32_e32 v12, v41, v19
	v_perm_b32 v10, v10, v13, 0x1000504
	v_mul_f32_e32 v13, v41, v14
	v_mul_f32_e32 v14, v41, v24
	;; [unrolled: 1-line block ×4, first 2 shown]
	;;#ASMSTART
	v_med3_f32 v11, v11, v4, v5
v_med3_f32 v12, v12, v4, v5
v_cvt_pk_fp8_f32 v19, v11, v12
	;;#ASMEND
	v_mul_f32_e32 v17, v41, v20
	v_mul_f32_e32 v18, v41, v22
	;;#ASMSTART
	v_med3_f32 v13, v13, v4, v5
v_med3_f32 v14, v14, v4, v5
v_cvt_pk_fp8_f32 v11, v13, v14
	;;#ASMEND
	;;#ASMSTART
	v_med3_f32 v15, v15, v4, v5
v_med3_f32 v16, v16, v4, v5
v_cvt_pk_fp8_f32 v12, v15, v16
	;;#ASMEND
	v_perm_b32 v11, v19, v11, 0x1000504
	;;#ASMSTART
	v_med3_f32 v17, v17, v4, v5
v_med3_f32 v18, v18, v4, v5
v_cvt_pk_fp8_f32 v13, v17, v18
	;;#ASMEND
	v_perm_b32 v12, v12, v13, 0x1000504
	buffer_store_b128 v[9:12], v2, s[28:31], 16 offen
	;;#ASMSTART
	s_nop 0
	;;#ASMEND
	s_branch .LBB234_10
.LBB234_42:
	s_nop 0
	s_sendmsg sendmsg(MSG_DEALLOC_VGPRS)
	s_endpgm
	.section	.rodata,"a",@progbits
	.p2align	6, 0x0
	.amdhsa_kernel _ZN5aiter30fused_mx_quant_moe_sort_kernelIDF16_DB8_Li256ELi32EEEvPT0_PhPKT_PKiS9_iiiiiiiii
		.amdhsa_group_segment_fixed_size 0
		.amdhsa_private_segment_fixed_size 0
		.amdhsa_kernarg_size 76
		.amdhsa_user_sgpr_count 15
		.amdhsa_user_sgpr_dispatch_ptr 0
		.amdhsa_user_sgpr_queue_ptr 0
		.amdhsa_user_sgpr_kernarg_segment_ptr 1
		.amdhsa_user_sgpr_dispatch_id 0
		.amdhsa_user_sgpr_private_segment_size 0
		.amdhsa_wavefront_size32 1
		.amdhsa_uses_dynamic_stack 0
		.amdhsa_enable_private_segment 0
		.amdhsa_system_sgpr_workgroup_id_x 1
		.amdhsa_system_sgpr_workgroup_id_y 0
		.amdhsa_system_sgpr_workgroup_id_z 0
		.amdhsa_system_sgpr_workgroup_info 0
		.amdhsa_system_vgpr_workitem_id 0
		.amdhsa_next_free_vgpr 45
		.amdhsa_next_free_sgpr 43
		.amdhsa_reserve_vcc 1
		.amdhsa_float_round_mode_32 0
		.amdhsa_float_round_mode_16_64 0
		.amdhsa_float_denorm_mode_32 3
		.amdhsa_float_denorm_mode_16_64 3
		.amdhsa_dx10_clamp 1
		.amdhsa_ieee_mode 1
		.amdhsa_fp16_overflow 0
		.amdhsa_workgroup_processor_mode 1
		.amdhsa_memory_ordered 1
		.amdhsa_forward_progress 0
		.amdhsa_shared_vgpr_count 0
		.amdhsa_exception_fp_ieee_invalid_op 0
		.amdhsa_exception_fp_denorm_src 0
		.amdhsa_exception_fp_ieee_div_zero 0
		.amdhsa_exception_fp_ieee_overflow 0
		.amdhsa_exception_fp_ieee_underflow 0
		.amdhsa_exception_fp_ieee_inexact 0
		.amdhsa_exception_int_div_zero 0
	.end_amdhsa_kernel
	.section	.text._ZN5aiter30fused_mx_quant_moe_sort_kernelIDF16_DB8_Li256ELi32EEEvPT0_PhPKT_PKiS9_iiiiiiiii,"axG",@progbits,_ZN5aiter30fused_mx_quant_moe_sort_kernelIDF16_DB8_Li256ELi32EEEvPT0_PhPKT_PKiS9_iiiiiiiii,comdat
.Lfunc_end234:
	.size	_ZN5aiter30fused_mx_quant_moe_sort_kernelIDF16_DB8_Li256ELi32EEEvPT0_PhPKT_PKiS9_iiiiiiiii, .Lfunc_end234-_ZN5aiter30fused_mx_quant_moe_sort_kernelIDF16_DB8_Li256ELi32EEEvPT0_PhPKT_PKiS9_iiiiiiiii
                                        ; -- End function
	.section	.AMDGPU.csdata,"",@progbits
; Kernel info:
; codeLenInByte = 3448
; NumSgprs: 45
; NumVgprs: 45
; ScratchSize: 0
; MemoryBound: 0
; FloatMode: 240
; IeeeMode: 1
; LDSByteSize: 0 bytes/workgroup (compile time only)
; SGPRBlocks: 5
; VGPRBlocks: 5
; NumSGPRsForWavesPerEU: 45
; NumVGPRsForWavesPerEU: 45
; Occupancy: 16
; WaveLimiterHint : 0
; COMPUTE_PGM_RSRC2:SCRATCH_EN: 0
; COMPUTE_PGM_RSRC2:USER_SGPR: 15
; COMPUTE_PGM_RSRC2:TRAP_HANDLER: 0
; COMPUTE_PGM_RSRC2:TGID_X_EN: 1
; COMPUTE_PGM_RSRC2:TGID_Y_EN: 0
; COMPUTE_PGM_RSRC2:TGID_Z_EN: 0
; COMPUTE_PGM_RSRC2:TIDIG_COMP_CNT: 0
	.section	.text._ZN5aiter30fused_mx_quant_moe_sort_kernelItDB8_Li256ELi32EEEvPT0_PhPKT_PKiS9_iiiiiiiii,"axG",@progbits,_ZN5aiter30fused_mx_quant_moe_sort_kernelItDB8_Li256ELi32EEEvPT0_PhPKT_PKiS9_iiiiiiiii,comdat
	.protected	_ZN5aiter30fused_mx_quant_moe_sort_kernelItDB8_Li256ELi32EEEvPT0_PhPKT_PKiS9_iiiiiiiii ; -- Begin function _ZN5aiter30fused_mx_quant_moe_sort_kernelItDB8_Li256ELi32EEEvPT0_PhPKT_PKiS9_iiiiiiiii
	.globl	_ZN5aiter30fused_mx_quant_moe_sort_kernelItDB8_Li256ELi32EEEvPT0_PhPKT_PKiS9_iiiiiiiii
	.p2align	8
	.type	_ZN5aiter30fused_mx_quant_moe_sort_kernelItDB8_Li256ELi32EEEvPT0_PhPKT_PKiS9_iiiiiiiii,@function
_ZN5aiter30fused_mx_quant_moe_sort_kernelItDB8_Li256ELi32EEEvPT0_PhPKT_PKiS9_iiiiiiiii: ; @_ZN5aiter30fused_mx_quant_moe_sort_kernelItDB8_Li256ELi32EEEvPT0_PhPKT_PKiS9_iiiiiiiii
; %bb.0:
	s_load_b256 s[4:11], s[0:1], 0x28
	s_waitcnt lgkmcnt(0)
	s_abs_i32 s14, s6
	s_cmp_ge_i32 s15, s9
	v_cvt_f32_u32_e32 v1, s14
	s_delay_alu instid0(VALU_DEP_1) | instskip(SKIP_2) | instid1(VALU_DEP_1)
	v_rcp_iflag_f32_e32 v1, v1
	s_waitcnt_depctr 0xfff
	v_mul_f32_e32 v1, 0x4f7ffffe, v1
	v_cvt_u32_f32_e32 v1, v1
	s_delay_alu instid0(VALU_DEP_1)
	v_readfirstlane_b32 s24, v1
	s_cbranch_scc1 .LBB235_42
; %bb.1:
	s_ashr_i32 s25, s6, 31
	s_load_b256 s[16:23], s[0:1], 0x0
	s_lshr_b32 s2, s25, 27
	v_lshlrev_b32_e32 v3, 6, v0
	s_add_i32 s2, s6, s2
	s_mov_b32 s27, -1
	s_ashr_i32 s12, s2, 5
	s_clause 0x1
	s_load_b64 s[2:3], s[0:1], 0x20
	s_load_b32 s13, s[0:1], 0x48
	v_cvt_f32_u32_e32 v1, s12
	s_sub_i32 s1, 0, s14
	s_add_i32 s0, s5, s6
	s_mul_i32 s1, s1, s24
	s_add_i32 s0, s0, -1
	v_rcp_iflag_f32_e32 v1, v1
	s_mul_hi_u32 s1, s24, s1
	s_ashr_i32 s6, s0, 31
	s_abs_i32 s0, s0
	s_add_i32 s24, s24, s1
	s_xor_b32 s1, s6, s25
	s_mul_hi_u32 s6, s0, s24
	s_sub_i32 s24, 0, s12
	s_mul_i32 s25, s6, s14
	s_add_i32 s26, s6, 1
	s_waitcnt_depctr 0xfff
	v_dual_mul_f32 v1, 0x4f7ffffe, v1 :: v_dual_and_b32 v6, 31, v0
	s_sub_i32 s0, s0, s25
	s_waitcnt lgkmcnt(0)
	s_load_b32 s3, s[2:3], 0x0
	v_mov_b32_e32 v5, 0x43e00000
	v_cvt_u32_f32_e32 v1, v1
	s_delay_alu instid0(VALU_DEP_1)
	v_mul_lo_u32 v2, s24, v1
	s_sub_i32 s24, s0, s14
	s_cmp_ge_u32 s0, s14
	s_cselect_b32 s6, s26, s6
	s_cselect_b32 s0, s24, s0
	s_add_i32 s24, s6, 1
	s_cmp_ge_u32 s0, s14
	s_delay_alu instid0(VALU_DEP_1)
	v_mul_hi_u32 v4, v1, v2
	s_cselect_b32 s0, s24, s6
	s_mov_b32 s6, s5
	s_xor_b32 s0, s0, s1
	v_lshlrev_b32_e32 v2, 5, v0
	s_sub_i32 s1, s0, s1
	s_mov_b32 s14, 0x76543210
	s_add_i32 s0, s1, 7
	v_add_nc_u32_e32 v1, v1, v4
	s_ashr_i32 s24, s0, 31
	v_mov_b32_e32 v4, 0xc3e00000
	s_lshr_b32 s24, s24, 29
	s_delay_alu instid0(SALU_CYCLE_1)
	s_add_i32 s24, s0, s24
	v_mul_hi_u32 v1, v0, v1
	s_lshl_b32 s24, s24, 5
	v_cmp_gt_i32_e64 s0, s8, v6
	s_and_b32 s33, s24, 0xffffff00
	s_cmp_gt_i32 s8, 0
	v_mul_lo_u32 v6, v6, s7
	s_cselect_b32 s34, -1, 0
	s_cmp_eq_u32 s11, 1
	v_mul_lo_u32 v7, v1, s12
	s_cselect_b32 s35, -1, 0
	s_abs_i32 s36, s7
	s_lshl_b32 s26, s5, 1
	v_cvt_f32_u32_e32 v8, s36
	s_add_i32 s2, s5, 31
	s_add_i32 s5, s5, 3
	s_ashr_i32 s24, s2, 31
	v_sub_nc_u32_e32 v7, v0, v7
	v_rcp_iflag_f32_e32 v8, v8
	v_add_nc_u32_e32 v9, 1, v1
	s_ashr_i32 s25, s5, 31
	s_lshr_b32 s24, s24, 27
	v_subrev_nc_u32_e32 v10, s12, v7
	v_cmp_le_u32_e32 vcc_lo, s12, v7
	s_lshr_b32 s25, s25, 30
	s_add_i32 s2, s2, s24
	s_add_i32 s5, s5, s25
	s_sub_i32 s28, 0, s36
	s_waitcnt_depctr 0xfff
	v_dual_mul_f32 v8, 0x4f7ffffe, v8 :: v_dual_cndmask_b32 v1, v1, v9
	v_cndmask_b32_e32 v7, v7, v10, vcc_lo
	s_ashr_i32 s24, s2, 5
	s_and_b32 s30, s5, -4
	s_xor_b32 s38, s35, -1
	v_add_nc_u32_e32 v9, 1, v1
	v_cmp_le_u32_e32 vcc_lo, s12, v7
	v_cvt_u32_f32_e32 v7, v8
	s_delay_alu instid0(VALU_DEP_3) | instskip(NEXT) | instid1(VALU_DEP_2)
	v_cndmask_b32_e32 v1, v1, v9, vcc_lo
	v_readfirstlane_b32 s25, v7
	s_delay_alu instid0(VALU_DEP_2)
	v_mul_lo_u32 v8, v1, s12
	v_lshlrev_b32_e32 v7, 5, v1
	v_lshlrev_b32_e32 v9, 6, v1
	v_lshrrev_b32_e32 v10, 1, v1
	v_cmp_gt_i32_e32 vcc_lo, s1, v1
	s_mul_i32 s28, s28, s25
	v_and_b32_e32 v7, 0x7f00, v7
	v_and_b32_e32 v9, 0xc0, v9
	;; [unrolled: 1-line block ×3, first 2 shown]
	v_sub_nc_u32_e32 v8, v0, v8
	v_cmp_gt_u32_e64 s1, s24, v0
	s_mul_hi_u32 s5, s25, s28
                                        ; implicit-def: $vgpr1
	s_delay_alu instid0(VALU_DEP_3) | instskip(NEXT) | instid1(VALU_DEP_3)
	v_or3_b32 v7, v9, v7, v10
	v_cmp_eq_u32_e64 s2, 0, v8
	s_add_i32 s5, s25, s5
	s_delay_alu instid0(VALU_DEP_1)
	s_and_b32 s37, s2, vcc_lo
	s_branch .LBB235_3
.LBB235_2:                              ;   in Loop: Header=BB235_3 Depth=1
	s_add_i32 s15, s15, s10
	s_delay_alu instid0(SALU_CYCLE_1) | instskip(SKIP_1) | instid1(SALU_CYCLE_1)
	s_cmp_lt_i32 s15, s9
	s_cselect_b32 s2, -1, 0
	s_and_b32 s2, s39, s2
	s_delay_alu instid0(SALU_CYCLE_1)
	s_and_b32 vcc_lo, exec_lo, s2
	s_cbranch_vccz .LBB235_42
.LBB235_3:                              ; =>This Loop Header: Depth=1
                                        ;     Child Loop BB235_13 Depth 2
	s_abs_i32 s2, s15
	s_delay_alu instid0(SALU_CYCLE_1) | instskip(NEXT) | instid1(SALU_CYCLE_1)
	s_mul_hi_u32 s24, s2, s5
	s_mul_i32 s24, s24, s36
	s_delay_alu instid0(SALU_CYCLE_1) | instskip(SKIP_4) | instid1(SALU_CYCLE_1)
	s_sub_i32 s24, s2, s24
	s_ashr_i32 s2, s15, 31
	s_sub_i32 s25, s24, s36
	s_cmp_ge_u32 s24, s36
	s_cselect_b32 s24, s25, s24
	s_sub_i32 s25, s24, s36
	s_cmp_ge_u32 s24, s36
	s_cselect_b32 s24, s25, s24
	s_delay_alu instid0(SALU_CYCLE_1) | instskip(NEXT) | instid1(SALU_CYCLE_1)
	s_xor_b32 s24, s24, s2
	s_sub_i32 s25, s24, s2
	s_delay_alu instid0(SALU_CYCLE_1) | instskip(NEXT) | instid1(SALU_CYCLE_1)
	s_sub_i32 s28, s15, s25
	s_mul_i32 s28, s28, s8
	s_delay_alu instid0(SALU_CYCLE_1)
	s_add_i32 s28, s28, s25
	s_waitcnt lgkmcnt(0)
	s_cmp_lt_i32 s28, s3
	s_cselect_b32 s39, -1, 0
	s_cmp_ge_i32 s28, s3
	s_cbranch_scc1 .LBB235_2
; %bb.4:                                ;   in Loop: Header=BB235_3 Depth=1
	s_and_saveexec_b32 s25, s0
	s_cbranch_execz .LBB235_8
; %bb.5:                                ;   in Loop: Header=BB235_3 Depth=1
	s_waitcnt vmcnt(0)
	v_dual_mov_b32 v1, s4 :: v_dual_add_nc_u32 v0, s28, v6
	s_mov_b32 s28, exec_lo
	s_delay_alu instid0(VALU_DEP_1)
	v_cmpx_gt_i32_e64 s3, v0
	s_cbranch_execz .LBB235_7
; %bb.6:                                ;   in Loop: Header=BB235_3 Depth=1
	v_ashrrev_i32_e32 v1, 31, v0
	s_delay_alu instid0(VALU_DEP_1) | instskip(NEXT) | instid1(VALU_DEP_1)
	v_lshlrev_b64 v[0:1], 2, v[0:1]
	v_add_co_u32 v0, vcc_lo, s22, v0
	s_delay_alu instid0(VALU_DEP_2)
	v_add_co_ci_u32_e32 v1, vcc_lo, s23, v1, vcc_lo
	global_load_b32 v1, v[0:1], off
.LBB235_7:                              ;   in Loop: Header=BB235_3 Depth=1
	s_or_b32 exec_lo, exec_lo, s28
.LBB235_8:                              ;   in Loop: Header=BB235_3 Depth=1
	s_delay_alu instid0(SALU_CYCLE_1) | instskip(NEXT) | instid1(SALU_CYCLE_1)
	s_or_b32 exec_lo, exec_lo, s25
	s_and_not1_b32 vcc_lo, exec_lo, s34
	s_cbranch_vccnz .LBB235_2
; %bb.9:                                ;   in Loop: Header=BB235_3 Depth=1
	s_add_i32 s25, s15, s2
	s_waitcnt vmcnt(0)
	v_and_b32_e32 v0, 0xffffff, v1
	s_sub_i32 s25, s25, s24
	v_ashrrev_i32_e32 v8, 24, v1
	s_mul_i32 s25, s8, s25
	s_mov_b32 s41, 0
	s_add_i32 s24, s24, s25
	s_delay_alu instid0(SALU_CYCLE_1)
	s_sub_i32 s40, s24, s2
	s_branch .LBB235_13
.LBB235_10:                             ;   in Loop: Header=BB235_13 Depth=2
	s_or_b32 exec_lo, exec_lo, s2
.LBB235_11:                             ;   in Loop: Header=BB235_13 Depth=2
	s_add_i32 s41, s41, 1
	s_add_i32 s40, s40, s7
	s_cmp_eq_u32 s8, s41
	s_cselect_b32 s2, -1, 0
.LBB235_12:                             ;   in Loop: Header=BB235_13 Depth=2
	s_delay_alu instid0(SALU_CYCLE_1)
	s_and_b32 vcc_lo, exec_lo, s2
	s_cbranch_vccnz .LBB235_2
.LBB235_13:                             ;   Parent Loop BB235_3 Depth=1
                                        ; =>  This Inner Loop Header: Depth=2
	v_readlane_b32 s24, v0, s41
	v_readlane_b32 s29, v8, s41
	s_mov_b32 s2, -1
	s_delay_alu instid0(VALU_DEP_2)
	s_cmp_ge_i32 s24, s4
	s_cbranch_scc1 .LBB235_12
; %bb.14:                               ;   in Loop: Header=BB235_13 Depth=2
	s_mul_i32 s2, s24, s11
	s_delay_alu instid0(SALU_CYCLE_1) | instskip(SKIP_2) | instid1(SALU_CYCLE_1)
	s_add_i32 s2, s2, s29
	s_and_b32 s25, s35, exec_lo
	s_cselect_b32 s28, s24, s2
	s_mul_hi_i32 s25, s28, s13
	s_mul_i32 s24, s28, s13
	s_delay_alu instid0(SALU_CYCLE_1) | instskip(NEXT) | instid1(SALU_CYCLE_1)
	s_lshl_b64 s[24:25], s[24:25], 1
	s_add_u32 s24, s20, s24
	s_addc_u32 s2, s21, s25
	s_delay_alu instid0(SALU_CYCLE_1)
	s_and_b32 s25, s2, 0xffff
	s_clause 0x3
	buffer_load_b128 v[9:12], v3, s[24:27], 0 offen
	buffer_load_b128 v[19:22], v3, s[24:27], 16 offen
	;; [unrolled: 1-line block ×4, first 2 shown]
	s_cmp_lt_i32 s12, 8
	s_waitcnt vmcnt(3)
	v_and_b32_e32 v13, 0xffff, v9
	v_lshrrev_b32_e32 v14, 16, v9
	v_and_b32_e32 v15, 0xffff, v10
	v_lshrrev_b32_e32 v16, 16, v10
	v_and_b32_e32 v17, 0xffff, v11
	v_cvt_f32_u32_e32 v9, v13
	v_cvt_f32_u32_e32 v10, v14
	v_lshrrev_b32_e32 v11, 16, v11
	v_cvt_f32_u32_e32 v13, v15
	v_cvt_f32_u32_e32 v14, v16
	v_and_b32_e32 v16, 0xffff, v12
	v_max3_f32 v15, v9, 0x2edbe6ff, v10
	v_lshrrev_b32_e32 v12, 16, v12
	v_cvt_f32_u32_e32 v17, v17
	v_cvt_f32_u32_e32 v18, v11
	;; [unrolled: 1-line block ×3, first 2 shown]
	v_max3_f32 v11, v15, v13, v14
	s_waitcnt vmcnt(2)
	v_and_b32_e32 v15, 0xffff, v19
	v_lshrrev_b32_e32 v19, 16, v19
	v_cvt_f32_u32_e32 v26, v12
	v_and_b32_e32 v12, 0xffff, v20
	v_max3_f32 v11, v11, v17, v18
	v_lshrrev_b32_e32 v16, 16, v20
	v_cvt_f32_u32_e32 v29, v15
	v_cvt_f32_u32_e32 v30, v19
	v_and_b32_e32 v15, 0xffff, v21
	v_max3_f32 v11, v11, v25, v26
	v_lshrrev_b32_e32 v19, 16, v21
	v_cvt_f32_u32_e32 v40, v12
	;; [unrolled: 5-line block ×3, first 2 shown]
	v_cvt_f32_u32_e32 v28, v19
	s_waitcnt vmcnt(1)
	v_and_b32_e32 v15, 0xffff, v32
	v_max3_f32 v11, v11, v40, v31
	v_lshrrev_b32_e32 v19, 16, v32
	v_cvt_f32_u32_e32 v37, v12
	v_cvt_f32_u32_e32 v38, v16
	v_and_b32_e32 v20, 0xffff, v33
	v_max3_f32 v16, v11, v27, v28
	v_lshrrev_b32_e32 v21, 16, v33
	v_cvt_f32_u32_e32 v11, v15
	v_cvt_f32_u32_e32 v12, v19
	v_lshrrev_b32_e32 v22, 16, v34
	v_max3_f32 v15, v16, v37, v38
	v_and_b32_e32 v16, 0xffff, v34
	v_cvt_f32_u32_e32 v19, v20
	v_cvt_f32_u32_e32 v20, v21
	v_and_b32_e32 v23, 0xffff, v35
	v_max3_f32 v21, v15, v11, v12
	v_lshrrev_b32_e32 v24, 16, v35
	v_cvt_f32_u32_e32 v15, v16
	v_cvt_f32_u32_e32 v16, v22
	s_waitcnt vmcnt(0)
	v_and_b32_e32 v33, 0xffff, v41
	v_max3_f32 v32, v21, v19, v20
	v_lshrrev_b32_e32 v34, 16, v41
	v_cvt_f32_u32_e32 v21, v23
	v_cvt_f32_u32_e32 v22, v24
	v_and_b32_e32 v35, 0xffff, v42
	v_max3_f32 v32, v32, v15, v16
	v_lshrrev_b32_e32 v36, 16, v42
	v_cvt_f32_u32_e32 v23, v33
	v_cvt_f32_u32_e32 v24, v34
	v_and_b32_e32 v39, 0xffff, v43
	v_max3_f32 v34, v32, v21, v22
	v_lshrrev_b32_e32 v41, 16, v43
	v_cvt_f32_u32_e32 v32, v35
	v_cvt_f32_u32_e32 v33, v36
	v_and_b32_e32 v42, 0xffff, v44
	v_max3_f32 v36, v34, v23, v24
	v_cvt_f32_u32_e32 v34, v39
	v_cvt_f32_u32_e32 v35, v41
	v_lshrrev_b32_e32 v41, 16, v44
	s_delay_alu instid0(VALU_DEP_4) | instskip(SKIP_1) | instid1(VALU_DEP_2)
	v_max3_f32 v39, v36, v32, v33
	v_cvt_f32_u32_e32 v36, v42
	v_max3_f32 v42, v39, v34, v35
	s_delay_alu instid0(VALU_DEP_4) | instskip(NEXT) | instid1(VALU_DEP_1)
	v_cvt_f32_u32_e32 v39, v41
	v_max3_f32 v41, v42, v36, v39
	s_cbranch_scc1 .LBB235_20
; %bb.15:                               ;   in Loop: Header=BB235_13 Depth=2
	s_cmp_lt_i32 s12, 16
	s_cbranch_scc1 .LBB235_21
; %bb.16:                               ;   in Loop: Header=BB235_13 Depth=2
	s_cmp_lt_i32 s12, 32
	s_cbranch_scc1 .LBB235_22
; %bb.17:                               ;   in Loop: Header=BB235_13 Depth=2
	v_mov_b32_e32 v42, v41
	s_cmp_eq_u32 s12, 32
	s_cbranch_scc0 .LBB235_19
; %bb.18:                               ;   in Loop: Header=BB235_13 Depth=2
	s_delay_alu instid0(VALU_DEP_1) | instskip(NEXT) | instid1(VALU_DEP_1)
	v_mov_b32_dpp v42, v41 quad_perm:[1,0,3,2] row_mask:0xf bank_mask:0xf
	v_cmp_gt_f32_e32 vcc_lo, v41, v42
	v_cndmask_b32_e32 v42, v42, v41, vcc_lo
	s_delay_alu instid0(VALU_DEP_1) | instskip(NEXT) | instid1(VALU_DEP_1)
	v_mov_b32_dpp v43, v42 quad_perm:[2,3,0,1] row_mask:0xf bank_mask:0xf
	v_cmp_gt_f32_e32 vcc_lo, v42, v43
	v_cndmask_b32_e32 v42, v43, v42, vcc_lo
	s_delay_alu instid0(VALU_DEP_1) | instskip(NEXT) | instid1(VALU_DEP_1)
	v_mov_b32_dpp v43, v42 row_xmask:7 row_mask:0xf bank_mask:0xf
	v_cmp_gt_f32_e32 vcc_lo, v42, v43
	v_cndmask_b32_e32 v42, v43, v42, vcc_lo
	s_delay_alu instid0(VALU_DEP_1) | instskip(NEXT) | instid1(VALU_DEP_1)
	v_mov_b32_dpp v43, v42 row_xmask:15 row_mask:0xf bank_mask:0xf
	v_cmp_gt_f32_e32 vcc_lo, v42, v43
	v_cndmask_b32_e32 v42, v43, v42, vcc_lo
	s_delay_alu instid0(VALU_DEP_1) | instskip(NEXT) | instid1(VALU_DEP_1)
	v_permlanex16_b32 v43, v42, s14, 0xfedcba98 op_sel:[1,1]
	v_cmp_gt_f32_e32 vcc_lo, v42, v43
	v_cndmask_b32_e32 v42, v43, v42, vcc_lo
.LBB235_19:                             ;   in Loop: Header=BB235_13 Depth=2
	s_cbranch_execz .LBB235_23
	s_branch .LBB235_25
.LBB235_20:                             ;   in Loop: Header=BB235_13 Depth=2
                                        ; implicit-def: $vgpr42
	s_branch .LBB235_29
.LBB235_21:                             ;   in Loop: Header=BB235_13 Depth=2
                                        ; implicit-def: $vgpr42
	s_branch .LBB235_26
.LBB235_22:                             ;   in Loop: Header=BB235_13 Depth=2
                                        ; implicit-def: $vgpr42
.LBB235_23:                             ;   in Loop: Header=BB235_13 Depth=2
	v_mov_b32_e32 v42, v41
	s_cmp_eq_u32 s12, 16
	s_cbranch_scc0 .LBB235_25
; %bb.24:                               ;   in Loop: Header=BB235_13 Depth=2
	s_delay_alu instid0(VALU_DEP_1) | instskip(NEXT) | instid1(VALU_DEP_1)
	v_mov_b32_dpp v42, v41 quad_perm:[1,0,3,2] row_mask:0xf bank_mask:0xf
	v_cmp_gt_f32_e32 vcc_lo, v41, v42
	v_cndmask_b32_e32 v42, v42, v41, vcc_lo
	s_delay_alu instid0(VALU_DEP_1) | instskip(NEXT) | instid1(VALU_DEP_1)
	v_mov_b32_dpp v43, v42 quad_perm:[2,3,0,1] row_mask:0xf bank_mask:0xf
	v_cmp_gt_f32_e32 vcc_lo, v42, v43
	v_cndmask_b32_e32 v42, v43, v42, vcc_lo
	s_delay_alu instid0(VALU_DEP_1) | instskip(NEXT) | instid1(VALU_DEP_1)
	v_mov_b32_dpp v43, v42 row_half_mirror row_mask:0xf bank_mask:0xf
	v_cmp_gt_f32_e32 vcc_lo, v42, v43
	v_cndmask_b32_e32 v42, v43, v42, vcc_lo
	s_delay_alu instid0(VALU_DEP_1) | instskip(NEXT) | instid1(VALU_DEP_1)
	v_mov_b32_dpp v43, v42 row_mirror row_mask:0xf bank_mask:0xf
	v_cmp_gt_f32_e32 vcc_lo, v42, v43
	v_cndmask_b32_e32 v42, v43, v42, vcc_lo
.LBB235_25:                             ;   in Loop: Header=BB235_13 Depth=2
	s_cbranch_execnz .LBB235_28
.LBB235_26:                             ;   in Loop: Header=BB235_13 Depth=2
	v_mov_b32_e32 v42, v41
	s_cmp_eq_u32 s12, 8
	s_cbranch_scc0 .LBB235_28
; %bb.27:                               ;   in Loop: Header=BB235_13 Depth=2
	s_delay_alu instid0(VALU_DEP_1) | instskip(NEXT) | instid1(VALU_DEP_1)
	v_mov_b32_dpp v42, v41 quad_perm:[1,0,3,2] row_mask:0xf bank_mask:0xf
	v_cmp_gt_f32_e32 vcc_lo, v41, v42
	v_cndmask_b32_e32 v42, v42, v41, vcc_lo
	s_delay_alu instid0(VALU_DEP_1) | instskip(NEXT) | instid1(VALU_DEP_1)
	v_mov_b32_dpp v43, v42 quad_perm:[2,3,0,1] row_mask:0xf bank_mask:0xf
	v_cmp_gt_f32_e32 vcc_lo, v42, v43
	v_cndmask_b32_e32 v42, v43, v42, vcc_lo
	s_delay_alu instid0(VALU_DEP_1) | instskip(NEXT) | instid1(VALU_DEP_1)
	v_mov_b32_dpp v43, v42 row_half_mirror row_mask:0xf bank_mask:0xf
	v_cmp_gt_f32_e32 vcc_lo, v42, v43
	v_cndmask_b32_e32 v42, v43, v42, vcc_lo
.LBB235_28:                             ;   in Loop: Header=BB235_13 Depth=2
	s_cbranch_execnz .LBB235_37
.LBB235_29:                             ;   in Loop: Header=BB235_13 Depth=2
	s_cmp_lt_i32 s12, 4
	s_cbranch_scc1 .LBB235_32
; %bb.30:                               ;   in Loop: Header=BB235_13 Depth=2
	v_mov_b32_e32 v42, v41
	s_cmp_eq_u32 s12, 4
	s_cbranch_scc0 .LBB235_33
; %bb.31:                               ;   in Loop: Header=BB235_13 Depth=2
	s_delay_alu instid0(VALU_DEP_1) | instskip(NEXT) | instid1(VALU_DEP_1)
	v_mov_b32_dpp v42, v41 quad_perm:[1,0,3,2] row_mask:0xf bank_mask:0xf
	v_cmp_gt_f32_e32 vcc_lo, v41, v42
	v_cndmask_b32_e32 v42, v42, v41, vcc_lo
	s_delay_alu instid0(VALU_DEP_1) | instskip(NEXT) | instid1(VALU_DEP_1)
	v_mov_b32_dpp v43, v42 quad_perm:[2,3,0,1] row_mask:0xf bank_mask:0xf
	v_cmp_gt_f32_e32 vcc_lo, v42, v43
	v_cndmask_b32_e32 v42, v43, v42, vcc_lo
	s_cbranch_execz .LBB235_34
	s_branch .LBB235_37
.LBB235_32:                             ;   in Loop: Header=BB235_13 Depth=2
                                        ; implicit-def: $vgpr42
	s_branch .LBB235_34
.LBB235_33:                             ;   in Loop: Header=BB235_13 Depth=2
	s_cbranch_execnz .LBB235_37
.LBB235_34:                             ;   in Loop: Header=BB235_13 Depth=2
	s_cmp_lg_u32 s12, 2
	s_cbranch_scc1 .LBB235_36
; %bb.35:                               ;   in Loop: Header=BB235_13 Depth=2
	v_mov_b32_dpp v42, v41 quad_perm:[1,0,3,2] row_mask:0xf bank_mask:0xf
	s_delay_alu instid0(VALU_DEP_1)
	v_cmp_gt_f32_e32 vcc_lo, v41, v42
	v_cndmask_b32_e32 v41, v42, v41, vcc_lo
.LBB235_36:                             ;   in Loop: Header=BB235_13 Depth=2
	s_delay_alu instid0(VALU_DEP_1)
	v_mov_b32_e32 v42, v41
.LBB235_37:                             ;   in Loop: Header=BB235_13 Depth=2
	s_delay_alu instid0(VALU_DEP_1) | instskip(NEXT) | instid1(VALU_DEP_1)
	v_mul_f32_e32 v41, 0x3b124925, v42
	v_bfe_u32 v42, v41, 23, 8
	v_and_b32_e32 v41, 0x7fffff, v41
	s_delay_alu instid0(VALU_DEP_2) | instskip(NEXT) | instid1(VALU_DEP_2)
	v_cmp_ne_u32_e32 vcc_lo, 0xff, v42
	v_cmp_ne_u32_e64 s2, 0, v41
	s_delay_alu instid0(VALU_DEP_1)
	s_and_b32 vcc_lo, s2, vcc_lo
	v_add_co_ci_u32_e32 v41, vcc_lo, 0, v42, vcc_lo
	s_and_saveexec_b32 s2, s37
	s_cbranch_execz .LBB235_39
; %bb.38:                               ;   in Loop: Header=BB235_13 Depth=2
	s_ashr_i32 s24, s40, 31
	s_delay_alu instid0(SALU_CYCLE_1)
	s_lshr_b32 s25, s24, 27
	s_lshr_b32 s24, s24, 28
	s_add_i32 s25, s40, s25
	s_add_i32 s24, s40, s24
	s_and_b32 s31, s25, 0xffe0
	s_and_b32 s24, s24, 0x3ffffff0
	s_sub_i32 s31, s40, s31
	s_sub_i32 s24, s40, s24
	s_bfe_i32 s42, s31, 0x80000
	s_lshl_b32 s24, s24, 2
	v_lshrrev_b16 v42, 11, s42
	s_delay_alu instid0(VALU_DEP_1) | instskip(NEXT) | instid1(VALU_DEP_1)
	v_and_b32_e32 v42, 15, v42
	v_add_nc_u16 v42, s31, v42
	s_delay_alu instid0(VALU_DEP_1) | instskip(NEXT) | instid1(VALU_DEP_1)
	v_bfe_i32 v42, v42, 0, 8
	v_ashrrev_i16 v42, 4, v42
	s_delay_alu instid0(VALU_DEP_1) | instskip(NEXT) | instid1(VALU_DEP_1)
	v_bfe_i32 v42, v42, 0, 16
	v_add_nc_u32_e32 v42, s24, v42
	s_ashr_i32 s24, s25, 5
	s_delay_alu instid0(SALU_CYCLE_1)
	s_mul_i32 s24, s33, s24
	s_delay_alu instid0(VALU_DEP_1) | instid1(SALU_CYCLE_1)
	v_add3_u32 v42, v42, s24, v7
	s_delay_alu instid0(VALU_DEP_1) | instskip(SKIP_1) | instid1(VALU_DEP_2)
	v_ashrrev_i32_e32 v43, 31, v42
	v_add_co_u32 v42, vcc_lo, s18, v42
	v_add_co_ci_u32_e32 v43, vcc_lo, s19, v43, vcc_lo
	global_store_b8 v[42:43], v41, off
.LBB235_39:                             ;   in Loop: Header=BB235_13 Depth=2
	s_or_b32 exec_lo, exec_lo, s2
	s_cmp_ge_i32 s29, s11
	s_cselect_b32 s2, -1, 0
	s_delay_alu instid0(SALU_CYCLE_1) | instskip(NEXT) | instid1(SALU_CYCLE_1)
	s_and_b32 s2, s38, s2
	s_and_b32 vcc_lo, exec_lo, s2
	s_cbranch_vccnz .LBB235_11
; %bb.40:                               ;   in Loop: Header=BB235_13 Depth=2
	s_and_saveexec_b32 s2, s1
	s_cbranch_execz .LBB235_10
; %bb.41:                               ;   in Loop: Header=BB235_13 Depth=2
	v_lshlrev_b32_e32 v41, 23, v41
	s_mul_i32 s24, s28, s6
	s_mul_hi_i32 s25, s28, s6
	s_add_u32 s28, s16, s24
	s_addc_u32 s24, s17, s25
	v_rcp_f32_e32 v41, v41
	s_mov_b32 s31, s27
	s_and_b32 s29, s24, 0xffff
	s_waitcnt_depctr 0xfff
	v_mul_f32_e32 v9, v41, v9
	v_mul_f32_e32 v10, v41, v10
	;; [unrolled: 1-line block ×4, first 2 shown]
	;;#ASMSTART
	v_med3_f32 v9, v9, v4, v5
v_med3_f32 v10, v10, v4, v5
v_cvt_pk_fp8_f32 v42, v9, v10
	;;#ASMEND
	;;#ASMSTART
	v_med3_f32 v13, v13, v4, v5
v_med3_f32 v14, v14, v4, v5
v_cvt_pk_fp8_f32 v9, v13, v14
	;;#ASMEND
	v_perm_b32 v10, v9, v42, 0x5040100
	v_mul_f32_e32 v17, v41, v17
	v_mul_f32_e32 v18, v41, v18
	;; [unrolled: 1-line block ×4, first 2 shown]
	;;#ASMSTART
	v_med3_f32 v17, v17, v4, v5
v_med3_f32 v18, v18, v4, v5
v_cvt_pk_fp8_f32 v14, v17, v18
	;;#ASMEND
	v_mul_f32_e32 v29, v41, v29
	v_mul_f32_e32 v30, v41, v30
	;; [unrolled: 1-line block ×4, first 2 shown]
	;;#ASMSTART
	v_med3_f32 v25, v25, v4, v5
v_med3_f32 v26, v26, v4, v5
v_cvt_pk_fp8_f32 v17, v25, v26
	;;#ASMEND
	v_perm_b32 v25, v10, v9, 0x1060504
	v_mul_f32_e32 v9, v41, v27
	v_mul_f32_e32 v10, v41, v28
	;;#ASMSTART
	v_med3_f32 v29, v29, v4, v5
v_med3_f32 v30, v30, v4, v5
v_cvt_pk_fp8_f32 v18, v29, v30
	;;#ASMEND
	;;#ASMSTART
	v_med3_f32 v40, v40, v4, v5
v_med3_f32 v13, v13, v4, v5
v_cvt_pk_fp8_f32 v27, v40, v13
	;;#ASMEND
	v_perm_b32 v26, v14, v17, 0x1000504
	v_mul_f32_e32 v14, v41, v37
	v_mul_f32_e32 v17, v41, v38
	;;#ASMSTART
	v_med3_f32 v9, v9, v4, v5
v_med3_f32 v10, v10, v4, v5
v_cvt_pk_fp8_f32 v13, v9, v10
	;;#ASMEND
	v_perm_b32 v27, v18, v27, 0x1000504
	;;#ASMSTART
	v_med3_f32 v14, v14, v4, v5
v_med3_f32 v17, v17, v4, v5
v_cvt_pk_fp8_f32 v9, v14, v17
	;;#ASMEND
	v_perm_b32 v28, v13, v9, 0x1000504
	v_mul_f32_e32 v9, v41, v11
	v_mul_f32_e32 v10, v41, v12
	;; [unrolled: 1-line block ×4, first 2 shown]
	buffer_store_b128 v[25:28], v2, s[28:31], 0 offen
	;;#ASMSTART
	s_nop 0
	;;#ASMEND
	;;#ASMSTART
	v_med3_f32 v9, v9, v4, v5
v_med3_f32 v10, v10, v4, v5
v_cvt_pk_fp8_f32 v13, v9, v10
	;;#ASMEND
	;;#ASMSTART
	v_med3_f32 v11, v11, v4, v5
v_med3_f32 v12, v12, v4, v5
v_cvt_pk_fp8_f32 v9, v11, v12
	;;#ASMEND
	v_perm_b32 v10, v9, v13, 0x5040100
	v_mul_f32_e32 v11, v41, v15
	v_mul_f32_e32 v12, v41, v16
	;; [unrolled: 1-line block ×4, first 2 shown]
	v_perm_b32 v9, v10, v9, 0x1060504
	;;#ASMSTART
	v_med3_f32 v11, v11, v4, v5
v_med3_f32 v12, v12, v4, v5
v_cvt_pk_fp8_f32 v10, v11, v12
	;;#ASMEND
	;;#ASMSTART
	v_med3_f32 v13, v13, v4, v5
v_med3_f32 v14, v14, v4, v5
v_cvt_pk_fp8_f32 v11, v13, v14
	;;#ASMEND
	v_perm_b32 v10, v10, v11, 0x1000504
	v_mul_f32_e32 v11, v41, v23
	v_mul_f32_e32 v12, v41, v24
	;; [unrolled: 1-line block ×6, first 2 shown]
	;;#ASMSTART
	v_med3_f32 v11, v11, v4, v5
v_med3_f32 v12, v12, v4, v5
v_cvt_pk_fp8_f32 v19, v11, v12
	;;#ASMEND
	v_mul_f32_e32 v17, v41, v36
	v_mul_f32_e32 v18, v41, v39
	;;#ASMSTART
	v_med3_f32 v13, v13, v4, v5
v_med3_f32 v14, v14, v4, v5
v_cvt_pk_fp8_f32 v11, v13, v14
	;;#ASMEND
	;;#ASMSTART
	v_med3_f32 v15, v15, v4, v5
v_med3_f32 v16, v16, v4, v5
v_cvt_pk_fp8_f32 v12, v15, v16
	;;#ASMEND
	v_perm_b32 v11, v19, v11, 0x1000504
	;;#ASMSTART
	v_med3_f32 v17, v17, v4, v5
v_med3_f32 v18, v18, v4, v5
v_cvt_pk_fp8_f32 v13, v17, v18
	;;#ASMEND
	v_perm_b32 v12, v12, v13, 0x1000504
	buffer_store_b128 v[9:12], v2, s[28:31], 16 offen
	;;#ASMSTART
	s_nop 0
	;;#ASMEND
	s_branch .LBB235_10
.LBB235_42:
	s_nop 0
	s_sendmsg sendmsg(MSG_DEALLOC_VGPRS)
	s_endpgm
	.section	.rodata,"a",@progbits
	.p2align	6, 0x0
	.amdhsa_kernel _ZN5aiter30fused_mx_quant_moe_sort_kernelItDB8_Li256ELi32EEEvPT0_PhPKT_PKiS9_iiiiiiiii
		.amdhsa_group_segment_fixed_size 0
		.amdhsa_private_segment_fixed_size 0
		.amdhsa_kernarg_size 76
		.amdhsa_user_sgpr_count 15
		.amdhsa_user_sgpr_dispatch_ptr 0
		.amdhsa_user_sgpr_queue_ptr 0
		.amdhsa_user_sgpr_kernarg_segment_ptr 1
		.amdhsa_user_sgpr_dispatch_id 0
		.amdhsa_user_sgpr_private_segment_size 0
		.amdhsa_wavefront_size32 1
		.amdhsa_uses_dynamic_stack 0
		.amdhsa_enable_private_segment 0
		.amdhsa_system_sgpr_workgroup_id_x 1
		.amdhsa_system_sgpr_workgroup_id_y 0
		.amdhsa_system_sgpr_workgroup_id_z 0
		.amdhsa_system_sgpr_workgroup_info 0
		.amdhsa_system_vgpr_workitem_id 0
		.amdhsa_next_free_vgpr 45
		.amdhsa_next_free_sgpr 43
		.amdhsa_reserve_vcc 1
		.amdhsa_float_round_mode_32 0
		.amdhsa_float_round_mode_16_64 0
		.amdhsa_float_denorm_mode_32 3
		.amdhsa_float_denorm_mode_16_64 3
		.amdhsa_dx10_clamp 1
		.amdhsa_ieee_mode 1
		.amdhsa_fp16_overflow 0
		.amdhsa_workgroup_processor_mode 1
		.amdhsa_memory_ordered 1
		.amdhsa_forward_progress 0
		.amdhsa_shared_vgpr_count 0
		.amdhsa_exception_fp_ieee_invalid_op 0
		.amdhsa_exception_fp_denorm_src 0
		.amdhsa_exception_fp_ieee_div_zero 0
		.amdhsa_exception_fp_ieee_overflow 0
		.amdhsa_exception_fp_ieee_underflow 0
		.amdhsa_exception_fp_ieee_inexact 0
		.amdhsa_exception_int_div_zero 0
	.end_amdhsa_kernel
	.section	.text._ZN5aiter30fused_mx_quant_moe_sort_kernelItDB8_Li256ELi32EEEvPT0_PhPKT_PKiS9_iiiiiiiii,"axG",@progbits,_ZN5aiter30fused_mx_quant_moe_sort_kernelItDB8_Li256ELi32EEEvPT0_PhPKT_PKiS9_iiiiiiiii,comdat
.Lfunc_end235:
	.size	_ZN5aiter30fused_mx_quant_moe_sort_kernelItDB8_Li256ELi32EEEvPT0_PhPKT_PKiS9_iiiiiiiii, .Lfunc_end235-_ZN5aiter30fused_mx_quant_moe_sort_kernelItDB8_Li256ELi32EEEvPT0_PhPKT_PKiS9_iiiiiiiii
                                        ; -- End function
	.section	.AMDGPU.csdata,"",@progbits
; Kernel info:
; codeLenInByte = 3564
; NumSgprs: 45
; NumVgprs: 45
; ScratchSize: 0
; MemoryBound: 0
; FloatMode: 240
; IeeeMode: 1
; LDSByteSize: 0 bytes/workgroup (compile time only)
; SGPRBlocks: 5
; VGPRBlocks: 5
; NumSGPRsForWavesPerEU: 45
; NumVGPRsForWavesPerEU: 45
; Occupancy: 16
; WaveLimiterHint : 0
; COMPUTE_PGM_RSRC2:SCRATCH_EN: 0
; COMPUTE_PGM_RSRC2:USER_SGPR: 15
; COMPUTE_PGM_RSRC2:TRAP_HANDLER: 0
; COMPUTE_PGM_RSRC2:TGID_X_EN: 1
; COMPUTE_PGM_RSRC2:TGID_Y_EN: 0
; COMPUTE_PGM_RSRC2:TGID_Z_EN: 0
; COMPUTE_PGM_RSRC2:TIDIG_COMP_CNT: 0
	.section	.text._ZN5aiter21mxfp4_moe_sort_kernelILi256ELi128ELi4ELi32EEEvPhS1_PKiS3_iiiii,"axG",@progbits,_ZN5aiter21mxfp4_moe_sort_kernelILi256ELi128ELi4ELi32EEEvPhS1_PKiS3_iiiii,comdat
	.protected	_ZN5aiter21mxfp4_moe_sort_kernelILi256ELi128ELi4ELi32EEEvPhS1_PKiS3_iiiii ; -- Begin function _ZN5aiter21mxfp4_moe_sort_kernelILi256ELi128ELi4ELi32EEEvPhS1_PKiS3_iiiii
	.globl	_ZN5aiter21mxfp4_moe_sort_kernelILi256ELi128ELi4ELi32EEEvPhS1_PKiS3_iiiii
	.p2align	8
	.type	_ZN5aiter21mxfp4_moe_sort_kernelILi256ELi128ELi4ELi32EEEvPhS1_PKiS3_iiiii,@function
_ZN5aiter21mxfp4_moe_sort_kernelILi256ELi128ELi4ELi32EEEvPhS1_PKiS3_iiiii: ; @_ZN5aiter21mxfp4_moe_sort_kernelILi256ELi128ELi4ELi32EEEvPhS1_PKiS3_iiiii
; %bb.0:
	s_load_b128 s[8:11], s[0:1], 0x20
	s_waitcnt lgkmcnt(0)
	s_cmp_ge_i32 s15, s10
	s_cbranch_scc1 .LBB236_14
; %bb.1:
	s_clause 0x1
	s_load_b256 s[16:23], s[0:1], 0x0
	s_load_b32 s6, s[0:1], 0x30
	s_add_i32 s0, s9, 31
	v_lshlrev_b32_e32 v1, 2, v0
	s_ashr_i32 s1, s0, 31
	v_lshrrev_b32_e32 v2, 1, v0
	s_lshr_b32 s1, s1, 27
	s_mov_b32 s27, -1
	s_add_i32 s0, s0, s1
	v_and_b32_e32 v0, 4, v1
	s_ashr_i32 s7, s0, 5
	s_delay_alu instid0(SALU_CYCLE_1) | instskip(NEXT) | instid1(SALU_CYCLE_1)
	s_add_i32 s0, s7, 7
	s_lshr_b32 s1, s0, 29
	s_delay_alu instid0(VALU_DEP_1)
	v_or_b32_e32 v1, 1, v0
	s_add_i32 s0, s0, s1
	v_or_b32_e32 v3, 2, v0
	s_lshl_b32 s0, s0, 5
	v_or_b32_e32 v5, 3, v0
	s_waitcnt lgkmcnt(0)
	s_load_b32 s12, s[22:23], 0x0
	s_and_b32 s9, s0, 0xffffff00
	s_and_b32 s19, s19, 0xffff
	s_cmp_eq_u32 s6, 1
	s_mul_i32 s1, s7, s8
	s_cselect_b32 vcc_lo, -1, 0
	s_add_u32 s13, s16, 64
	s_addc_u32 s14, s17, 0
	s_mul_i32 s26, s1, s6
	s_mov_b64 s[24:25], s[18:19]
	v_lshrrev_b32_e32 v4, 1, v0
	v_cmp_gt_i32_e64 s0, s7, v0
	v_cmp_gt_i32_e64 s1, s7, v1
	;; [unrolled: 1-line block ×4, first 2 shown]
	s_add_u32 s18, s16, 0x80
	v_lshl_add_u32 v1, s15, 7, v2
	s_addc_u32 s19, s17, 0
	s_add_u32 s22, s16, 0xc0
	s_addc_u32 s23, s17, 0
	s_lshl_b32 s28, s11, 7
	s_branch .LBB236_3
.LBB236_2:                              ;   in Loop: Header=BB236_3 Depth=1
	s_or_b32 exec_lo, exec_lo, s5
	v_add_nc_u32_e32 v1, s28, v1
	s_add_i32 s15, s15, s11
	s_delay_alu instid0(SALU_CYCLE_1)
	s_cmp_lt_i32 s15, s10
	s_cbranch_scc0 .LBB236_14
.LBB236_3:                              ; =>This Inner Loop Header: Depth=1
	v_mov_b32_e32 v5, s8
	v_ashrrev_i32_e32 v2, 31, v1
	s_mov_b32 s5, exec_lo
	s_waitcnt lgkmcnt(0)
	v_cmpx_gt_i32_e64 s12, v1
	s_cbranch_execz .LBB236_5
; %bb.4:                                ;   in Loop: Header=BB236_3 Depth=1
	v_lshlrev_b64 v[5:6], 2, v[1:2]
	s_delay_alu instid0(VALU_DEP_1) | instskip(NEXT) | instid1(VALU_DEP_1)
	v_add_co_u32 v5, s4, s20, v5
	v_add_co_ci_u32_e64 v6, s4, s21, v6, s4
	global_load_b32 v5, v[5:6], off
.LBB236_5:                              ;   in Loop: Header=BB236_3 Depth=1
	s_or_b32 exec_lo, exec_lo, s5
	s_waitcnt vmcnt(0)
	v_ashrrev_i32_e32 v3, 24, v5
	v_and_b32_e32 v5, 0xffffff, v5
	s_delay_alu instid0(VALU_DEP_2) | instskip(NEXT) | instid1(VALU_DEP_2)
	v_cmp_gt_i32_e64 s4, s6, v3
	v_cmp_gt_i32_e64 s5, s8, v5
	s_delay_alu instid0(VALU_DEP_2)
	s_or_b32 s4, vcc_lo, s4
	s_delay_alu instid0(VALU_DEP_1) | instid1(SALU_CYCLE_1)
	s_and_b32 s4, s5, s4
	s_delay_alu instid0(SALU_CYCLE_1)
	s_and_saveexec_b32 s5, s4
	s_cbranch_execz .LBB236_2
; %bb.6:                                ;   in Loop: Header=BB236_3 Depth=1
	v_mad_u64_u32 v[6:7], null, v5, s6, v[3:4]
	s_delay_alu instid0(VALU_DEP_1) | instskip(NEXT) | instid1(VALU_DEP_1)
	v_cndmask_b32_e32 v3, v6, v5, vcc_lo
	v_mad_u64_u32 v[5:6], null, v3, s7, v[0:1]
	buffer_load_b32 v3, v5, s[24:27], 0 offen
	v_lshrrev_b32_e32 v5, 27, v2
	v_lshrrev_b32_e32 v2, 28, v2
	s_delay_alu instid0(VALU_DEP_2) | instskip(NEXT) | instid1(VALU_DEP_2)
	v_add_nc_u32_e32 v5, v1, v5
	v_add_nc_u32_e32 v2, v1, v2
	s_delay_alu instid0(VALU_DEP_2) | instskip(SKIP_1) | instid1(VALU_DEP_3)
	v_and_b32_e32 v6, 0xffe0, v5
	v_ashrrev_i32_e32 v5, 5, v5
	v_and_b32_e32 v2, 0x3ffffff0, v2
	s_delay_alu instid0(VALU_DEP_3) | instskip(NEXT) | instid1(VALU_DEP_3)
	v_sub_nc_u32_e32 v6, v1, v6
	v_mul_lo_u32 v5, s9, v5
	s_delay_alu instid0(VALU_DEP_3) | instskip(NEXT) | instid1(VALU_DEP_3)
	v_sub_nc_u32_e32 v2, v1, v2
	v_bfe_i32 v7, v6, 0, 8
	s_delay_alu instid0(VALU_DEP_2) | instskip(NEXT) | instid1(VALU_DEP_4)
	v_lshlrev_b32_e32 v2, 2, v2
	v_or_b32_e32 v5, v5, v4
	s_delay_alu instid0(VALU_DEP_3) | instskip(NEXT) | instid1(VALU_DEP_1)
	v_lshrrev_b16 v7, 11, v7
	v_and_b32_e32 v7, 15, v7
	s_delay_alu instid0(VALU_DEP_1) | instskip(NEXT) | instid1(VALU_DEP_1)
	v_add_nc_u16 v6, v6, v7
	v_bfe_i32 v6, v6, 0, 8
	s_delay_alu instid0(VALU_DEP_1) | instskip(NEXT) | instid1(VALU_DEP_1)
	v_ashrrev_i16 v6, 4, v6
	v_bfe_i32 v6, v6, 0, 16
	s_delay_alu instid0(VALU_DEP_1) | instskip(NEXT) | instid1(VALU_DEP_1)
	v_add3_u32 v2, v5, v2, v6
	v_ashrrev_i32_e32 v5, 31, v2
	s_and_saveexec_b32 s29, s0
	s_cbranch_execnz .LBB236_10
; %bb.7:                                ;   in Loop: Header=BB236_3 Depth=1
	s_or_b32 exec_lo, exec_lo, s29
	s_and_saveexec_b32 s29, s1
	s_cbranch_execnz .LBB236_11
.LBB236_8:                              ;   in Loop: Header=BB236_3 Depth=1
	s_or_b32 exec_lo, exec_lo, s29
	s_and_saveexec_b32 s29, s2
	s_cbranch_execnz .LBB236_12
.LBB236_9:                              ;   in Loop: Header=BB236_3 Depth=1
	s_or_b32 exec_lo, exec_lo, s29
	s_delay_alu instid0(SALU_CYCLE_1)
	s_and_b32 exec_lo, exec_lo, s3
	s_cbranch_execz .LBB236_2
	s_branch .LBB236_13
.LBB236_10:                             ;   in Loop: Header=BB236_3 Depth=1
	v_add_co_u32 v6, s4, s16, v2
	s_delay_alu instid0(VALU_DEP_1)
	v_add_co_ci_u32_e64 v7, s4, s17, v5, s4
	s_waitcnt vmcnt(0)
	global_store_b8 v[6:7], v3, off
	s_or_b32 exec_lo, exec_lo, s29
	s_and_saveexec_b32 s29, s1
	s_cbranch_execz .LBB236_8
.LBB236_11:                             ;   in Loop: Header=BB236_3 Depth=1
	v_add_co_u32 v6, s4, s13, v2
	s_waitcnt vmcnt(0)
	v_lshrrev_b32_e32 v8, 8, v3
	v_add_co_ci_u32_e64 v7, s4, s14, v5, s4
	global_store_b8 v[6:7], v8, off
	s_or_b32 exec_lo, exec_lo, s29
	s_and_saveexec_b32 s29, s2
	s_cbranch_execz .LBB236_9
.LBB236_12:                             ;   in Loop: Header=BB236_3 Depth=1
	v_add_co_u32 v6, s4, s18, v2
	s_delay_alu instid0(VALU_DEP_1) | instskip(SKIP_3) | instid1(SALU_CYCLE_1)
	v_add_co_ci_u32_e64 v7, s4, s19, v5, s4
	s_waitcnt vmcnt(0)
	global_store_d16_hi_b8 v[6:7], v3, off
	s_or_b32 exec_lo, exec_lo, s29
	s_and_b32 exec_lo, exec_lo, s3
	s_cbranch_execz .LBB236_2
.LBB236_13:                             ;   in Loop: Header=BB236_3 Depth=1
	v_add_co_u32 v2, s4, s22, v2
	s_waitcnt vmcnt(0)
	v_lshrrev_b32_e32 v6, 24, v3
	v_add_co_ci_u32_e64 v3, s4, s23, v5, s4
	global_store_b8 v[2:3], v6, off
	s_branch .LBB236_2
.LBB236_14:
	s_nop 0
	s_sendmsg sendmsg(MSG_DEALLOC_VGPRS)
	s_endpgm
	.section	.rodata,"a",@progbits
	.p2align	6, 0x0
	.amdhsa_kernel _ZN5aiter21mxfp4_moe_sort_kernelILi256ELi128ELi4ELi32EEEvPhS1_PKiS3_iiiii
		.amdhsa_group_segment_fixed_size 0
		.amdhsa_private_segment_fixed_size 0
		.amdhsa_kernarg_size 52
		.amdhsa_user_sgpr_count 15
		.amdhsa_user_sgpr_dispatch_ptr 0
		.amdhsa_user_sgpr_queue_ptr 0
		.amdhsa_user_sgpr_kernarg_segment_ptr 1
		.amdhsa_user_sgpr_dispatch_id 0
		.amdhsa_user_sgpr_private_segment_size 0
		.amdhsa_wavefront_size32 1
		.amdhsa_uses_dynamic_stack 0
		.amdhsa_enable_private_segment 0
		.amdhsa_system_sgpr_workgroup_id_x 1
		.amdhsa_system_sgpr_workgroup_id_y 0
		.amdhsa_system_sgpr_workgroup_id_z 0
		.amdhsa_system_sgpr_workgroup_info 0
		.amdhsa_system_vgpr_workitem_id 0
		.amdhsa_next_free_vgpr 9
		.amdhsa_next_free_sgpr 30
		.amdhsa_reserve_vcc 1
		.amdhsa_float_round_mode_32 0
		.amdhsa_float_round_mode_16_64 0
		.amdhsa_float_denorm_mode_32 3
		.amdhsa_float_denorm_mode_16_64 3
		.amdhsa_dx10_clamp 1
		.amdhsa_ieee_mode 1
		.amdhsa_fp16_overflow 0
		.amdhsa_workgroup_processor_mode 1
		.amdhsa_memory_ordered 1
		.amdhsa_forward_progress 0
		.amdhsa_shared_vgpr_count 0
		.amdhsa_exception_fp_ieee_invalid_op 0
		.amdhsa_exception_fp_denorm_src 0
		.amdhsa_exception_fp_ieee_div_zero 0
		.amdhsa_exception_fp_ieee_overflow 0
		.amdhsa_exception_fp_ieee_underflow 0
		.amdhsa_exception_fp_ieee_inexact 0
		.amdhsa_exception_int_div_zero 0
	.end_amdhsa_kernel
	.section	.text._ZN5aiter21mxfp4_moe_sort_kernelILi256ELi128ELi4ELi32EEEvPhS1_PKiS3_iiiii,"axG",@progbits,_ZN5aiter21mxfp4_moe_sort_kernelILi256ELi128ELi4ELi32EEEvPhS1_PKiS3_iiiii,comdat
.Lfunc_end236:
	.size	_ZN5aiter21mxfp4_moe_sort_kernelILi256ELi128ELi4ELi32EEEvPhS1_PKiS3_iiiii, .Lfunc_end236-_ZN5aiter21mxfp4_moe_sort_kernelILi256ELi128ELi4ELi32EEEvPhS1_PKiS3_iiiii
                                        ; -- End function
	.section	.AMDGPU.csdata,"",@progbits
; Kernel info:
; codeLenInByte = 824
; NumSgprs: 32
; NumVgprs: 9
; ScratchSize: 0
; MemoryBound: 0
; FloatMode: 240
; IeeeMode: 1
; LDSByteSize: 0 bytes/workgroup (compile time only)
; SGPRBlocks: 3
; VGPRBlocks: 1
; NumSGPRsForWavesPerEU: 32
; NumVGPRsForWavesPerEU: 9
; Occupancy: 16
; WaveLimiterHint : 0
; COMPUTE_PGM_RSRC2:SCRATCH_EN: 0
; COMPUTE_PGM_RSRC2:USER_SGPR: 15
; COMPUTE_PGM_RSRC2:TRAP_HANDLER: 0
; COMPUTE_PGM_RSRC2:TGID_X_EN: 1
; COMPUTE_PGM_RSRC2:TGID_Y_EN: 0
; COMPUTE_PGM_RSRC2:TGID_Z_EN: 0
; COMPUTE_PGM_RSRC2:TIDIG_COMP_CNT: 0
	.section	.text._ZN5aiter21mxfp4_moe_sort_kernelILi256ELi64ELi4ELi32EEEvPhS1_PKiS3_iiiii,"axG",@progbits,_ZN5aiter21mxfp4_moe_sort_kernelILi256ELi64ELi4ELi32EEEvPhS1_PKiS3_iiiii,comdat
	.protected	_ZN5aiter21mxfp4_moe_sort_kernelILi256ELi64ELi4ELi32EEEvPhS1_PKiS3_iiiii ; -- Begin function _ZN5aiter21mxfp4_moe_sort_kernelILi256ELi64ELi4ELi32EEEvPhS1_PKiS3_iiiii
	.globl	_ZN5aiter21mxfp4_moe_sort_kernelILi256ELi64ELi4ELi32EEEvPhS1_PKiS3_iiiii
	.p2align	8
	.type	_ZN5aiter21mxfp4_moe_sort_kernelILi256ELi64ELi4ELi32EEEvPhS1_PKiS3_iiiii,@function
_ZN5aiter21mxfp4_moe_sort_kernelILi256ELi64ELi4ELi32EEEvPhS1_PKiS3_iiiii: ; @_ZN5aiter21mxfp4_moe_sort_kernelILi256ELi64ELi4ELi32EEEvPhS1_PKiS3_iiiii
; %bb.0:
	s_load_b128 s[8:11], s[0:1], 0x20
	s_waitcnt lgkmcnt(0)
	s_cmp_ge_i32 s15, s10
	s_cbranch_scc1 .LBB237_14
; %bb.1:
	s_clause 0x1
	s_load_b256 s[16:23], s[0:1], 0x0
	s_load_b32 s6, s[0:1], 0x30
	s_add_i32 s0, s9, 31
	v_lshlrev_b32_e32 v1, 2, v0
	s_ashr_i32 s1, s0, 31
	v_lshlrev_b32_e32 v3, 7, v0
	s_lshr_b32 s1, s1, 27
	v_lshrrev_b32_e32 v2, 2, v0
	s_add_i32 s0, s0, s1
	v_and_b32_e32 v1, 12, v1
	s_ashr_i32 s7, s0, 5
	v_and_b32_e32 v3, 0x100, v3
	s_add_i32 s0, s7, 7
	v_lshlrev_b32_e32 v0, 1, v0
	s_lshr_b32 s1, s0, 29
	v_or_b32_e32 v4, 1, v1
	s_add_i32 s0, s0, s1
	v_or_b32_e32 v5, 2, v1
	s_lshl_b32 s0, s0, 5
	v_or_b32_e32 v6, 3, v1
	s_waitcnt lgkmcnt(0)
	s_load_b32 s12, s[22:23], 0x0
	s_and_b32 s9, s0, 0xffffff00
	s_and_b32 s19, s19, 0xffff
	s_cmp_eq_u32 s6, 1
	s_mul_i32 s1, s7, s8
	s_cselect_b32 vcc_lo, -1, 0
	s_add_u32 s13, s16, 64
	s_addc_u32 s14, s17, 0
	s_mul_i32 s26, s1, s6
	s_mov_b64 s[24:25], s[18:19]
	v_and_or_b32 v0, v0, 2, v3
	v_cmp_gt_i32_e64 s0, s7, v1
	v_cmp_gt_i32_e64 s1, s7, v4
	;; [unrolled: 1-line block ×4, first 2 shown]
	s_add_u32 s18, s16, 0x80
	v_lshl_add_u32 v2, s15, 6, v2
	s_addc_u32 s19, s17, 0
	s_add_u32 s22, s16, 0xc0
	s_mov_b32 s27, -1
	s_addc_u32 s23, s17, 0
	s_lshl_b32 s28, s11, 6
	s_branch .LBB237_3
.LBB237_2:                              ;   in Loop: Header=BB237_3 Depth=1
	s_or_b32 exec_lo, exec_lo, s5
	v_add_nc_u32_e32 v2, s28, v2
	s_add_i32 s15, s15, s11
	s_delay_alu instid0(SALU_CYCLE_1)
	s_cmp_lt_i32 s15, s10
	s_cbranch_scc0 .LBB237_14
.LBB237_3:                              ; =>This Inner Loop Header: Depth=1
	v_mov_b32_e32 v5, s8
	v_ashrrev_i32_e32 v3, 31, v2
	s_mov_b32 s5, exec_lo
	s_waitcnt lgkmcnt(0)
	v_cmpx_gt_i32_e64 s12, v2
	s_cbranch_execz .LBB237_5
; %bb.4:                                ;   in Loop: Header=BB237_3 Depth=1
	s_waitcnt vmcnt(0)
	v_lshlrev_b64 v[4:5], 2, v[2:3]
	s_delay_alu instid0(VALU_DEP_1) | instskip(NEXT) | instid1(VALU_DEP_1)
	v_add_co_u32 v4, s4, s20, v4
	v_add_co_ci_u32_e64 v5, s4, s21, v5, s4
	global_load_b32 v5, v[4:5], off
.LBB237_5:                              ;   in Loop: Header=BB237_3 Depth=1
	s_or_b32 exec_lo, exec_lo, s5
	s_waitcnt vmcnt(0)
	v_ashrrev_i32_e32 v4, 24, v5
	v_and_b32_e32 v5, 0xffffff, v5
	s_delay_alu instid0(VALU_DEP_2) | instskip(NEXT) | instid1(VALU_DEP_2)
	v_cmp_gt_i32_e64 s4, s6, v4
	v_cmp_gt_i32_e64 s5, s8, v5
	s_delay_alu instid0(VALU_DEP_2)
	s_or_b32 s4, vcc_lo, s4
	s_delay_alu instid0(VALU_DEP_1) | instid1(SALU_CYCLE_1)
	s_and_b32 s4, s5, s4
	s_delay_alu instid0(SALU_CYCLE_1)
	s_and_saveexec_b32 s5, s4
	s_cbranch_execz .LBB237_2
; %bb.6:                                ;   in Loop: Header=BB237_3 Depth=1
	v_mad_u64_u32 v[6:7], null, v5, s6, v[4:5]
	s_delay_alu instid0(VALU_DEP_1) | instskip(NEXT) | instid1(VALU_DEP_1)
	v_cndmask_b32_e32 v6, v6, v5, vcc_lo
	v_mad_u64_u32 v[4:5], null, v6, s7, v[1:2]
	v_lshrrev_b32_e32 v5, 27, v3
	v_lshrrev_b32_e32 v3, 28, v3
	s_delay_alu instid0(VALU_DEP_2) | instskip(SKIP_3) | instid1(VALU_DEP_2)
	v_add_nc_u32_e32 v5, v2, v5
	buffer_load_b32 v4, v4, s[24:27], 0 offen
	v_add_nc_u32_e32 v3, v2, v3
	v_and_b32_e32 v6, 0xffe0, v5
	v_and_b32_e32 v3, 0x3ffffff0, v3
	s_delay_alu instid0(VALU_DEP_2) | instskip(NEXT) | instid1(VALU_DEP_2)
	v_sub_nc_u32_e32 v6, v2, v6
	v_sub_nc_u32_e32 v3, v2, v3
	s_delay_alu instid0(VALU_DEP_2) | instskip(NEXT) | instid1(VALU_DEP_2)
	v_bfe_i32 v7, v6, 0, 8
	v_lshlrev_b32_e32 v3, 2, v3
	s_delay_alu instid0(VALU_DEP_2) | instskip(NEXT) | instid1(VALU_DEP_1)
	v_lshrrev_b16 v7, 11, v7
	v_and_b32_e32 v7, 15, v7
	s_delay_alu instid0(VALU_DEP_1) | instskip(SKIP_1) | instid1(VALU_DEP_2)
	v_add_nc_u16 v6, v6, v7
	v_ashrrev_i32_e32 v7, 5, v5
	v_bfe_i32 v6, v6, 0, 8
	s_delay_alu instid0(VALU_DEP_1) | instskip(NEXT) | instid1(VALU_DEP_3)
	v_ashrrev_i16 v8, 4, v6
	v_mad_u64_u32 v[5:6], null, s9, v7, v[0:1]
	s_delay_alu instid0(VALU_DEP_2) | instskip(NEXT) | instid1(VALU_DEP_1)
	v_bfe_i32 v6, v8, 0, 16
	v_add3_u32 v3, v5, v3, v6
	s_delay_alu instid0(VALU_DEP_1)
	v_ashrrev_i32_e32 v5, 31, v3
	s_and_saveexec_b32 s29, s0
	s_cbranch_execnz .LBB237_10
; %bb.7:                                ;   in Loop: Header=BB237_3 Depth=1
	s_or_b32 exec_lo, exec_lo, s29
	s_and_saveexec_b32 s29, s1
	s_cbranch_execnz .LBB237_11
.LBB237_8:                              ;   in Loop: Header=BB237_3 Depth=1
	s_or_b32 exec_lo, exec_lo, s29
	s_and_saveexec_b32 s29, s2
	s_cbranch_execnz .LBB237_12
.LBB237_9:                              ;   in Loop: Header=BB237_3 Depth=1
	s_or_b32 exec_lo, exec_lo, s29
	s_delay_alu instid0(SALU_CYCLE_1)
	s_and_b32 exec_lo, exec_lo, s3
	s_cbranch_execz .LBB237_2
	s_branch .LBB237_13
.LBB237_10:                             ;   in Loop: Header=BB237_3 Depth=1
	v_add_co_u32 v6, s4, s16, v3
	s_delay_alu instid0(VALU_DEP_1)
	v_add_co_ci_u32_e64 v7, s4, s17, v5, s4
	s_waitcnt vmcnt(0)
	global_store_b8 v[6:7], v4, off
	s_or_b32 exec_lo, exec_lo, s29
	s_and_saveexec_b32 s29, s1
	s_cbranch_execz .LBB237_8
.LBB237_11:                             ;   in Loop: Header=BB237_3 Depth=1
	v_add_co_u32 v6, s4, s13, v3
	s_waitcnt vmcnt(0)
	v_lshrrev_b32_e32 v8, 8, v4
	v_add_co_ci_u32_e64 v7, s4, s14, v5, s4
	global_store_b8 v[6:7], v8, off
	s_or_b32 exec_lo, exec_lo, s29
	s_and_saveexec_b32 s29, s2
	s_cbranch_execz .LBB237_9
.LBB237_12:                             ;   in Loop: Header=BB237_3 Depth=1
	v_add_co_u32 v6, s4, s18, v3
	s_delay_alu instid0(VALU_DEP_1) | instskip(SKIP_3) | instid1(SALU_CYCLE_1)
	v_add_co_ci_u32_e64 v7, s4, s19, v5, s4
	s_waitcnt vmcnt(0)
	global_store_d16_hi_b8 v[6:7], v4, off
	s_or_b32 exec_lo, exec_lo, s29
	s_and_b32 exec_lo, exec_lo, s3
	s_cbranch_execz .LBB237_2
.LBB237_13:                             ;   in Loop: Header=BB237_3 Depth=1
	v_add_co_u32 v3, s4, s22, v3
	s_waitcnt vmcnt(0)
	v_lshrrev_b32_e32 v6, 24, v4
	v_add_co_ci_u32_e64 v4, s4, s23, v5, s4
	global_store_b8 v[3:4], v6, off
	s_branch .LBB237_2
.LBB237_14:
	s_nop 0
	s_sendmsg sendmsg(MSG_DEALLOC_VGPRS)
	s_endpgm
	.section	.rodata,"a",@progbits
	.p2align	6, 0x0
	.amdhsa_kernel _ZN5aiter21mxfp4_moe_sort_kernelILi256ELi64ELi4ELi32EEEvPhS1_PKiS3_iiiii
		.amdhsa_group_segment_fixed_size 0
		.amdhsa_private_segment_fixed_size 0
		.amdhsa_kernarg_size 52
		.amdhsa_user_sgpr_count 15
		.amdhsa_user_sgpr_dispatch_ptr 0
		.amdhsa_user_sgpr_queue_ptr 0
		.amdhsa_user_sgpr_kernarg_segment_ptr 1
		.amdhsa_user_sgpr_dispatch_id 0
		.amdhsa_user_sgpr_private_segment_size 0
		.amdhsa_wavefront_size32 1
		.amdhsa_uses_dynamic_stack 0
		.amdhsa_enable_private_segment 0
		.amdhsa_system_sgpr_workgroup_id_x 1
		.amdhsa_system_sgpr_workgroup_id_y 0
		.amdhsa_system_sgpr_workgroup_id_z 0
		.amdhsa_system_sgpr_workgroup_info 0
		.amdhsa_system_vgpr_workitem_id 0
		.amdhsa_next_free_vgpr 9
		.amdhsa_next_free_sgpr 30
		.amdhsa_reserve_vcc 1
		.amdhsa_float_round_mode_32 0
		.amdhsa_float_round_mode_16_64 0
		.amdhsa_float_denorm_mode_32 3
		.amdhsa_float_denorm_mode_16_64 3
		.amdhsa_dx10_clamp 1
		.amdhsa_ieee_mode 1
		.amdhsa_fp16_overflow 0
		.amdhsa_workgroup_processor_mode 1
		.amdhsa_memory_ordered 1
		.amdhsa_forward_progress 0
		.amdhsa_shared_vgpr_count 0
		.amdhsa_exception_fp_ieee_invalid_op 0
		.amdhsa_exception_fp_denorm_src 0
		.amdhsa_exception_fp_ieee_div_zero 0
		.amdhsa_exception_fp_ieee_overflow 0
		.amdhsa_exception_fp_ieee_underflow 0
		.amdhsa_exception_fp_ieee_inexact 0
		.amdhsa_exception_int_div_zero 0
	.end_amdhsa_kernel
	.section	.text._ZN5aiter21mxfp4_moe_sort_kernelILi256ELi64ELi4ELi32EEEvPhS1_PKiS3_iiiii,"axG",@progbits,_ZN5aiter21mxfp4_moe_sort_kernelILi256ELi64ELi4ELi32EEEvPhS1_PKiS3_iiiii,comdat
.Lfunc_end237:
	.size	_ZN5aiter21mxfp4_moe_sort_kernelILi256ELi64ELi4ELi32EEEvPhS1_PKiS3_iiiii, .Lfunc_end237-_ZN5aiter21mxfp4_moe_sort_kernelILi256ELi64ELi4ELi32EEEvPhS1_PKiS3_iiiii
                                        ; -- End function
	.section	.AMDGPU.csdata,"",@progbits
; Kernel info:
; codeLenInByte = 832
; NumSgprs: 32
; NumVgprs: 9
; ScratchSize: 0
; MemoryBound: 0
; FloatMode: 240
; IeeeMode: 1
; LDSByteSize: 0 bytes/workgroup (compile time only)
; SGPRBlocks: 3
; VGPRBlocks: 1
; NumSGPRsForWavesPerEU: 32
; NumVGPRsForWavesPerEU: 9
; Occupancy: 16
; WaveLimiterHint : 0
; COMPUTE_PGM_RSRC2:SCRATCH_EN: 0
; COMPUTE_PGM_RSRC2:USER_SGPR: 15
; COMPUTE_PGM_RSRC2:TRAP_HANDLER: 0
; COMPUTE_PGM_RSRC2:TGID_X_EN: 1
; COMPUTE_PGM_RSRC2:TGID_Y_EN: 0
; COMPUTE_PGM_RSRC2:TGID_Z_EN: 0
; COMPUTE_PGM_RSRC2:TIDIG_COMP_CNT: 0
	.section	.text._ZN5aiter21mxfp4_moe_sort_kernelILi256ELi32ELi4ELi32EEEvPhS1_PKiS3_iiiii,"axG",@progbits,_ZN5aiter21mxfp4_moe_sort_kernelILi256ELi32ELi4ELi32EEEvPhS1_PKiS3_iiiii,comdat
	.protected	_ZN5aiter21mxfp4_moe_sort_kernelILi256ELi32ELi4ELi32EEEvPhS1_PKiS3_iiiii ; -- Begin function _ZN5aiter21mxfp4_moe_sort_kernelILi256ELi32ELi4ELi32EEEvPhS1_PKiS3_iiiii
	.globl	_ZN5aiter21mxfp4_moe_sort_kernelILi256ELi32ELi4ELi32EEEvPhS1_PKiS3_iiiii
	.p2align	8
	.type	_ZN5aiter21mxfp4_moe_sort_kernelILi256ELi32ELi4ELi32EEEvPhS1_PKiS3_iiiii,@function
_ZN5aiter21mxfp4_moe_sort_kernelILi256ELi32ELi4ELi32EEEvPhS1_PKiS3_iiiii: ; @_ZN5aiter21mxfp4_moe_sort_kernelILi256ELi32ELi4ELi32EEEvPhS1_PKiS3_iiiii
; %bb.0:
	s_load_b128 s[8:11], s[0:1], 0x20
	s_waitcnt lgkmcnt(0)
	s_cmp_ge_i32 s15, s10
	s_cbranch_scc1 .LBB238_14
; %bb.1:
	s_clause 0x1
	s_load_b256 s[16:23], s[0:1], 0x0
	s_load_b32 s6, s[0:1], 0x30
	s_add_i32 s0, s9, 31
	v_lshlrev_b32_e32 v1, 2, v0
	s_ashr_i32 s1, s0, 31
	v_lshlrev_b32_e32 v3, 7, v0
	s_lshr_b32 s1, s1, 27
	v_lshrrev_b32_e32 v2, 3, v0
	s_add_i32 s0, s0, s1
	v_and_b32_e32 v1, 28, v1
	s_ashr_i32 s7, s0, 5
	v_and_b32_e32 v3, 0x300, v3
	s_add_i32 s0, s7, 7
	v_lshlrev_b32_e32 v0, 1, v0
	s_lshr_b32 s1, s0, 29
	v_or_b32_e32 v4, 1, v1
	s_add_i32 s0, s0, s1
	v_or_b32_e32 v5, 2, v1
	s_lshl_b32 s0, s0, 5
	v_or_b32_e32 v6, 3, v1
	s_waitcnt lgkmcnt(0)
	s_load_b32 s12, s[22:23], 0x0
	s_and_b32 s9, s0, 0xffffff00
	s_and_b32 s19, s19, 0xffff
	s_cmp_eq_u32 s6, 1
	s_mul_i32 s1, s7, s8
	s_cselect_b32 vcc_lo, -1, 0
	s_add_u32 s13, s16, 64
	s_addc_u32 s14, s17, 0
	s_mul_i32 s26, s1, s6
	s_mov_b64 s[24:25], s[18:19]
	v_and_or_b32 v0, v0, 2, v3
	v_cmp_gt_i32_e64 s0, s7, v1
	v_cmp_gt_i32_e64 s1, s7, v4
	;; [unrolled: 1-line block ×4, first 2 shown]
	s_add_u32 s18, s16, 0x80
	v_lshl_add_u32 v2, s15, 5, v2
	s_addc_u32 s19, s17, 0
	s_add_u32 s22, s16, 0xc0
	s_mov_b32 s27, -1
	s_addc_u32 s23, s17, 0
	s_lshl_b32 s28, s11, 5
	s_branch .LBB238_3
.LBB238_2:                              ;   in Loop: Header=BB238_3 Depth=1
	s_or_b32 exec_lo, exec_lo, s5
	v_add_nc_u32_e32 v2, s28, v2
	s_add_i32 s15, s15, s11
	s_delay_alu instid0(SALU_CYCLE_1)
	s_cmp_lt_i32 s15, s10
	s_cbranch_scc0 .LBB238_14
.LBB238_3:                              ; =>This Inner Loop Header: Depth=1
	v_mov_b32_e32 v5, s8
	v_ashrrev_i32_e32 v3, 31, v2
	s_mov_b32 s5, exec_lo
	s_waitcnt lgkmcnt(0)
	v_cmpx_gt_i32_e64 s12, v2
	s_cbranch_execz .LBB238_5
; %bb.4:                                ;   in Loop: Header=BB238_3 Depth=1
	s_waitcnt vmcnt(0)
	v_lshlrev_b64 v[4:5], 2, v[2:3]
	s_delay_alu instid0(VALU_DEP_1) | instskip(NEXT) | instid1(VALU_DEP_1)
	v_add_co_u32 v4, s4, s20, v4
	v_add_co_ci_u32_e64 v5, s4, s21, v5, s4
	global_load_b32 v5, v[4:5], off
.LBB238_5:                              ;   in Loop: Header=BB238_3 Depth=1
	s_or_b32 exec_lo, exec_lo, s5
	s_waitcnt vmcnt(0)
	v_ashrrev_i32_e32 v4, 24, v5
	v_and_b32_e32 v5, 0xffffff, v5
	s_delay_alu instid0(VALU_DEP_2) | instskip(NEXT) | instid1(VALU_DEP_2)
	v_cmp_gt_i32_e64 s4, s6, v4
	v_cmp_gt_i32_e64 s5, s8, v5
	s_delay_alu instid0(VALU_DEP_2)
	s_or_b32 s4, vcc_lo, s4
	s_delay_alu instid0(VALU_DEP_1) | instid1(SALU_CYCLE_1)
	s_and_b32 s4, s5, s4
	s_delay_alu instid0(SALU_CYCLE_1)
	s_and_saveexec_b32 s5, s4
	s_cbranch_execz .LBB238_2
; %bb.6:                                ;   in Loop: Header=BB238_3 Depth=1
	v_mad_u64_u32 v[6:7], null, v5, s6, v[4:5]
	s_delay_alu instid0(VALU_DEP_1) | instskip(NEXT) | instid1(VALU_DEP_1)
	v_cndmask_b32_e32 v6, v6, v5, vcc_lo
	v_mad_u64_u32 v[4:5], null, v6, s7, v[1:2]
	v_lshrrev_b32_e32 v5, 27, v3
	v_lshrrev_b32_e32 v3, 28, v3
	s_delay_alu instid0(VALU_DEP_2) | instskip(SKIP_3) | instid1(VALU_DEP_2)
	v_add_nc_u32_e32 v5, v2, v5
	buffer_load_b32 v4, v4, s[24:27], 0 offen
	v_add_nc_u32_e32 v3, v2, v3
	v_and_b32_e32 v6, 0xffe0, v5
	v_and_b32_e32 v3, 0x3ffffff0, v3
	s_delay_alu instid0(VALU_DEP_2) | instskip(NEXT) | instid1(VALU_DEP_2)
	v_sub_nc_u32_e32 v6, v2, v6
	v_sub_nc_u32_e32 v3, v2, v3
	s_delay_alu instid0(VALU_DEP_2) | instskip(NEXT) | instid1(VALU_DEP_2)
	v_bfe_i32 v7, v6, 0, 8
	v_lshlrev_b32_e32 v3, 2, v3
	s_delay_alu instid0(VALU_DEP_2) | instskip(NEXT) | instid1(VALU_DEP_1)
	v_lshrrev_b16 v7, 11, v7
	v_and_b32_e32 v7, 15, v7
	s_delay_alu instid0(VALU_DEP_1) | instskip(SKIP_1) | instid1(VALU_DEP_2)
	v_add_nc_u16 v6, v6, v7
	v_ashrrev_i32_e32 v7, 5, v5
	v_bfe_i32 v6, v6, 0, 8
	s_delay_alu instid0(VALU_DEP_1) | instskip(NEXT) | instid1(VALU_DEP_3)
	v_ashrrev_i16 v8, 4, v6
	v_mad_u64_u32 v[5:6], null, s9, v7, v[0:1]
	s_delay_alu instid0(VALU_DEP_2) | instskip(NEXT) | instid1(VALU_DEP_1)
	v_bfe_i32 v6, v8, 0, 16
	v_add3_u32 v3, v5, v3, v6
	s_delay_alu instid0(VALU_DEP_1)
	v_ashrrev_i32_e32 v5, 31, v3
	s_and_saveexec_b32 s29, s0
	s_cbranch_execnz .LBB238_10
; %bb.7:                                ;   in Loop: Header=BB238_3 Depth=1
	s_or_b32 exec_lo, exec_lo, s29
	s_and_saveexec_b32 s29, s1
	s_cbranch_execnz .LBB238_11
.LBB238_8:                              ;   in Loop: Header=BB238_3 Depth=1
	s_or_b32 exec_lo, exec_lo, s29
	s_and_saveexec_b32 s29, s2
	s_cbranch_execnz .LBB238_12
.LBB238_9:                              ;   in Loop: Header=BB238_3 Depth=1
	s_or_b32 exec_lo, exec_lo, s29
	s_delay_alu instid0(SALU_CYCLE_1)
	s_and_b32 exec_lo, exec_lo, s3
	s_cbranch_execz .LBB238_2
	s_branch .LBB238_13
.LBB238_10:                             ;   in Loop: Header=BB238_3 Depth=1
	v_add_co_u32 v6, s4, s16, v3
	s_delay_alu instid0(VALU_DEP_1)
	v_add_co_ci_u32_e64 v7, s4, s17, v5, s4
	s_waitcnt vmcnt(0)
	global_store_b8 v[6:7], v4, off
	s_or_b32 exec_lo, exec_lo, s29
	s_and_saveexec_b32 s29, s1
	s_cbranch_execz .LBB238_8
.LBB238_11:                             ;   in Loop: Header=BB238_3 Depth=1
	v_add_co_u32 v6, s4, s13, v3
	s_waitcnt vmcnt(0)
	v_lshrrev_b32_e32 v8, 8, v4
	v_add_co_ci_u32_e64 v7, s4, s14, v5, s4
	global_store_b8 v[6:7], v8, off
	s_or_b32 exec_lo, exec_lo, s29
	s_and_saveexec_b32 s29, s2
	s_cbranch_execz .LBB238_9
.LBB238_12:                             ;   in Loop: Header=BB238_3 Depth=1
	v_add_co_u32 v6, s4, s18, v3
	s_delay_alu instid0(VALU_DEP_1) | instskip(SKIP_3) | instid1(SALU_CYCLE_1)
	v_add_co_ci_u32_e64 v7, s4, s19, v5, s4
	s_waitcnt vmcnt(0)
	global_store_d16_hi_b8 v[6:7], v4, off
	s_or_b32 exec_lo, exec_lo, s29
	s_and_b32 exec_lo, exec_lo, s3
	s_cbranch_execz .LBB238_2
.LBB238_13:                             ;   in Loop: Header=BB238_3 Depth=1
	v_add_co_u32 v3, s4, s22, v3
	s_waitcnt vmcnt(0)
	v_lshrrev_b32_e32 v6, 24, v4
	v_add_co_ci_u32_e64 v4, s4, s23, v5, s4
	global_store_b8 v[3:4], v6, off
	s_branch .LBB238_2
.LBB238_14:
	s_nop 0
	s_sendmsg sendmsg(MSG_DEALLOC_VGPRS)
	s_endpgm
	.section	.rodata,"a",@progbits
	.p2align	6, 0x0
	.amdhsa_kernel _ZN5aiter21mxfp4_moe_sort_kernelILi256ELi32ELi4ELi32EEEvPhS1_PKiS3_iiiii
		.amdhsa_group_segment_fixed_size 0
		.amdhsa_private_segment_fixed_size 0
		.amdhsa_kernarg_size 52
		.amdhsa_user_sgpr_count 15
		.amdhsa_user_sgpr_dispatch_ptr 0
		.amdhsa_user_sgpr_queue_ptr 0
		.amdhsa_user_sgpr_kernarg_segment_ptr 1
		.amdhsa_user_sgpr_dispatch_id 0
		.amdhsa_user_sgpr_private_segment_size 0
		.amdhsa_wavefront_size32 1
		.amdhsa_uses_dynamic_stack 0
		.amdhsa_enable_private_segment 0
		.amdhsa_system_sgpr_workgroup_id_x 1
		.amdhsa_system_sgpr_workgroup_id_y 0
		.amdhsa_system_sgpr_workgroup_id_z 0
		.amdhsa_system_sgpr_workgroup_info 0
		.amdhsa_system_vgpr_workitem_id 0
		.amdhsa_next_free_vgpr 9
		.amdhsa_next_free_sgpr 30
		.amdhsa_reserve_vcc 1
		.amdhsa_float_round_mode_32 0
		.amdhsa_float_round_mode_16_64 0
		.amdhsa_float_denorm_mode_32 3
		.amdhsa_float_denorm_mode_16_64 3
		.amdhsa_dx10_clamp 1
		.amdhsa_ieee_mode 1
		.amdhsa_fp16_overflow 0
		.amdhsa_workgroup_processor_mode 1
		.amdhsa_memory_ordered 1
		.amdhsa_forward_progress 0
		.amdhsa_shared_vgpr_count 0
		.amdhsa_exception_fp_ieee_invalid_op 0
		.amdhsa_exception_fp_denorm_src 0
		.amdhsa_exception_fp_ieee_div_zero 0
		.amdhsa_exception_fp_ieee_overflow 0
		.amdhsa_exception_fp_ieee_underflow 0
		.amdhsa_exception_fp_ieee_inexact 0
		.amdhsa_exception_int_div_zero 0
	.end_amdhsa_kernel
	.section	.text._ZN5aiter21mxfp4_moe_sort_kernelILi256ELi32ELi4ELi32EEEvPhS1_PKiS3_iiiii,"axG",@progbits,_ZN5aiter21mxfp4_moe_sort_kernelILi256ELi32ELi4ELi32EEEvPhS1_PKiS3_iiiii,comdat
.Lfunc_end238:
	.size	_ZN5aiter21mxfp4_moe_sort_kernelILi256ELi32ELi4ELi32EEEvPhS1_PKiS3_iiiii, .Lfunc_end238-_ZN5aiter21mxfp4_moe_sort_kernelILi256ELi32ELi4ELi32EEEvPhS1_PKiS3_iiiii
                                        ; -- End function
	.section	.AMDGPU.csdata,"",@progbits
; Kernel info:
; codeLenInByte = 832
; NumSgprs: 32
; NumVgprs: 9
; ScratchSize: 0
; MemoryBound: 0
; FloatMode: 240
; IeeeMode: 1
; LDSByteSize: 0 bytes/workgroup (compile time only)
; SGPRBlocks: 3
; VGPRBlocks: 1
; NumSGPRsForWavesPerEU: 32
; NumVGPRsForWavesPerEU: 9
; Occupancy: 16
; WaveLimiterHint : 0
; COMPUTE_PGM_RSRC2:SCRATCH_EN: 0
; COMPUTE_PGM_RSRC2:USER_SGPR: 15
; COMPUTE_PGM_RSRC2:TRAP_HANDLER: 0
; COMPUTE_PGM_RSRC2:TGID_X_EN: 1
; COMPUTE_PGM_RSRC2:TGID_Y_EN: 0
; COMPUTE_PGM_RSRC2:TGID_Z_EN: 0
; COMPUTE_PGM_RSRC2:TIDIG_COMP_CNT: 0
	.section	.text._ZN5aiter21mxfp4_moe_sort_kernelILi256ELi32ELi8ELi32EEEvPhS1_PKiS3_iiiii,"axG",@progbits,_ZN5aiter21mxfp4_moe_sort_kernelILi256ELi32ELi8ELi32EEEvPhS1_PKiS3_iiiii,comdat
	.protected	_ZN5aiter21mxfp4_moe_sort_kernelILi256ELi32ELi8ELi32EEEvPhS1_PKiS3_iiiii ; -- Begin function _ZN5aiter21mxfp4_moe_sort_kernelILi256ELi32ELi8ELi32EEEvPhS1_PKiS3_iiiii
	.globl	_ZN5aiter21mxfp4_moe_sort_kernelILi256ELi32ELi8ELi32EEEvPhS1_PKiS3_iiiii
	.p2align	8
	.type	_ZN5aiter21mxfp4_moe_sort_kernelILi256ELi32ELi8ELi32EEEvPhS1_PKiS3_iiiii,@function
_ZN5aiter21mxfp4_moe_sort_kernelILi256ELi32ELi8ELi32EEEvPhS1_PKiS3_iiiii: ; @_ZN5aiter21mxfp4_moe_sort_kernelILi256ELi32ELi8ELi32EEEvPhS1_PKiS3_iiiii
; %bb.0:
	s_load_b128 s[24:27], s[0:1], 0x20
	s_waitcnt lgkmcnt(0)
	s_cmp_ge_i32 s15, s26
	s_cbranch_scc1 .LBB239_22
; %bb.1:
	s_clause 0x1
	s_load_b256 s[16:23], s[0:1], 0x0
	s_load_b32 s10, s[0:1], 0x30
	s_add_i32 s0, s25, 31
	v_lshlrev_b32_e32 v1, 3, v0
	s_ashr_i32 s1, s0, 31
	v_lshrrev_b32_e32 v2, 3, v0
	s_lshr_b32 s1, s1, 27
	s_mov_b32 s31, -1
	s_add_i32 s0, s0, s1
	v_and_b32_e32 v0, 56, v1
	s_ashr_i32 s11, s0, 5
	v_lshl_add_u32 v2, s15, 5, v2
	s_add_i32 s0, s11, 7
	s_delay_alu instid0(SALU_CYCLE_1)
	s_lshr_b32 s1, s0, 29
	v_or_b32_e32 v3, 1, v0
	s_add_i32 s0, s0, s1
	v_or_b32_e32 v4, 2, v0
	s_lshl_b32 s0, s0, 5
	s_mul_i32 s1, s11, s24
	s_waitcnt lgkmcnt(0)
	s_load_b32 s13, s[22:23], 0x0
	s_and_b32 s12, s0, 0xffffff00
	s_and_b32 s19, s19, 0xffff
	s_cmp_eq_u32 s10, 1
	s_mov_b64 s[28:29], s[18:19]
	s_cselect_b32 vcc_lo, -1, 0
	s_add_u32 s14, s16, 64
	s_addc_u32 s18, s17, 0
	s_add_u32 s19, s16, 0x80
	s_addc_u32 s22, s17, 0
	s_add_u32 s23, s16, 0xc0
	s_mul_i32 s30, s1, s10
	v_cmp_gt_i32_e64 s1, s11, v3
	v_cmp_gt_i32_e64 s2, s11, v4
	v_or_b32_e32 v3, 3, v0
	v_or_b32_e32 v4, 4, v0
	;; [unrolled: 1-line block ×5, first 2 shown]
	s_addc_u32 s25, s17, 0
	s_add_u32 s33, s16, 2
	s_addc_u32 s34, s17, 0
	s_add_u32 s35, s16, 0x42
	s_addc_u32 s36, s17, 0
	v_lshlrev_b32_e32 v1, 5, v0
	v_cmp_gt_i32_e64 s0, s11, v0
	v_cmp_gt_i32_e64 s3, s11, v3
	;; [unrolled: 1-line block ×6, first 2 shown]
	s_add_u32 s37, s16, 0x82
	s_addc_u32 s38, s17, 0
	s_add_u32 s39, s16, 0xc2
	s_addc_u32 s40, s17, 0
	s_lshl_b32 s41, s27, 5
	s_branch .LBB239_3
.LBB239_2:                              ;   in Loop: Header=BB239_3 Depth=1
	s_or_b32 exec_lo, exec_lo, s9
	v_add_nc_u32_e32 v2, s41, v2
	s_add_i32 s15, s15, s27
	s_delay_alu instid0(SALU_CYCLE_1)
	s_cmp_lt_i32 s15, s26
	s_cbranch_scc0 .LBB239_22
.LBB239_3:                              ; =>This Inner Loop Header: Depth=1
	s_waitcnt vmcnt(0)
	v_mov_b32_e32 v5, s24
	v_ashrrev_i32_e32 v3, 31, v2
	s_mov_b32 s9, exec_lo
	s_waitcnt lgkmcnt(0)
	v_cmpx_gt_i32_e64 s13, v2
	s_cbranch_execz .LBB239_5
; %bb.4:                                ;   in Loop: Header=BB239_3 Depth=1
	v_lshlrev_b64 v[4:5], 2, v[2:3]
	s_delay_alu instid0(VALU_DEP_1) | instskip(NEXT) | instid1(VALU_DEP_1)
	v_add_co_u32 v4, s8, s20, v4
	v_add_co_ci_u32_e64 v5, s8, s21, v5, s8
	global_load_b32 v5, v[4:5], off
.LBB239_5:                              ;   in Loop: Header=BB239_3 Depth=1
	s_or_b32 exec_lo, exec_lo, s9
	s_waitcnt vmcnt(0)
	v_ashrrev_i32_e32 v4, 24, v5
	v_and_b32_e32 v5, 0xffffff, v5
	s_delay_alu instid0(VALU_DEP_2) | instskip(NEXT) | instid1(VALU_DEP_2)
	v_cmp_gt_i32_e64 s8, s10, v4
	v_cmp_gt_i32_e64 s9, s24, v5
	s_delay_alu instid0(VALU_DEP_2)
	s_or_b32 s8, vcc_lo, s8
	s_delay_alu instid0(VALU_DEP_1) | instid1(SALU_CYCLE_1)
	s_and_b32 s8, s9, s8
	s_delay_alu instid0(SALU_CYCLE_1)
	s_and_saveexec_b32 s9, s8
	s_cbranch_execz .LBB239_2
; %bb.6:                                ;   in Loop: Header=BB239_3 Depth=1
	v_mad_u64_u32 v[6:7], null, v5, s10, v[4:5]
	s_delay_alu instid0(VALU_DEP_1) | instskip(NEXT) | instid1(VALU_DEP_1)
	v_cndmask_b32_e32 v6, v6, v5, vcc_lo
	v_mad_u64_u32 v[4:5], null, v6, s11, v[0:1]
	v_lshrrev_b32_e32 v6, 27, v3
	v_lshrrev_b32_e32 v3, 28, v3
	s_delay_alu instid0(VALU_DEP_2) | instskip(SKIP_3) | instid1(VALU_DEP_2)
	v_add_nc_u32_e32 v6, v2, v6
	buffer_load_b64 v[4:5], v4, s[28:31], 0 offen
	v_add_nc_u32_e32 v3, v2, v3
	v_and_b32_e32 v7, 0xffe0, v6
	v_and_b32_e32 v3, 0x3ffffff0, v3
	s_delay_alu instid0(VALU_DEP_2) | instskip(NEXT) | instid1(VALU_DEP_2)
	v_sub_nc_u32_e32 v7, v2, v7
	v_sub_nc_u32_e32 v3, v2, v3
	s_delay_alu instid0(VALU_DEP_2) | instskip(NEXT) | instid1(VALU_DEP_2)
	v_bfe_i32 v8, v7, 0, 8
	v_lshlrev_b32_e32 v3, 2, v3
	s_delay_alu instid0(VALU_DEP_2) | instskip(NEXT) | instid1(VALU_DEP_1)
	v_lshrrev_b16 v8, 11, v8
	v_and_b32_e32 v8, 15, v8
	s_delay_alu instid0(VALU_DEP_1) | instskip(SKIP_1) | instid1(VALU_DEP_2)
	v_add_nc_u16 v7, v7, v8
	v_ashrrev_i32_e32 v8, 5, v6
	v_bfe_i32 v7, v7, 0, 8
	s_delay_alu instid0(VALU_DEP_1) | instskip(NEXT) | instid1(VALU_DEP_3)
	v_ashrrev_i16 v9, 4, v7
	v_mad_u64_u32 v[6:7], null, s12, v8, v[1:2]
	s_delay_alu instid0(VALU_DEP_2) | instskip(NEXT) | instid1(VALU_DEP_1)
	v_bfe_i32 v7, v9, 0, 16
	v_add3_u32 v3, v6, v3, v7
	s_delay_alu instid0(VALU_DEP_1)
	v_ashrrev_i32_e32 v6, 31, v3
	s_and_saveexec_b32 s42, s0
	s_cbranch_execnz .LBB239_14
; %bb.7:                                ;   in Loop: Header=BB239_3 Depth=1
	s_or_b32 exec_lo, exec_lo, s42
	s_and_saveexec_b32 s42, s1
	s_cbranch_execnz .LBB239_15
.LBB239_8:                              ;   in Loop: Header=BB239_3 Depth=1
	s_or_b32 exec_lo, exec_lo, s42
	s_and_saveexec_b32 s42, s2
	s_cbranch_execnz .LBB239_16
.LBB239_9:                              ;   in Loop: Header=BB239_3 Depth=1
	s_or_b32 exec_lo, exec_lo, s42
	s_and_saveexec_b32 s42, s3
	s_cbranch_execnz .LBB239_17
.LBB239_10:                             ;   in Loop: Header=BB239_3 Depth=1
	s_or_b32 exec_lo, exec_lo, s42
	s_and_saveexec_b32 s42, s4
	s_cbranch_execnz .LBB239_18
.LBB239_11:                             ;   in Loop: Header=BB239_3 Depth=1
	s_or_b32 exec_lo, exec_lo, s42
	s_and_saveexec_b32 s42, s5
	s_cbranch_execnz .LBB239_19
.LBB239_12:                             ;   in Loop: Header=BB239_3 Depth=1
	s_or_b32 exec_lo, exec_lo, s42
	s_and_saveexec_b32 s42, s6
	s_cbranch_execnz .LBB239_20
.LBB239_13:                             ;   in Loop: Header=BB239_3 Depth=1
	s_or_b32 exec_lo, exec_lo, s42
	s_delay_alu instid0(SALU_CYCLE_1)
	s_and_b32 exec_lo, exec_lo, s7
	s_cbranch_execz .LBB239_2
	s_branch .LBB239_21
.LBB239_14:                             ;   in Loop: Header=BB239_3 Depth=1
	v_add_co_u32 v7, s8, s16, v3
	s_delay_alu instid0(VALU_DEP_1)
	v_add_co_ci_u32_e64 v8, s8, s17, v6, s8
	s_waitcnt vmcnt(0)
	global_store_b8 v[7:8], v4, off
	s_or_b32 exec_lo, exec_lo, s42
	s_and_saveexec_b32 s42, s1
	s_cbranch_execz .LBB239_8
.LBB239_15:                             ;   in Loop: Header=BB239_3 Depth=1
	v_add_co_u32 v7, s8, s14, v3
	s_waitcnt vmcnt(0)
	v_lshrrev_b32_e32 v9, 8, v4
	v_add_co_ci_u32_e64 v8, s8, s18, v6, s8
	global_store_b8 v[7:8], v9, off
	s_or_b32 exec_lo, exec_lo, s42
	s_and_saveexec_b32 s42, s2
	s_cbranch_execz .LBB239_9
.LBB239_16:                             ;   in Loop: Header=BB239_3 Depth=1
	v_add_co_u32 v7, s8, s19, v3
	s_delay_alu instid0(VALU_DEP_1)
	v_add_co_ci_u32_e64 v8, s8, s22, v6, s8
	s_waitcnt vmcnt(0)
	global_store_d16_hi_b8 v[7:8], v4, off
	s_or_b32 exec_lo, exec_lo, s42
	s_and_saveexec_b32 s42, s3
	s_cbranch_execz .LBB239_10
.LBB239_17:                             ;   in Loop: Header=BB239_3 Depth=1
	v_add_co_u32 v7, s8, s23, v3
	s_waitcnt vmcnt(0)
	v_lshrrev_b32_e32 v4, 24, v4
	v_add_co_ci_u32_e64 v8, s8, s25, v6, s8
	global_store_b8 v[7:8], v4, off
	s_or_b32 exec_lo, exec_lo, s42
	s_and_saveexec_b32 s42, s4
	s_cbranch_execz .LBB239_11
.LBB239_18:                             ;   in Loop: Header=BB239_3 Depth=1
	v_add_co_u32 v7, s8, s33, v3
	s_delay_alu instid0(VALU_DEP_1)
	v_add_co_ci_u32_e64 v8, s8, s34, v6, s8
	s_waitcnt vmcnt(0)
	global_store_b8 v[7:8], v5, off
	s_or_b32 exec_lo, exec_lo, s42
	s_and_saveexec_b32 s42, s5
	s_cbranch_execz .LBB239_12
.LBB239_19:                             ;   in Loop: Header=BB239_3 Depth=1
	v_add_co_u32 v7, s8, s35, v3
	s_waitcnt vmcnt(0)
	v_lshrrev_b32_e32 v4, 8, v5
	v_add_co_ci_u32_e64 v8, s8, s36, v6, s8
	global_store_b8 v[7:8], v4, off
	s_or_b32 exec_lo, exec_lo, s42
	s_and_saveexec_b32 s42, s6
	s_cbranch_execz .LBB239_13
.LBB239_20:                             ;   in Loop: Header=BB239_3 Depth=1
	v_add_co_u32 v7, s8, s37, v3
	s_delay_alu instid0(VALU_DEP_1) | instskip(SKIP_3) | instid1(SALU_CYCLE_1)
	v_add_co_ci_u32_e64 v8, s8, s38, v6, s8
	s_waitcnt vmcnt(0)
	global_store_d16_hi_b8 v[7:8], v5, off
	s_or_b32 exec_lo, exec_lo, s42
	s_and_b32 exec_lo, exec_lo, s7
	s_cbranch_execz .LBB239_2
.LBB239_21:                             ;   in Loop: Header=BB239_3 Depth=1
	v_add_co_u32 v3, s8, s39, v3
	s_waitcnt vmcnt(0)
	v_lshrrev_b32_e32 v5, 24, v5
	v_add_co_ci_u32_e64 v4, s8, s40, v6, s8
	global_store_b8 v[3:4], v5, off
	s_branch .LBB239_2
.LBB239_22:
	s_nop 0
	s_sendmsg sendmsg(MSG_DEALLOC_VGPRS)
	s_endpgm
	.section	.rodata,"a",@progbits
	.p2align	6, 0x0
	.amdhsa_kernel _ZN5aiter21mxfp4_moe_sort_kernelILi256ELi32ELi8ELi32EEEvPhS1_PKiS3_iiiii
		.amdhsa_group_segment_fixed_size 0
		.amdhsa_private_segment_fixed_size 0
		.amdhsa_kernarg_size 52
		.amdhsa_user_sgpr_count 15
		.amdhsa_user_sgpr_dispatch_ptr 0
		.amdhsa_user_sgpr_queue_ptr 0
		.amdhsa_user_sgpr_kernarg_segment_ptr 1
		.amdhsa_user_sgpr_dispatch_id 0
		.amdhsa_user_sgpr_private_segment_size 0
		.amdhsa_wavefront_size32 1
		.amdhsa_uses_dynamic_stack 0
		.amdhsa_enable_private_segment 0
		.amdhsa_system_sgpr_workgroup_id_x 1
		.amdhsa_system_sgpr_workgroup_id_y 0
		.amdhsa_system_sgpr_workgroup_id_z 0
		.amdhsa_system_sgpr_workgroup_info 0
		.amdhsa_system_vgpr_workitem_id 0
		.amdhsa_next_free_vgpr 10
		.amdhsa_next_free_sgpr 43
		.amdhsa_reserve_vcc 1
		.amdhsa_float_round_mode_32 0
		.amdhsa_float_round_mode_16_64 0
		.amdhsa_float_denorm_mode_32 3
		.amdhsa_float_denorm_mode_16_64 3
		.amdhsa_dx10_clamp 1
		.amdhsa_ieee_mode 1
		.amdhsa_fp16_overflow 0
		.amdhsa_workgroup_processor_mode 1
		.amdhsa_memory_ordered 1
		.amdhsa_forward_progress 0
		.amdhsa_shared_vgpr_count 0
		.amdhsa_exception_fp_ieee_invalid_op 0
		.amdhsa_exception_fp_denorm_src 0
		.amdhsa_exception_fp_ieee_div_zero 0
		.amdhsa_exception_fp_ieee_overflow 0
		.amdhsa_exception_fp_ieee_underflow 0
		.amdhsa_exception_fp_ieee_inexact 0
		.amdhsa_exception_int_div_zero 0
	.end_amdhsa_kernel
	.section	.text._ZN5aiter21mxfp4_moe_sort_kernelILi256ELi32ELi8ELi32EEEvPhS1_PKiS3_iiiii,"axG",@progbits,_ZN5aiter21mxfp4_moe_sort_kernelILi256ELi32ELi8ELi32EEEvPhS1_PKiS3_iiiii,comdat
.Lfunc_end239:
	.size	_ZN5aiter21mxfp4_moe_sort_kernelILi256ELi32ELi8ELi32EEEvPhS1_PKiS3_iiiii, .Lfunc_end239-_ZN5aiter21mxfp4_moe_sort_kernelILi256ELi32ELi8ELi32EEEvPhS1_PKiS3_iiiii
                                        ; -- End function
	.section	.AMDGPU.csdata,"",@progbits
; Kernel info:
; codeLenInByte = 1132
; NumSgprs: 45
; NumVgprs: 10
; ScratchSize: 0
; MemoryBound: 0
; FloatMode: 240
; IeeeMode: 1
; LDSByteSize: 0 bytes/workgroup (compile time only)
; SGPRBlocks: 5
; VGPRBlocks: 1
; NumSGPRsForWavesPerEU: 45
; NumVGPRsForWavesPerEU: 10
; Occupancy: 16
; WaveLimiterHint : 0
; COMPUTE_PGM_RSRC2:SCRATCH_EN: 0
; COMPUTE_PGM_RSRC2:USER_SGPR: 15
; COMPUTE_PGM_RSRC2:TRAP_HANDLER: 0
; COMPUTE_PGM_RSRC2:TGID_X_EN: 1
; COMPUTE_PGM_RSRC2:TGID_Y_EN: 0
; COMPUTE_PGM_RSRC2:TGID_Z_EN: 0
; COMPUTE_PGM_RSRC2:TIDIG_COMP_CNT: 0
	.section	.text._ZN5aiter21mxfp4_moe_sort_kernelILi256ELi32ELi16ELi32EEEvPhS1_PKiS3_iiiii,"axG",@progbits,_ZN5aiter21mxfp4_moe_sort_kernelILi256ELi32ELi16ELi32EEEvPhS1_PKiS3_iiiii,comdat
	.protected	_ZN5aiter21mxfp4_moe_sort_kernelILi256ELi32ELi16ELi32EEEvPhS1_PKiS3_iiiii ; -- Begin function _ZN5aiter21mxfp4_moe_sort_kernelILi256ELi32ELi16ELi32EEEvPhS1_PKiS3_iiiii
	.globl	_ZN5aiter21mxfp4_moe_sort_kernelILi256ELi32ELi16ELi32EEEvPhS1_PKiS3_iiiii
	.p2align	8
	.type	_ZN5aiter21mxfp4_moe_sort_kernelILi256ELi32ELi16ELi32EEEvPhS1_PKiS3_iiiii,@function
_ZN5aiter21mxfp4_moe_sort_kernelILi256ELi32ELi16ELi32EEEvPhS1_PKiS3_iiiii: ; @_ZN5aiter21mxfp4_moe_sort_kernelILi256ELi32ELi16ELi32EEEvPhS1_PKiS3_iiiii
; %bb.0:
	s_load_b128 s[28:31], s[0:1], 0x20
	s_waitcnt lgkmcnt(0)
	s_cmp_ge_i32 s15, s30
	s_cbranch_scc1 .LBB240_38
; %bb.1:
	s_clause 0x1
	s_load_b256 s[20:27], s[0:1], 0x0
	s_load_b32 s19, s[0:1], 0x30
	s_add_i32 s0, s29, 31
	v_lshlrev_b32_e32 v2, 4, v0
	s_ashr_i32 s1, s0, 31
	v_lshrrev_b32_e32 v1, 3, v0
	s_lshr_b32 s1, s1, 27
	v_lshlrev_b32_e32 v0, 9, v0
	s_add_i32 s0, s0, s1
	v_and_b32_e32 v4, 0x70, v2
	s_ashr_i32 s29, s0, 5
	s_mov_b32 s39, -1
	s_add_i32 s0, s29, 7
	v_and_b32_e32 v7, 0xe00, v0
	s_lshr_b32 s1, s0, 29
	v_or_b32_e32 v2, 1, v4
	s_add_i32 s0, s0, s1
	v_or_b32_e32 v3, 2, v4
	s_lshl_b32 s0, s0, 5
	v_or_b32_e32 v0, 4, v4
	s_and_b32 s33, s0, 0xffffff00
	v_cmp_gt_i32_e64 s0, s29, v2
	v_or_b32_e32 v2, 5, v4
	s_mul_i32 s1, s29, s28
	v_cmp_gt_i32_e64 s3, s29, v0
	s_waitcnt lgkmcnt(0)
	s_mul_i32 s38, s1, s19
	v_cmp_gt_i32_e64 s1, s29, v3
	v_or_b32_e32 v0, 6, v4
	v_or_b32_e32 v3, 7, v4
	v_cmp_gt_i32_e64 s4, s29, v2
	v_or_b32_e32 v2, 9, v4
	v_or_b32_e32 v5, 3, v4
	v_cmp_gt_i32_e64 s5, s29, v0
	v_cmp_gt_i32_e64 s6, s29, v3
	v_or_b32_e32 v0, 10, v4
	v_lshlrev_b32_e32 v3, 5, v2
	v_or_b32_e32 v6, 11, v4
	s_load_b32 s26, s[26:27], 0x0
	v_cmp_gt_i32_e64 s2, s29, v5
	v_or_b32_e32 v5, 8, v4
	v_cmp_gt_i32_e64 s8, s29, v2
	v_lshlrev_b32_e32 v2, 5, v0
	v_and_b32_e32 v9, 0xf00, v3
	v_lshlrev_b32_e32 v3, 5, v6
	v_cmp_gt_i32_e64 s9, s29, v0
	v_or_b32_e32 v0, 12, v4
	v_cmp_gt_i32_e64 s7, s29, v5
	v_lshlrev_b32_e32 v8, 5, v5
	v_and_b32_e32 v10, 0xf00, v2
	v_and_b32_e32 v11, 0xf00, v3
	v_or_b32_e32 v2, 13, v4
	v_lshlrev_b32_e32 v3, 5, v0
	v_or_b32_e32 v5, 14, v4
	v_cmp_gt_i32_e64 s11, s29, v0
	v_or_b32_e32 v0, 15, v4
	v_cmp_gt_i32_e64 s10, s29, v6
	v_lshlrev_b32_e32 v6, 5, v2
	v_and_b32_e32 v12, 0xf00, v3
	v_lshlrev_b32_e32 v3, 5, v5
	v_cmp_gt_i32_e64 s12, s29, v2
	v_lshlrev_b32_e32 v2, 5, v0
	s_and_b32 s23, s23, 0xffff
	v_cmp_gt_i32_e32 vcc_lo, s29, v4
	v_and_b32_e32 v13, 0xf00, v6
	v_cmp_gt_i32_e64 s13, s29, v5
	v_and_b32_e32 v14, 0xf00, v3
	v_cmp_gt_i32_e64 s14, s29, v0
	v_and_b32_e32 v15, 0xf00, v2
	v_lshl_add_u32 v5, s15, 5, v1
	s_cmp_eq_u32 s19, 1
	s_mov_b64 s[36:37], s[22:23]
	s_cselect_b32 s16, -1, 0
	s_lshl_b32 s22, s31, 5
	s_branch .LBB240_3
.LBB240_2:                              ;   in Loop: Header=BB240_3 Depth=1
	s_or_b32 exec_lo, exec_lo, s18
	v_add_nc_u32_e32 v5, s22, v5
	s_add_i32 s15, s15, s31
	s_delay_alu instid0(SALU_CYCLE_1)
	s_cmp_lt_i32 s15, s30
	s_cbranch_scc0 .LBB240_38
.LBB240_3:                              ; =>This Inner Loop Header: Depth=1
	s_waitcnt vmcnt(0)
	v_mov_b32_e32 v1, s28
	v_ashrrev_i32_e32 v6, 31, v5
	s_mov_b32 s18, exec_lo
	s_waitcnt lgkmcnt(0)
	v_cmpx_gt_i32_e64 s26, v5
	s_cbranch_execz .LBB240_5
; %bb.4:                                ;   in Loop: Header=BB240_3 Depth=1
	v_lshlrev_b64 v[0:1], 2, v[5:6]
	s_delay_alu instid0(VALU_DEP_1) | instskip(NEXT) | instid1(VALU_DEP_1)
	v_add_co_u32 v0, s17, s24, v0
	v_add_co_ci_u32_e64 v1, s17, s25, v1, s17
	global_load_b32 v1, v[0:1], off
.LBB240_5:                              ;   in Loop: Header=BB240_3 Depth=1
	s_or_b32 exec_lo, exec_lo, s18
	s_waitcnt vmcnt(0)
	v_ashrrev_i32_e32 v0, 24, v1
	v_and_b32_e32 v1, 0xffffff, v1
	s_delay_alu instid0(VALU_DEP_2) | instskip(NEXT) | instid1(VALU_DEP_2)
	v_cmp_gt_i32_e64 s17, s19, v0
	v_cmp_gt_i32_e64 s18, s28, v1
	s_delay_alu instid0(VALU_DEP_2)
	s_or_b32 s17, s16, s17
	s_delay_alu instid0(VALU_DEP_1) | instid1(SALU_CYCLE_1)
	s_and_b32 s17, s18, s17
	s_delay_alu instid0(SALU_CYCLE_1)
	s_and_saveexec_b32 s18, s17
	s_cbranch_execz .LBB240_2
; %bb.6:                                ;   in Loop: Header=BB240_3 Depth=1
	v_mad_u64_u32 v[2:3], null, v1, s19, v[0:1]
	v_lshrrev_b32_e32 v16, 27, v6
	v_lshrrev_b32_e32 v6, 28, v6
	s_delay_alu instid0(VALU_DEP_2) | instskip(NEXT) | instid1(VALU_DEP_4)
	v_add_nc_u32_e32 v16, v5, v16
	v_cndmask_b32_e64 v2, v2, v1, s16
	s_delay_alu instid0(VALU_DEP_3) | instskip(NEXT) | instid1(VALU_DEP_3)
	v_add_nc_u32_e32 v6, v5, v6
	v_and_b32_e32 v17, 0xffe0, v16
	s_delay_alu instid0(VALU_DEP_3) | instskip(NEXT) | instid1(VALU_DEP_3)
	v_mad_u64_u32 v[0:1], null, v2, s29, v[4:5]
	v_and_b32_e32 v6, 0x3ffffff0, v6
	v_ashrrev_i32_e32 v16, 5, v16
	s_delay_alu instid0(VALU_DEP_4) | instskip(NEXT) | instid1(VALU_DEP_3)
	v_sub_nc_u32_e32 v17, v5, v17
	v_sub_nc_u32_e32 v6, v5, v6
	buffer_load_b128 v[0:3], v0, s[36:39], 0 offen
	v_bfe_i32 v18, v17, 0, 8
	v_mul_lo_u32 v16, s33, v16
	v_lshlrev_b32_e32 v6, 2, v6
	s_delay_alu instid0(VALU_DEP_3) | instskip(NEXT) | instid1(VALU_DEP_1)
	v_lshrrev_b16 v18, 11, v18
	v_and_b32_e32 v18, 15, v18
	s_delay_alu instid0(VALU_DEP_1) | instskip(NEXT) | instid1(VALU_DEP_1)
	v_add_nc_u16 v17, v17, v18
	v_bfe_i32 v17, v17, 0, 8
	s_delay_alu instid0(VALU_DEP_1) | instskip(NEXT) | instid1(VALU_DEP_1)
	v_ashrrev_i16 v17, 4, v17
	v_bfe_i32 v17, v17, 0, 16
	s_delay_alu instid0(VALU_DEP_1)
	v_add3_u32 v6, v6, v16, v17
	s_and_saveexec_b32 s23, vcc_lo
	s_cbranch_execnz .LBB240_22
; %bb.7:                                ;   in Loop: Header=BB240_3 Depth=1
	s_or_b32 exec_lo, exec_lo, s23
	s_and_saveexec_b32 s23, s0
	s_cbranch_execnz .LBB240_23
.LBB240_8:                              ;   in Loop: Header=BB240_3 Depth=1
	s_or_b32 exec_lo, exec_lo, s23
	s_and_saveexec_b32 s23, s1
	s_cbranch_execnz .LBB240_24
.LBB240_9:                              ;   in Loop: Header=BB240_3 Depth=1
	s_or_b32 exec_lo, exec_lo, s23
	s_and_saveexec_b32 s23, s2
	s_cbranch_execnz .LBB240_25
.LBB240_10:                             ;   in Loop: Header=BB240_3 Depth=1
	s_or_b32 exec_lo, exec_lo, s23
	s_and_saveexec_b32 s23, s3
	s_cbranch_execnz .LBB240_26
.LBB240_11:                             ;   in Loop: Header=BB240_3 Depth=1
	s_or_b32 exec_lo, exec_lo, s23
	s_and_saveexec_b32 s23, s4
	s_cbranch_execnz .LBB240_27
.LBB240_12:                             ;   in Loop: Header=BB240_3 Depth=1
	s_or_b32 exec_lo, exec_lo, s23
	s_and_saveexec_b32 s23, s5
	s_cbranch_execnz .LBB240_28
.LBB240_13:                             ;   in Loop: Header=BB240_3 Depth=1
	s_or_b32 exec_lo, exec_lo, s23
	s_and_saveexec_b32 s23, s6
	s_cbranch_execnz .LBB240_29
.LBB240_14:                             ;   in Loop: Header=BB240_3 Depth=1
	s_or_b32 exec_lo, exec_lo, s23
	s_and_saveexec_b32 s23, s7
	s_cbranch_execnz .LBB240_30
.LBB240_15:                             ;   in Loop: Header=BB240_3 Depth=1
	s_or_b32 exec_lo, exec_lo, s23
	s_and_saveexec_b32 s23, s8
	s_cbranch_execnz .LBB240_31
.LBB240_16:                             ;   in Loop: Header=BB240_3 Depth=1
	s_or_b32 exec_lo, exec_lo, s23
	s_and_saveexec_b32 s23, s9
	s_cbranch_execnz .LBB240_32
.LBB240_17:                             ;   in Loop: Header=BB240_3 Depth=1
	s_or_b32 exec_lo, exec_lo, s23
	s_and_saveexec_b32 s23, s10
	s_cbranch_execnz .LBB240_33
.LBB240_18:                             ;   in Loop: Header=BB240_3 Depth=1
	s_or_b32 exec_lo, exec_lo, s23
	s_and_saveexec_b32 s23, s11
	s_cbranch_execnz .LBB240_34
.LBB240_19:                             ;   in Loop: Header=BB240_3 Depth=1
	s_or_b32 exec_lo, exec_lo, s23
	s_and_saveexec_b32 s23, s12
	s_cbranch_execnz .LBB240_35
.LBB240_20:                             ;   in Loop: Header=BB240_3 Depth=1
	s_or_b32 exec_lo, exec_lo, s23
	s_and_saveexec_b32 s23, s13
	s_cbranch_execnz .LBB240_36
.LBB240_21:                             ;   in Loop: Header=BB240_3 Depth=1
	s_or_b32 exec_lo, exec_lo, s23
	s_delay_alu instid0(SALU_CYCLE_1)
	s_and_b32 exec_lo, exec_lo, s14
	s_cbranch_execz .LBB240_2
	s_branch .LBB240_37
.LBB240_22:                             ;   in Loop: Header=BB240_3 Depth=1
	s_delay_alu instid0(VALU_DEP_1) | instskip(NEXT) | instid1(VALU_DEP_1)
	v_add_nc_u32_e32 v16, v6, v7
	v_ashrrev_i32_e32 v17, 31, v16
	v_add_co_u32 v16, s17, s20, v16
	s_delay_alu instid0(VALU_DEP_1)
	v_add_co_ci_u32_e64 v17, s17, s21, v17, s17
	s_waitcnt vmcnt(0)
	global_store_b8 v[16:17], v0, off
	s_or_b32 exec_lo, exec_lo, s23
	s_and_saveexec_b32 s23, s0
	s_cbranch_execz .LBB240_8
.LBB240_23:                             ;   in Loop: Header=BB240_3 Depth=1
	v_add3_u32 v16, v6, v7, 64
	s_waitcnt vmcnt(0)
	v_lshrrev_b32_e32 v18, 8, v0
	s_delay_alu instid0(VALU_DEP_2) | instskip(SKIP_1) | instid1(VALU_DEP_1)
	v_ashrrev_i32_e32 v17, 31, v16
	v_add_co_u32 v16, s17, s20, v16
	v_add_co_ci_u32_e64 v17, s17, s21, v17, s17
	global_store_b8 v[16:17], v18, off
	s_or_b32 exec_lo, exec_lo, s23
	s_and_saveexec_b32 s23, s1
	s_cbranch_execz .LBB240_9
.LBB240_24:                             ;   in Loop: Header=BB240_3 Depth=1
	v_add3_u32 v16, v6, v7, 0x80
	s_delay_alu instid0(VALU_DEP_1) | instskip(SKIP_1) | instid1(VALU_DEP_1)
	v_ashrrev_i32_e32 v17, 31, v16
	v_add_co_u32 v16, s17, s20, v16
	v_add_co_ci_u32_e64 v17, s17, s21, v17, s17
	s_waitcnt vmcnt(0)
	global_store_d16_hi_b8 v[16:17], v0, off
	s_or_b32 exec_lo, exec_lo, s23
	s_and_saveexec_b32 s23, s2
	s_cbranch_execz .LBB240_10
.LBB240_25:                             ;   in Loop: Header=BB240_3 Depth=1
	v_add3_u32 v16, v6, v7, 0xc0
	s_waitcnt vmcnt(0)
	v_lshrrev_b32_e32 v0, 24, v0
	s_delay_alu instid0(VALU_DEP_2) | instskip(SKIP_1) | instid1(VALU_DEP_1)
	v_ashrrev_i32_e32 v17, 31, v16
	v_add_co_u32 v16, s17, s20, v16
	v_add_co_ci_u32_e64 v17, s17, s21, v17, s17
	global_store_b8 v[16:17], v0, off
	s_or_b32 exec_lo, exec_lo, s23
	s_and_saveexec_b32 s23, s3
	s_cbranch_execz .LBB240_11
.LBB240_26:                             ;   in Loop: Header=BB240_3 Depth=1
	s_waitcnt vmcnt(0)
	v_add3_u32 v0, v6, v7, 2
	s_delay_alu instid0(VALU_DEP_1) | instskip(SKIP_1) | instid1(VALU_DEP_1)
	v_ashrrev_i32_e32 v17, 31, v0
	v_add_co_u32 v16, s17, s20, v0
	v_add_co_ci_u32_e64 v17, s17, s21, v17, s17
	global_store_b8 v[16:17], v1, off
	s_or_b32 exec_lo, exec_lo, s23
	s_and_saveexec_b32 s23, s4
	s_cbranch_execz .LBB240_12
.LBB240_27:                             ;   in Loop: Header=BB240_3 Depth=1
	s_waitcnt vmcnt(0)
	v_add3_u32 v0, v6, v7, 0x42
	v_lshrrev_b32_e32 v18, 8, v1
	s_delay_alu instid0(VALU_DEP_2) | instskip(SKIP_1) | instid1(VALU_DEP_1)
	v_ashrrev_i32_e32 v17, 31, v0
	v_add_co_u32 v16, s17, s20, v0
	v_add_co_ci_u32_e64 v17, s17, s21, v17, s17
	global_store_b8 v[16:17], v18, off
	s_or_b32 exec_lo, exec_lo, s23
	s_and_saveexec_b32 s23, s5
	s_cbranch_execz .LBB240_13
.LBB240_28:                             ;   in Loop: Header=BB240_3 Depth=1
	s_waitcnt vmcnt(0)
	v_add3_u32 v0, v6, v7, 0x82
	s_delay_alu instid0(VALU_DEP_1) | instskip(SKIP_1) | instid1(VALU_DEP_1)
	v_ashrrev_i32_e32 v17, 31, v0
	v_add_co_u32 v16, s17, s20, v0
	v_add_co_ci_u32_e64 v17, s17, s21, v17, s17
	global_store_d16_hi_b8 v[16:17], v1, off
	s_or_b32 exec_lo, exec_lo, s23
	s_and_saveexec_b32 s23, s6
	s_cbranch_execz .LBB240_14
.LBB240_29:                             ;   in Loop: Header=BB240_3 Depth=1
	s_waitcnt vmcnt(0)
	v_add3_u32 v0, v6, v7, 0xc2
	v_lshrrev_b32_e32 v17, 24, v1
	s_delay_alu instid0(VALU_DEP_2) | instskip(SKIP_1) | instid1(VALU_DEP_1)
	v_ashrrev_i32_e32 v16, 31, v0
	v_add_co_u32 v0, s17, s20, v0
	v_add_co_ci_u32_e64 v1, s17, s21, v16, s17
	global_store_b8 v[0:1], v17, off
	s_or_b32 exec_lo, exec_lo, s23
	s_and_saveexec_b32 s23, s7
	s_cbranch_execz .LBB240_15
.LBB240_30:                             ;   in Loop: Header=BB240_3 Depth=1
	s_waitcnt vmcnt(0)
	v_add_nc_u32_e32 v0, v6, v8
	s_delay_alu instid0(VALU_DEP_1) | instskip(SKIP_1) | instid1(VALU_DEP_1)
	v_ashrrev_i32_e32 v1, 31, v0
	v_add_co_u32 v0, s17, s20, v0
	v_add_co_ci_u32_e64 v1, s17, s21, v1, s17
	global_store_b8 v[0:1], v2, off
	s_or_b32 exec_lo, exec_lo, s23
	s_and_saveexec_b32 s23, s8
	s_cbranch_execz .LBB240_16
.LBB240_31:                             ;   in Loop: Header=BB240_3 Depth=1
	s_waitcnt vmcnt(0)
	v_add3_u32 v0, v6, v9, 64
	v_lshrrev_b32_e32 v16, 8, v2
	s_delay_alu instid0(VALU_DEP_2) | instskip(SKIP_1) | instid1(VALU_DEP_1)
	v_ashrrev_i32_e32 v1, 31, v0
	v_add_co_u32 v0, s17, s20, v0
	v_add_co_ci_u32_e64 v1, s17, s21, v1, s17
	global_store_b8 v[0:1], v16, off
	s_or_b32 exec_lo, exec_lo, s23
	s_and_saveexec_b32 s23, s9
	s_cbranch_execz .LBB240_17
.LBB240_32:                             ;   in Loop: Header=BB240_3 Depth=1
	s_waitcnt vmcnt(0)
	v_add3_u32 v0, v6, v10, 0x80
	s_delay_alu instid0(VALU_DEP_1) | instskip(SKIP_1) | instid1(VALU_DEP_1)
	v_ashrrev_i32_e32 v1, 31, v0
	v_add_co_u32 v0, s17, s20, v0
	v_add_co_ci_u32_e64 v1, s17, s21, v1, s17
	global_store_d16_hi_b8 v[0:1], v2, off
	s_or_b32 exec_lo, exec_lo, s23
	s_and_saveexec_b32 s23, s10
	s_cbranch_execz .LBB240_18
.LBB240_33:                             ;   in Loop: Header=BB240_3 Depth=1
	s_waitcnt vmcnt(0)
	v_add3_u32 v0, v6, v11, 0xc0
	v_lshrrev_b32_e32 v2, 24, v2
	s_delay_alu instid0(VALU_DEP_2) | instskip(SKIP_1) | instid1(VALU_DEP_1)
	v_ashrrev_i32_e32 v1, 31, v0
	v_add_co_u32 v0, s17, s20, v0
	v_add_co_ci_u32_e64 v1, s17, s21, v1, s17
	global_store_b8 v[0:1], v2, off
	s_or_b32 exec_lo, exec_lo, s23
	s_and_saveexec_b32 s23, s11
	s_cbranch_execz .LBB240_19
.LBB240_34:                             ;   in Loop: Header=BB240_3 Depth=1
	s_waitcnt vmcnt(0)
	v_add3_u32 v0, v6, v12, 2
	s_delay_alu instid0(VALU_DEP_1) | instskip(SKIP_1) | instid1(VALU_DEP_1)
	v_ashrrev_i32_e32 v1, 31, v0
	v_add_co_u32 v0, s17, s20, v0
	v_add_co_ci_u32_e64 v1, s17, s21, v1, s17
	global_store_b8 v[0:1], v3, off
	s_or_b32 exec_lo, exec_lo, s23
	s_and_saveexec_b32 s23, s12
	s_cbranch_execz .LBB240_20
.LBB240_35:                             ;   in Loop: Header=BB240_3 Depth=1
	s_waitcnt vmcnt(0)
	v_add3_u32 v0, v6, v13, 0x42
	v_lshrrev_b32_e32 v2, 8, v3
	s_delay_alu instid0(VALU_DEP_2) | instskip(SKIP_1) | instid1(VALU_DEP_1)
	v_ashrrev_i32_e32 v1, 31, v0
	v_add_co_u32 v0, s17, s20, v0
	v_add_co_ci_u32_e64 v1, s17, s21, v1, s17
	global_store_b8 v[0:1], v2, off
	s_or_b32 exec_lo, exec_lo, s23
	s_and_saveexec_b32 s23, s13
	s_cbranch_execz .LBB240_21
.LBB240_36:                             ;   in Loop: Header=BB240_3 Depth=1
	s_waitcnt vmcnt(0)
	v_add3_u32 v0, v6, v14, 0x82
	s_delay_alu instid0(VALU_DEP_1) | instskip(SKIP_1) | instid1(VALU_DEP_1)
	v_ashrrev_i32_e32 v1, 31, v0
	v_add_co_u32 v0, s17, s20, v0
	v_add_co_ci_u32_e64 v1, s17, s21, v1, s17
	global_store_d16_hi_b8 v[0:1], v3, off
	s_or_b32 exec_lo, exec_lo, s23
	s_delay_alu instid0(SALU_CYCLE_1)
	s_and_b32 exec_lo, exec_lo, s14
	s_cbranch_execz .LBB240_2
.LBB240_37:                             ;   in Loop: Header=BB240_3 Depth=1
	s_waitcnt vmcnt(0)
	v_add3_u32 v0, v6, v15, 0xc2
	v_lshrrev_b32_e32 v2, 24, v3
	s_delay_alu instid0(VALU_DEP_2) | instskip(SKIP_1) | instid1(VALU_DEP_1)
	v_ashrrev_i32_e32 v1, 31, v0
	v_add_co_u32 v0, s17, s20, v0
	v_add_co_ci_u32_e64 v1, s17, s21, v1, s17
	global_store_b8 v[0:1], v2, off
	s_branch .LBB240_2
.LBB240_38:
	s_nop 0
	s_sendmsg sendmsg(MSG_DEALLOC_VGPRS)
	s_endpgm
	.section	.rodata,"a",@progbits
	.p2align	6, 0x0
	.amdhsa_kernel _ZN5aiter21mxfp4_moe_sort_kernelILi256ELi32ELi16ELi32EEEvPhS1_PKiS3_iiiii
		.amdhsa_group_segment_fixed_size 0
		.amdhsa_private_segment_fixed_size 0
		.amdhsa_kernarg_size 52
		.amdhsa_user_sgpr_count 15
		.amdhsa_user_sgpr_dispatch_ptr 0
		.amdhsa_user_sgpr_queue_ptr 0
		.amdhsa_user_sgpr_kernarg_segment_ptr 1
		.amdhsa_user_sgpr_dispatch_id 0
		.amdhsa_user_sgpr_private_segment_size 0
		.amdhsa_wavefront_size32 1
		.amdhsa_uses_dynamic_stack 0
		.amdhsa_enable_private_segment 0
		.amdhsa_system_sgpr_workgroup_id_x 1
		.amdhsa_system_sgpr_workgroup_id_y 0
		.amdhsa_system_sgpr_workgroup_id_z 0
		.amdhsa_system_sgpr_workgroup_info 0
		.amdhsa_system_vgpr_workitem_id 0
		.amdhsa_next_free_vgpr 19
		.amdhsa_next_free_sgpr 40
		.amdhsa_reserve_vcc 1
		.amdhsa_float_round_mode_32 0
		.amdhsa_float_round_mode_16_64 0
		.amdhsa_float_denorm_mode_32 3
		.amdhsa_float_denorm_mode_16_64 3
		.amdhsa_dx10_clamp 1
		.amdhsa_ieee_mode 1
		.amdhsa_fp16_overflow 0
		.amdhsa_workgroup_processor_mode 1
		.amdhsa_memory_ordered 1
		.amdhsa_forward_progress 0
		.amdhsa_shared_vgpr_count 0
		.amdhsa_exception_fp_ieee_invalid_op 0
		.amdhsa_exception_fp_denorm_src 0
		.amdhsa_exception_fp_ieee_div_zero 0
		.amdhsa_exception_fp_ieee_overflow 0
		.amdhsa_exception_fp_ieee_underflow 0
		.amdhsa_exception_fp_ieee_inexact 0
		.amdhsa_exception_int_div_zero 0
	.end_amdhsa_kernel
	.section	.text._ZN5aiter21mxfp4_moe_sort_kernelILi256ELi32ELi16ELi32EEEvPhS1_PKiS3_iiiii,"axG",@progbits,_ZN5aiter21mxfp4_moe_sort_kernelILi256ELi32ELi16ELi32EEEvPhS1_PKiS3_iiiii,comdat
.Lfunc_end240:
	.size	_ZN5aiter21mxfp4_moe_sort_kernelILi256ELi32ELi16ELi32EEEvPhS1_PKiS3_iiiii, .Lfunc_end240-_ZN5aiter21mxfp4_moe_sort_kernelILi256ELi32ELi16ELi32EEEvPhS1_PKiS3_iiiii
                                        ; -- End function
	.section	.AMDGPU.csdata,"",@progbits
; Kernel info:
; codeLenInByte = 1952
; NumSgprs: 42
; NumVgprs: 19
; ScratchSize: 0
; MemoryBound: 0
; FloatMode: 240
; IeeeMode: 1
; LDSByteSize: 0 bytes/workgroup (compile time only)
; SGPRBlocks: 5
; VGPRBlocks: 2
; NumSGPRsForWavesPerEU: 42
; NumVGPRsForWavesPerEU: 19
; Occupancy: 16
; WaveLimiterHint : 0
; COMPUTE_PGM_RSRC2:SCRATCH_EN: 0
; COMPUTE_PGM_RSRC2:USER_SGPR: 15
; COMPUTE_PGM_RSRC2:TRAP_HANDLER: 0
; COMPUTE_PGM_RSRC2:TGID_X_EN: 1
; COMPUTE_PGM_RSRC2:TGID_Y_EN: 0
; COMPUTE_PGM_RSRC2:TGID_Z_EN: 0
; COMPUTE_PGM_RSRC2:TIDIG_COMP_CNT: 0
	.section	.text._ZN5aiter21mxfp4_moe_sort_kernelILi256ELi32ELi24ELi32EEEvPhS1_PKiS3_iiiii,"axG",@progbits,_ZN5aiter21mxfp4_moe_sort_kernelILi256ELi32ELi24ELi32EEEvPhS1_PKiS3_iiiii,comdat
	.protected	_ZN5aiter21mxfp4_moe_sort_kernelILi256ELi32ELi24ELi32EEEvPhS1_PKiS3_iiiii ; -- Begin function _ZN5aiter21mxfp4_moe_sort_kernelILi256ELi32ELi24ELi32EEEvPhS1_PKiS3_iiiii
	.globl	_ZN5aiter21mxfp4_moe_sort_kernelILi256ELi32ELi24ELi32EEEvPhS1_PKiS3_iiiii
	.p2align	8
	.type	_ZN5aiter21mxfp4_moe_sort_kernelILi256ELi32ELi24ELi32EEEvPhS1_PKiS3_iiiii,@function
_ZN5aiter21mxfp4_moe_sort_kernelILi256ELi32ELi24ELi32EEEvPhS1_PKiS3_iiiii: ; @_ZN5aiter21mxfp4_moe_sort_kernelILi256ELi32ELi24ELi32EEEvPhS1_PKiS3_iiiii
; %bb.0:
	s_load_b128 s[28:31], s[0:1], 0x20
	s_waitcnt lgkmcnt(0)
	s_cmp_ge_i32 s15, s30
	s_cbranch_scc1 .LBB241_54
; %bb.1:
	s_clause 0x1
	s_load_b256 s[36:43], s[0:1], 0x0
	s_load_b32 s27, s[0:1], 0x30
	s_add_i32 s0, s29, 31
	v_and_b32_e32 v1, 7, v0
	s_ashr_i32 s1, s0, 31
	v_lshrrev_b32_e32 v2, 3, v0
	s_lshr_b32 s1, s1, 27
	s_mov_b32 s47, -1
	s_add_i32 s0, s0, s1
	v_mul_u32_u24_e32 v0, 24, v1
	s_ashr_i32 s29, s0, 5
	v_mad_u32_u24 v7, v1, 24, 19
	s_add_i32 s0, s29, 7
	v_mul_u32_u24_e32 v9, 0x300, v1
	v_or_b32_e32 v4, 2, v0
	s_lshr_b32 s1, s0, 29
	v_or_b32_e32 v3, 1, v0
	s_add_i32 s0, s0, s1
	s_mul_i32 s1, s29, s28
	v_or_b32_e32 v6, 4, v0
	s_lshl_b32 s0, s0, 5
	s_waitcnt lgkmcnt(0)
	s_mul_i32 s46, s1, s27
	v_cmp_gt_i32_e64 s1, s29, v4
	v_or_b32_e32 v4, 6, v0
	s_and_b32 s33, s0, 0xffffff00
	v_or_b32_e32 v5, 3, v0
	v_cmp_gt_i32_e64 s0, s29, v3
	v_or_b32_e32 v3, 5, v0
	v_cmp_gt_i32_e64 s3, s29, v6
	v_mad_u32_u24 v6, v1, 24, 8
	v_cmp_gt_i32_e64 s5, s29, v4
	v_mad_u32_u24 v4, v1, 24, 10
	v_cmp_gt_i32_e64 s2, s29, v5
	v_or_b32_e32 v5, 7, v0
	v_cmp_gt_i32_e64 s4, s29, v3
	v_mad_u32_u24 v3, v1, 24, 9
	v_cmp_gt_i32_e64 s7, s29, v6
	v_lshlrev_b32_e32 v10, 5, v6
	v_lshlrev_b32_e32 v6, 5, v4
	v_cmp_gt_i32_e64 s9, s29, v4
	v_mad_u32_u24 v4, v1, 24, 12
	v_cmp_gt_i32_e64 s6, s29, v5
	v_lshlrev_b32_e32 v5, 5, v3
	v_cmp_gt_i32_e64 s8, s29, v3
	v_mad_u32_u24 v3, v1, 24, 11
	v_and_b32_e32 v12, 0x3f00, v6
	v_lshlrev_b32_e32 v6, 5, v4
	v_and_b32_e32 v11, 0x3f00, v5
	v_cmp_gt_i32_e64 s11, s29, v4
	v_lshlrev_b32_e32 v5, 5, v3
	v_cmp_gt_i32_e64 s10, s29, v3
	v_mad_u32_u24 v3, v1, 24, 13
	v_mad_u32_u24 v4, v1, 24, 14
	v_and_b32_e32 v14, 0x3f00, v6
	v_mad_u32_u24 v6, v1, 24, 15
	v_and_b32_e32 v13, 0x3f00, v5
	v_lshlrev_b32_e32 v5, 5, v3
	v_cmp_gt_i32_e64 s12, s29, v3
	v_lshlrev_b32_e32 v3, 5, v4
	v_cmp_gt_i32_e64 s13, s29, v4
	v_lshlrev_b32_e32 v4, 5, v6
	v_and_b32_e32 v15, 0x3f00, v5
	v_mad_u32_u24 v5, v1, 24, 16
	v_and_b32_e32 v16, 0x3f00, v3
	v_mad_u32_u24 v3, v1, 24, 17
	;; [unrolled: 2-line block ×3, first 2 shown]
	s_load_b32 s34, s[42:43], 0x0
	v_cmp_gt_i32_e64 s14, s29, v6
	v_cmp_gt_i32_e64 s16, s29, v5
	v_lshlrev_b32_e32 v6, 5, v3
	v_lshlrev_b32_e32 v18, 5, v5
	v_cmp_gt_i32_e64 s17, s29, v3
	v_lshlrev_b32_e32 v3, 5, v4
	v_lshlrev_b32_e32 v5, 5, v7
	v_cmp_gt_i32_e64 s18, s29, v4
	v_mad_u32_u24 v4, v1, 24, 20
	v_and_b32_e32 v19, 0x3f00, v6
	v_and_b32_e32 v20, 0x3f00, v3
	;; [unrolled: 1-line block ×3, first 2 shown]
	v_mad_u32_u24 v3, v1, 24, 21
	v_lshlrev_b32_e32 v5, 5, v4
	v_mad_u32_u24 v6, v1, 24, 22
	v_mad_u32_u24 v1, v1, 24, 23
	v_cmp_gt_i32_e64 s20, s29, v4
	v_lshlrev_b32_e32 v4, 5, v3
	v_and_b32_e32 v22, 0x3f00, v5
	v_lshlrev_b32_e32 v5, 5, v6
	v_cmp_gt_i32_e64 s21, s29, v3
	v_lshlrev_b32_e32 v3, 5, v1
	v_cmp_gt_i32_e32 vcc_lo, s29, v0
	s_and_b32 s39, s39, 0xffff
	v_cmp_gt_i32_e64 s19, s29, v7
	v_and_b32_e32 v23, 0x3f00, v4
	v_cmp_gt_i32_e64 s22, s29, v6
	v_and_b32_e32 v24, 0x3f00, v5
	v_cmp_gt_i32_e64 s23, s29, v1
	v_and_b32_e32 v25, 0x3f00, v3
	v_lshl_add_u32 v1, s15, 5, v2
	s_cmp_eq_u32 s27, 1
	s_mov_b64 s[44:45], s[38:39]
	s_cselect_b32 s24, -1, 0
	s_lshl_b32 s35, s31, 5
	s_branch .LBB241_3
.LBB241_2:                              ;   in Loop: Header=BB241_3 Depth=1
	s_or_b32 exec_lo, exec_lo, s26
	v_add_nc_u32_e32 v1, s35, v1
	s_add_i32 s15, s15, s31
	s_delay_alu instid0(SALU_CYCLE_1)
	s_cmp_lt_i32 s15, s30
	s_cbranch_scc0 .LBB241_54
.LBB241_3:                              ; =>This Inner Loop Header: Depth=1
	s_waitcnt vmcnt(0)
	v_mov_b32_e32 v4, s28
	v_ashrrev_i32_e32 v2, 31, v1
	s_mov_b32 s26, exec_lo
	s_waitcnt lgkmcnt(0)
	v_cmpx_gt_i32_e64 s34, v1
	s_cbranch_execz .LBB241_5
; %bb.4:                                ;   in Loop: Header=BB241_3 Depth=1
	v_lshlrev_b64 v[3:4], 2, v[1:2]
	s_delay_alu instid0(VALU_DEP_1) | instskip(NEXT) | instid1(VALU_DEP_1)
	v_add_co_u32 v3, s25, s40, v3
	v_add_co_ci_u32_e64 v4, s25, s41, v4, s25
	global_load_b32 v4, v[3:4], off
.LBB241_5:                              ;   in Loop: Header=BB241_3 Depth=1
	s_or_b32 exec_lo, exec_lo, s26
	s_waitcnt vmcnt(0)
	v_ashrrev_i32_e32 v3, 24, v4
	v_and_b32_e32 v4, 0xffffff, v4
	s_delay_alu instid0(VALU_DEP_2) | instskip(NEXT) | instid1(VALU_DEP_2)
	v_cmp_gt_i32_e64 s25, s27, v3
	v_cmp_gt_i32_e64 s26, s28, v4
	s_delay_alu instid0(VALU_DEP_2)
	s_or_b32 s25, s24, s25
	s_delay_alu instid0(VALU_DEP_1) | instid1(SALU_CYCLE_1)
	s_and_b32 s25, s26, s25
	s_delay_alu instid0(SALU_CYCLE_1)
	s_and_saveexec_b32 s26, s25
	s_cbranch_execz .LBB241_2
; %bb.6:                                ;   in Loop: Header=BB241_3 Depth=1
	v_mad_u64_u32 v[5:6], null, v4, s27, v[3:4]
	v_lshrrev_b32_e32 v26, 27, v2
	v_lshrrev_b32_e32 v2, 28, v2
	s_delay_alu instid0(VALU_DEP_2) | instskip(NEXT) | instid1(VALU_DEP_4)
	v_add_nc_u32_e32 v26, v1, v26
	v_cndmask_b32_e64 v5, v5, v4, s24
	s_delay_alu instid0(VALU_DEP_3) | instskip(NEXT) | instid1(VALU_DEP_3)
	v_add_nc_u32_e32 v2, v1, v2
	v_and_b32_e32 v27, 0xffe0, v26
	s_delay_alu instid0(VALU_DEP_3) | instskip(NEXT) | instid1(VALU_DEP_3)
	v_mad_u64_u32 v[3:4], null, v5, s29, v[0:1]
	v_and_b32_e32 v2, 0x3ffffff0, v2
	v_ashrrev_i32_e32 v26, 5, v26
	s_delay_alu instid0(VALU_DEP_4)
	v_sub_nc_u32_e32 v27, v1, v27
	s_clause 0x2
	buffer_load_b64 v[7:8], v3, s[44:47], 0 offen
	buffer_load_b64 v[5:6], v3, s[44:47], 8 offen
	;; [unrolled: 1-line block ×3, first 2 shown]
	v_bfe_i32 v28, v27, 0, 8
	v_sub_nc_u32_e32 v2, v1, v2
	v_mul_lo_u32 v26, s33, v26
	s_delay_alu instid0(VALU_DEP_3) | instskip(NEXT) | instid1(VALU_DEP_3)
	v_lshrrev_b16 v28, 11, v28
	v_lshlrev_b32_e32 v2, 2, v2
	s_delay_alu instid0(VALU_DEP_2) | instskip(NEXT) | instid1(VALU_DEP_1)
	v_and_b32_e32 v28, 15, v28
	v_add_nc_u16 v27, v27, v28
	s_delay_alu instid0(VALU_DEP_1) | instskip(NEXT) | instid1(VALU_DEP_1)
	v_bfe_i32 v27, v27, 0, 8
	v_ashrrev_i16 v27, 4, v27
	s_delay_alu instid0(VALU_DEP_1) | instskip(NEXT) | instid1(VALU_DEP_1)
	v_bfe_i32 v27, v27, 0, 16
	v_add3_u32 v2, v2, v26, v27
	s_and_saveexec_b32 s38, vcc_lo
	s_cbranch_execnz .LBB241_30
; %bb.7:                                ;   in Loop: Header=BB241_3 Depth=1
	s_or_b32 exec_lo, exec_lo, s38
	s_and_saveexec_b32 s38, s0
	s_cbranch_execnz .LBB241_31
.LBB241_8:                              ;   in Loop: Header=BB241_3 Depth=1
	s_or_b32 exec_lo, exec_lo, s38
	s_and_saveexec_b32 s38, s1
	s_cbranch_execnz .LBB241_32
.LBB241_9:                              ;   in Loop: Header=BB241_3 Depth=1
	s_or_b32 exec_lo, exec_lo, s38
	s_and_saveexec_b32 s38, s2
	s_cbranch_execnz .LBB241_33
.LBB241_10:                             ;   in Loop: Header=BB241_3 Depth=1
	s_or_b32 exec_lo, exec_lo, s38
	s_and_saveexec_b32 s38, s3
	s_cbranch_execnz .LBB241_34
.LBB241_11:                             ;   in Loop: Header=BB241_3 Depth=1
	s_or_b32 exec_lo, exec_lo, s38
	s_and_saveexec_b32 s38, s4
	s_cbranch_execnz .LBB241_35
.LBB241_12:                             ;   in Loop: Header=BB241_3 Depth=1
	s_or_b32 exec_lo, exec_lo, s38
	s_and_saveexec_b32 s38, s5
	s_cbranch_execnz .LBB241_36
.LBB241_13:                             ;   in Loop: Header=BB241_3 Depth=1
	s_or_b32 exec_lo, exec_lo, s38
	s_and_saveexec_b32 s38, s6
	s_cbranch_execnz .LBB241_37
.LBB241_14:                             ;   in Loop: Header=BB241_3 Depth=1
	s_or_b32 exec_lo, exec_lo, s38
	s_and_saveexec_b32 s38, s7
	s_cbranch_execnz .LBB241_38
.LBB241_15:                             ;   in Loop: Header=BB241_3 Depth=1
	s_or_b32 exec_lo, exec_lo, s38
	s_and_saveexec_b32 s38, s8
	s_cbranch_execnz .LBB241_39
.LBB241_16:                             ;   in Loop: Header=BB241_3 Depth=1
	s_or_b32 exec_lo, exec_lo, s38
	s_and_saveexec_b32 s38, s9
	s_cbranch_execnz .LBB241_40
.LBB241_17:                             ;   in Loop: Header=BB241_3 Depth=1
	s_or_b32 exec_lo, exec_lo, s38
	s_and_saveexec_b32 s38, s10
	s_cbranch_execnz .LBB241_41
.LBB241_18:                             ;   in Loop: Header=BB241_3 Depth=1
	s_or_b32 exec_lo, exec_lo, s38
	s_and_saveexec_b32 s38, s11
	s_cbranch_execnz .LBB241_42
.LBB241_19:                             ;   in Loop: Header=BB241_3 Depth=1
	s_or_b32 exec_lo, exec_lo, s38
	s_and_saveexec_b32 s38, s12
	s_cbranch_execnz .LBB241_43
.LBB241_20:                             ;   in Loop: Header=BB241_3 Depth=1
	s_or_b32 exec_lo, exec_lo, s38
	s_and_saveexec_b32 s38, s13
	s_cbranch_execnz .LBB241_44
.LBB241_21:                             ;   in Loop: Header=BB241_3 Depth=1
	s_or_b32 exec_lo, exec_lo, s38
	s_and_saveexec_b32 s38, s14
	s_cbranch_execnz .LBB241_45
.LBB241_22:                             ;   in Loop: Header=BB241_3 Depth=1
	s_or_b32 exec_lo, exec_lo, s38
	s_and_saveexec_b32 s38, s16
	s_cbranch_execnz .LBB241_46
.LBB241_23:                             ;   in Loop: Header=BB241_3 Depth=1
	s_or_b32 exec_lo, exec_lo, s38
	s_and_saveexec_b32 s38, s17
	s_cbranch_execnz .LBB241_47
.LBB241_24:                             ;   in Loop: Header=BB241_3 Depth=1
	s_or_b32 exec_lo, exec_lo, s38
	s_and_saveexec_b32 s38, s18
	s_cbranch_execnz .LBB241_48
.LBB241_25:                             ;   in Loop: Header=BB241_3 Depth=1
	s_or_b32 exec_lo, exec_lo, s38
	s_and_saveexec_b32 s38, s19
	s_cbranch_execnz .LBB241_49
.LBB241_26:                             ;   in Loop: Header=BB241_3 Depth=1
	s_or_b32 exec_lo, exec_lo, s38
	s_and_saveexec_b32 s38, s20
	s_cbranch_execnz .LBB241_50
.LBB241_27:                             ;   in Loop: Header=BB241_3 Depth=1
	s_or_b32 exec_lo, exec_lo, s38
	s_and_saveexec_b32 s38, s21
	s_cbranch_execnz .LBB241_51
.LBB241_28:                             ;   in Loop: Header=BB241_3 Depth=1
	s_or_b32 exec_lo, exec_lo, s38
	s_and_saveexec_b32 s38, s22
	s_cbranch_execnz .LBB241_52
.LBB241_29:                             ;   in Loop: Header=BB241_3 Depth=1
	s_or_b32 exec_lo, exec_lo, s38
	s_delay_alu instid0(SALU_CYCLE_1)
	s_and_b32 exec_lo, exec_lo, s23
	s_cbranch_execz .LBB241_2
	s_branch .LBB241_53
.LBB241_30:                             ;   in Loop: Header=BB241_3 Depth=1
	s_delay_alu instid0(VALU_DEP_1) | instskip(NEXT) | instid1(VALU_DEP_1)
	v_add_nc_u32_e32 v26, v2, v9
	v_ashrrev_i32_e32 v27, 31, v26
	v_add_co_u32 v26, s25, s36, v26
	s_delay_alu instid0(VALU_DEP_1)
	v_add_co_ci_u32_e64 v27, s25, s37, v27, s25
	s_waitcnt vmcnt(2)
	global_store_b8 v[26:27], v7, off
	s_or_b32 exec_lo, exec_lo, s38
	s_and_saveexec_b32 s38, s0
	s_cbranch_execz .LBB241_8
.LBB241_31:                             ;   in Loop: Header=BB241_3 Depth=1
	v_add3_u32 v26, v2, v9, 64
	s_waitcnt vmcnt(2)
	v_lshrrev_b32_e32 v28, 8, v7
	s_delay_alu instid0(VALU_DEP_2) | instskip(SKIP_1) | instid1(VALU_DEP_1)
	v_ashrrev_i32_e32 v27, 31, v26
	v_add_co_u32 v26, s25, s36, v26
	v_add_co_ci_u32_e64 v27, s25, s37, v27, s25
	global_store_b8 v[26:27], v28, off
	s_or_b32 exec_lo, exec_lo, s38
	s_and_saveexec_b32 s38, s1
	s_cbranch_execz .LBB241_9
.LBB241_32:                             ;   in Loop: Header=BB241_3 Depth=1
	v_add3_u32 v26, v2, v9, 0x80
	s_delay_alu instid0(VALU_DEP_1) | instskip(SKIP_1) | instid1(VALU_DEP_1)
	v_ashrrev_i32_e32 v27, 31, v26
	v_add_co_u32 v26, s25, s36, v26
	v_add_co_ci_u32_e64 v27, s25, s37, v27, s25
	s_waitcnt vmcnt(2)
	global_store_d16_hi_b8 v[26:27], v7, off
	s_or_b32 exec_lo, exec_lo, s38
	s_and_saveexec_b32 s38, s2
	s_cbranch_execz .LBB241_10
.LBB241_33:                             ;   in Loop: Header=BB241_3 Depth=1
	v_add3_u32 v26, v2, v9, 0xc0
	s_waitcnt vmcnt(2)
	v_lshrrev_b32_e32 v7, 24, v7
	s_delay_alu instid0(VALU_DEP_2) | instskip(SKIP_1) | instid1(VALU_DEP_1)
	v_ashrrev_i32_e32 v27, 31, v26
	v_add_co_u32 v26, s25, s36, v26
	v_add_co_ci_u32_e64 v27, s25, s37, v27, s25
	global_store_b8 v[26:27], v7, off
	s_or_b32 exec_lo, exec_lo, s38
	s_and_saveexec_b32 s38, s3
	s_cbranch_execz .LBB241_11
.LBB241_34:                             ;   in Loop: Header=BB241_3 Depth=1
	s_waitcnt vmcnt(2)
	v_add3_u32 v7, v2, v9, 2
	s_delay_alu instid0(VALU_DEP_1) | instskip(SKIP_1) | instid1(VALU_DEP_1)
	v_ashrrev_i32_e32 v27, 31, v7
	v_add_co_u32 v26, s25, s36, v7
	v_add_co_ci_u32_e64 v27, s25, s37, v27, s25
	global_store_b8 v[26:27], v8, off
	s_or_b32 exec_lo, exec_lo, s38
	s_and_saveexec_b32 s38, s4
	s_cbranch_execz .LBB241_12
.LBB241_35:                             ;   in Loop: Header=BB241_3 Depth=1
	s_waitcnt vmcnt(2)
	v_add3_u32 v7, v2, v9, 0x42
	v_lshrrev_b32_e32 v28, 8, v8
	s_delay_alu instid0(VALU_DEP_2) | instskip(SKIP_1) | instid1(VALU_DEP_1)
	v_ashrrev_i32_e32 v27, 31, v7
	v_add_co_u32 v26, s25, s36, v7
	v_add_co_ci_u32_e64 v27, s25, s37, v27, s25
	global_store_b8 v[26:27], v28, off
	s_or_b32 exec_lo, exec_lo, s38
	s_and_saveexec_b32 s38, s5
	s_cbranch_execz .LBB241_13
.LBB241_36:                             ;   in Loop: Header=BB241_3 Depth=1
	s_waitcnt vmcnt(2)
	v_add3_u32 v7, v2, v9, 0x82
	s_delay_alu instid0(VALU_DEP_1) | instskip(SKIP_1) | instid1(VALU_DEP_1)
	v_ashrrev_i32_e32 v27, 31, v7
	v_add_co_u32 v26, s25, s36, v7
	v_add_co_ci_u32_e64 v27, s25, s37, v27, s25
	global_store_d16_hi_b8 v[26:27], v8, off
	s_or_b32 exec_lo, exec_lo, s38
	s_and_saveexec_b32 s38, s6
	s_cbranch_execz .LBB241_14
.LBB241_37:                             ;   in Loop: Header=BB241_3 Depth=1
	s_waitcnt vmcnt(2)
	v_add3_u32 v7, v2, v9, 0xc2
	v_lshrrev_b32_e32 v27, 24, v8
	s_delay_alu instid0(VALU_DEP_2) | instskip(SKIP_1) | instid1(VALU_DEP_1)
	v_ashrrev_i32_e32 v26, 31, v7
	v_add_co_u32 v7, s25, s36, v7
	v_add_co_ci_u32_e64 v8, s25, s37, v26, s25
	global_store_b8 v[7:8], v27, off
	s_or_b32 exec_lo, exec_lo, s38
	s_and_saveexec_b32 s38, s7
	s_cbranch_execz .LBB241_15
.LBB241_38:                             ;   in Loop: Header=BB241_3 Depth=1
	s_waitcnt vmcnt(2)
	v_add_nc_u32_e32 v7, v2, v10
	s_delay_alu instid0(VALU_DEP_1) | instskip(SKIP_1) | instid1(VALU_DEP_1)
	v_ashrrev_i32_e32 v8, 31, v7
	v_add_co_u32 v7, s25, s36, v7
	v_add_co_ci_u32_e64 v8, s25, s37, v8, s25
	s_waitcnt vmcnt(1)
	global_store_b8 v[7:8], v5, off
	s_or_b32 exec_lo, exec_lo, s38
	s_and_saveexec_b32 s38, s8
	s_cbranch_execz .LBB241_16
.LBB241_39:                             ;   in Loop: Header=BB241_3 Depth=1
	s_waitcnt vmcnt(2)
	v_add3_u32 v7, v2, v11, 64
	s_waitcnt vmcnt(1)
	v_lshrrev_b32_e32 v26, 8, v5
	s_delay_alu instid0(VALU_DEP_2) | instskip(SKIP_1) | instid1(VALU_DEP_1)
	v_ashrrev_i32_e32 v8, 31, v7
	v_add_co_u32 v7, s25, s36, v7
	v_add_co_ci_u32_e64 v8, s25, s37, v8, s25
	global_store_b8 v[7:8], v26, off
	s_or_b32 exec_lo, exec_lo, s38
	s_and_saveexec_b32 s38, s9
	s_cbranch_execz .LBB241_17
.LBB241_40:                             ;   in Loop: Header=BB241_3 Depth=1
	s_waitcnt vmcnt(2)
	v_add3_u32 v7, v2, v12, 0x80
	s_delay_alu instid0(VALU_DEP_1) | instskip(SKIP_1) | instid1(VALU_DEP_1)
	v_ashrrev_i32_e32 v8, 31, v7
	v_add_co_u32 v7, s25, s36, v7
	v_add_co_ci_u32_e64 v8, s25, s37, v8, s25
	s_waitcnt vmcnt(1)
	global_store_d16_hi_b8 v[7:8], v5, off
	s_or_b32 exec_lo, exec_lo, s38
	s_and_saveexec_b32 s38, s10
	s_cbranch_execz .LBB241_18
.LBB241_41:                             ;   in Loop: Header=BB241_3 Depth=1
	s_waitcnt vmcnt(2)
	v_add3_u32 v7, v2, v13, 0xc0
	s_waitcnt vmcnt(1)
	v_lshrrev_b32_e32 v5, 24, v5
	s_delay_alu instid0(VALU_DEP_2) | instskip(SKIP_1) | instid1(VALU_DEP_1)
	v_ashrrev_i32_e32 v8, 31, v7
	v_add_co_u32 v7, s25, s36, v7
	v_add_co_ci_u32_e64 v8, s25, s37, v8, s25
	global_store_b8 v[7:8], v5, off
	s_or_b32 exec_lo, exec_lo, s38
	s_and_saveexec_b32 s38, s11
	s_cbranch_execz .LBB241_19
.LBB241_42:                             ;   in Loop: Header=BB241_3 Depth=1
	s_waitcnt vmcnt(1)
	v_add3_u32 v5, v2, v14, 2
	s_delay_alu instid0(VALU_DEP_1) | instskip(SKIP_1) | instid1(VALU_DEP_1)
	v_ashrrev_i32_e32 v8, 31, v5
	v_add_co_u32 v7, s25, s36, v5
	v_add_co_ci_u32_e64 v8, s25, s37, v8, s25
	global_store_b8 v[7:8], v6, off
	s_or_b32 exec_lo, exec_lo, s38
	s_and_saveexec_b32 s38, s12
	s_cbranch_execz .LBB241_20
.LBB241_43:                             ;   in Loop: Header=BB241_3 Depth=1
	s_waitcnt vmcnt(1)
	v_add3_u32 v5, v2, v15, 0x42
	v_lshrrev_b32_e32 v26, 8, v6
	s_delay_alu instid0(VALU_DEP_2) | instskip(SKIP_1) | instid1(VALU_DEP_1)
	v_ashrrev_i32_e32 v8, 31, v5
	v_add_co_u32 v7, s25, s36, v5
	v_add_co_ci_u32_e64 v8, s25, s37, v8, s25
	global_store_b8 v[7:8], v26, off
	s_or_b32 exec_lo, exec_lo, s38
	s_and_saveexec_b32 s38, s13
	s_cbranch_execz .LBB241_21
.LBB241_44:                             ;   in Loop: Header=BB241_3 Depth=1
	s_waitcnt vmcnt(1)
	v_add3_u32 v5, v2, v16, 0x82
	s_delay_alu instid0(VALU_DEP_1) | instskip(SKIP_1) | instid1(VALU_DEP_1)
	v_ashrrev_i32_e32 v8, 31, v5
	v_add_co_u32 v7, s25, s36, v5
	v_add_co_ci_u32_e64 v8, s25, s37, v8, s25
	global_store_d16_hi_b8 v[7:8], v6, off
	s_or_b32 exec_lo, exec_lo, s38
	s_and_saveexec_b32 s38, s14
	s_cbranch_execz .LBB241_22
.LBB241_45:                             ;   in Loop: Header=BB241_3 Depth=1
	s_waitcnt vmcnt(1)
	v_add3_u32 v5, v2, v17, 0xc2
	v_lshrrev_b32_e32 v8, 24, v6
	s_delay_alu instid0(VALU_DEP_2) | instskip(SKIP_1) | instid1(VALU_DEP_1)
	v_ashrrev_i32_e32 v7, 31, v5
	v_add_co_u32 v5, s25, s36, v5
	v_add_co_ci_u32_e64 v6, s25, s37, v7, s25
	global_store_b8 v[5:6], v8, off
	s_or_b32 exec_lo, exec_lo, s38
	s_and_saveexec_b32 s38, s16
	s_cbranch_execz .LBB241_23
.LBB241_46:                             ;   in Loop: Header=BB241_3 Depth=1
	s_waitcnt vmcnt(1)
	v_add_nc_u32_e32 v5, v2, v18
	s_delay_alu instid0(VALU_DEP_1) | instskip(SKIP_1) | instid1(VALU_DEP_1)
	v_ashrrev_i32_e32 v6, 31, v5
	v_add_co_u32 v5, s25, s36, v5
	v_add_co_ci_u32_e64 v6, s25, s37, v6, s25
	s_waitcnt vmcnt(0)
	global_store_b8 v[5:6], v3, off
	s_or_b32 exec_lo, exec_lo, s38
	s_and_saveexec_b32 s38, s17
	s_cbranch_execz .LBB241_24
.LBB241_47:                             ;   in Loop: Header=BB241_3 Depth=1
	s_waitcnt vmcnt(1)
	v_add3_u32 v5, v2, v19, 64
	s_waitcnt vmcnt(0)
	v_lshrrev_b32_e32 v7, 8, v3
	s_delay_alu instid0(VALU_DEP_2) | instskip(SKIP_1) | instid1(VALU_DEP_1)
	v_ashrrev_i32_e32 v6, 31, v5
	v_add_co_u32 v5, s25, s36, v5
	v_add_co_ci_u32_e64 v6, s25, s37, v6, s25
	global_store_b8 v[5:6], v7, off
	s_or_b32 exec_lo, exec_lo, s38
	s_and_saveexec_b32 s38, s18
	s_cbranch_execz .LBB241_25
.LBB241_48:                             ;   in Loop: Header=BB241_3 Depth=1
	s_waitcnt vmcnt(1)
	v_add3_u32 v5, v2, v20, 0x80
	s_delay_alu instid0(VALU_DEP_1) | instskip(SKIP_1) | instid1(VALU_DEP_1)
	v_ashrrev_i32_e32 v6, 31, v5
	v_add_co_u32 v5, s25, s36, v5
	v_add_co_ci_u32_e64 v6, s25, s37, v6, s25
	s_waitcnt vmcnt(0)
	global_store_d16_hi_b8 v[5:6], v3, off
	s_or_b32 exec_lo, exec_lo, s38
	s_and_saveexec_b32 s38, s19
	s_cbranch_execz .LBB241_26
.LBB241_49:                             ;   in Loop: Header=BB241_3 Depth=1
	s_waitcnt vmcnt(1)
	v_add3_u32 v5, v2, v21, 0xc0
	s_waitcnt vmcnt(0)
	v_lshrrev_b32_e32 v3, 24, v3
	s_delay_alu instid0(VALU_DEP_2) | instskip(SKIP_1) | instid1(VALU_DEP_1)
	v_ashrrev_i32_e32 v6, 31, v5
	v_add_co_u32 v5, s25, s36, v5
	v_add_co_ci_u32_e64 v6, s25, s37, v6, s25
	global_store_b8 v[5:6], v3, off
	s_or_b32 exec_lo, exec_lo, s38
	s_and_saveexec_b32 s38, s20
	s_cbranch_execz .LBB241_27
.LBB241_50:                             ;   in Loop: Header=BB241_3 Depth=1
	s_waitcnt vmcnt(0)
	v_add3_u32 v3, v2, v22, 2
	s_delay_alu instid0(VALU_DEP_1) | instskip(SKIP_1) | instid1(VALU_DEP_1)
	v_ashrrev_i32_e32 v6, 31, v3
	v_add_co_u32 v5, s25, s36, v3
	v_add_co_ci_u32_e64 v6, s25, s37, v6, s25
	global_store_b8 v[5:6], v4, off
	s_or_b32 exec_lo, exec_lo, s38
	s_and_saveexec_b32 s38, s21
	s_cbranch_execz .LBB241_28
.LBB241_51:                             ;   in Loop: Header=BB241_3 Depth=1
	s_waitcnt vmcnt(0)
	v_add3_u32 v3, v2, v23, 0x42
	v_lshrrev_b32_e32 v7, 8, v4
	s_delay_alu instid0(VALU_DEP_2) | instskip(SKIP_1) | instid1(VALU_DEP_1)
	v_ashrrev_i32_e32 v6, 31, v3
	v_add_co_u32 v5, s25, s36, v3
	v_add_co_ci_u32_e64 v6, s25, s37, v6, s25
	global_store_b8 v[5:6], v7, off
	s_or_b32 exec_lo, exec_lo, s38
	s_and_saveexec_b32 s38, s22
	s_cbranch_execz .LBB241_29
.LBB241_52:                             ;   in Loop: Header=BB241_3 Depth=1
	s_waitcnt vmcnt(0)
	v_add3_u32 v3, v2, v24, 0x82
	s_delay_alu instid0(VALU_DEP_1) | instskip(SKIP_1) | instid1(VALU_DEP_1)
	v_ashrrev_i32_e32 v6, 31, v3
	v_add_co_u32 v5, s25, s36, v3
	v_add_co_ci_u32_e64 v6, s25, s37, v6, s25
	global_store_d16_hi_b8 v[5:6], v4, off
	s_or_b32 exec_lo, exec_lo, s38
	s_delay_alu instid0(SALU_CYCLE_1)
	s_and_b32 exec_lo, exec_lo, s23
	s_cbranch_execz .LBB241_2
.LBB241_53:                             ;   in Loop: Header=BB241_3 Depth=1
	v_add3_u32 v2, v2, v25, 0xc2
	s_waitcnt vmcnt(0)
	v_lshrrev_b32_e32 v4, 24, v4
	s_delay_alu instid0(VALU_DEP_2) | instskip(SKIP_1) | instid1(VALU_DEP_1)
	v_ashrrev_i32_e32 v3, 31, v2
	v_add_co_u32 v2, s25, s36, v2
	v_add_co_ci_u32_e64 v3, s25, s37, v3, s25
	global_store_b8 v[2:3], v4, off
	s_branch .LBB241_2
.LBB241_54:
	s_nop 0
	s_sendmsg sendmsg(MSG_DEALLOC_VGPRS)
	s_endpgm
	.section	.rodata,"a",@progbits
	.p2align	6, 0x0
	.amdhsa_kernel _ZN5aiter21mxfp4_moe_sort_kernelILi256ELi32ELi24ELi32EEEvPhS1_PKiS3_iiiii
		.amdhsa_group_segment_fixed_size 0
		.amdhsa_private_segment_fixed_size 0
		.amdhsa_kernarg_size 52
		.amdhsa_user_sgpr_count 15
		.amdhsa_user_sgpr_dispatch_ptr 0
		.amdhsa_user_sgpr_queue_ptr 0
		.amdhsa_user_sgpr_kernarg_segment_ptr 1
		.amdhsa_user_sgpr_dispatch_id 0
		.amdhsa_user_sgpr_private_segment_size 0
		.amdhsa_wavefront_size32 1
		.amdhsa_uses_dynamic_stack 0
		.amdhsa_enable_private_segment 0
		.amdhsa_system_sgpr_workgroup_id_x 1
		.amdhsa_system_sgpr_workgroup_id_y 0
		.amdhsa_system_sgpr_workgroup_id_z 0
		.amdhsa_system_sgpr_workgroup_info 0
		.amdhsa_system_vgpr_workitem_id 0
		.amdhsa_next_free_vgpr 29
		.amdhsa_next_free_sgpr 48
		.amdhsa_reserve_vcc 1
		.amdhsa_float_round_mode_32 0
		.amdhsa_float_round_mode_16_64 0
		.amdhsa_float_denorm_mode_32 3
		.amdhsa_float_denorm_mode_16_64 3
		.amdhsa_dx10_clamp 1
		.amdhsa_ieee_mode 1
		.amdhsa_fp16_overflow 0
		.amdhsa_workgroup_processor_mode 1
		.amdhsa_memory_ordered 1
		.amdhsa_forward_progress 0
		.amdhsa_shared_vgpr_count 0
		.amdhsa_exception_fp_ieee_invalid_op 0
		.amdhsa_exception_fp_denorm_src 0
		.amdhsa_exception_fp_ieee_div_zero 0
		.amdhsa_exception_fp_ieee_overflow 0
		.amdhsa_exception_fp_ieee_underflow 0
		.amdhsa_exception_fp_ieee_inexact 0
		.amdhsa_exception_int_div_zero 0
	.end_amdhsa_kernel
	.section	.text._ZN5aiter21mxfp4_moe_sort_kernelILi256ELi32ELi24ELi32EEEvPhS1_PKiS3_iiiii,"axG",@progbits,_ZN5aiter21mxfp4_moe_sort_kernelILi256ELi32ELi24ELi32EEEvPhS1_PKiS3_iiiii,comdat
.Lfunc_end241:
	.size	_ZN5aiter21mxfp4_moe_sort_kernelILi256ELi32ELi24ELi32EEEvPhS1_PKiS3_iiiii, .Lfunc_end241-_ZN5aiter21mxfp4_moe_sort_kernelILi256ELi32ELi24ELi32EEEvPhS1_PKiS3_iiiii
                                        ; -- End function
	.section	.AMDGPU.csdata,"",@progbits
; Kernel info:
; codeLenInByte = 2820
; NumSgprs: 50
; NumVgprs: 29
; ScratchSize: 0
; MemoryBound: 0
; FloatMode: 240
; IeeeMode: 1
; LDSByteSize: 0 bytes/workgroup (compile time only)
; SGPRBlocks: 6
; VGPRBlocks: 3
; NumSGPRsForWavesPerEU: 50
; NumVGPRsForWavesPerEU: 29
; Occupancy: 16
; WaveLimiterHint : 0
; COMPUTE_PGM_RSRC2:SCRATCH_EN: 0
; COMPUTE_PGM_RSRC2:USER_SGPR: 15
; COMPUTE_PGM_RSRC2:TRAP_HANDLER: 0
; COMPUTE_PGM_RSRC2:TGID_X_EN: 1
; COMPUTE_PGM_RSRC2:TGID_Y_EN: 0
; COMPUTE_PGM_RSRC2:TGID_Z_EN: 0
; COMPUTE_PGM_RSRC2:TIDIG_COMP_CNT: 0
	.section	.text._ZN5aiter21mxfp4_moe_sort_kernelILi256ELi32ELi32ELi32EEEvPhS1_PKiS3_iiiii,"axG",@progbits,_ZN5aiter21mxfp4_moe_sort_kernelILi256ELi32ELi32ELi32EEEvPhS1_PKiS3_iiiii,comdat
	.protected	_ZN5aiter21mxfp4_moe_sort_kernelILi256ELi32ELi32ELi32EEEvPhS1_PKiS3_iiiii ; -- Begin function _ZN5aiter21mxfp4_moe_sort_kernelILi256ELi32ELi32ELi32EEEvPhS1_PKiS3_iiiii
	.globl	_ZN5aiter21mxfp4_moe_sort_kernelILi256ELi32ELi32ELi32EEEvPhS1_PKiS3_iiiii
	.p2align	8
	.type	_ZN5aiter21mxfp4_moe_sort_kernelILi256ELi32ELi32ELi32EEEvPhS1_PKiS3_iiiii,@function
_ZN5aiter21mxfp4_moe_sort_kernelILi256ELi32ELi32ELi32EEEvPhS1_PKiS3_iiiii: ; @_ZN5aiter21mxfp4_moe_sort_kernelILi256ELi32ELi32ELi32EEEvPhS1_PKiS3_iiiii
; %bb.0:
	s_load_b128 s[44:47], s[0:1], 0x20
	s_waitcnt lgkmcnt(0)
	s_cmp_ge_i32 s15, s46
	s_cbranch_scc1 .LBB242_70
; %bb.1:
	v_lshlrev_b32_e32 v2, 5, v0
	s_clause 0x1
	s_load_b256 s[36:43], s[0:1], 0x0
	s_load_b32 s52, s[0:1], 0x30
	s_add_i32 s0, s45, 31
	v_lshrrev_b32_e32 v1, 3, v0
	s_ashr_i32 s1, s0, 31
	v_lshlrev_b32_e32 v0, 10, v0
	v_and_b32_e32 v8, 0xe0, v2
	s_lshr_b32 s1, s1, 27
	v_lshl_add_u32 v9, s15, 5, v1
	s_add_i32 s0, s0, s1
	v_and_b32_e32 v11, 0x1c00, v0
	s_ashr_i32 s45, s0, 5
	v_or_b32_e32 v0, 4, v8
	s_add_i32 s0, s45, 7
	v_or_b32_e32 v2, 1, v8
	s_lshr_b32 s1, s0, 29
	v_or_b32_e32 v4, 3, v8
	v_cmp_gt_i32_e64 s3, s45, v0
	v_or_b32_e32 v0, 6, v8
	s_add_i32 s0, s0, s1
	v_or_b32_e32 v3, 2, v8
	s_lshl_b32 s0, s0, 5
	v_cmp_gt_i32_e64 s2, s45, v4
	s_and_b32 s53, s0, 0xffffff00
	v_cmp_gt_i32_e64 s0, s45, v2
	v_or_b32_e32 v2, 5, v8
	v_or_b32_e32 v4, 8, v8
	v_cmp_gt_i32_e64 s5, s45, v0
	v_or_b32_e32 v0, 10, v8
	s_mul_i32 s1, s45, s44
	v_cmp_gt_i32_e64 s4, s45, v2
	s_waitcnt lgkmcnt(0)
	s_mul_i32 s50, s1, s52
	v_cmp_gt_i32_e64 s1, s45, v3
	v_or_b32_e32 v3, 7, v8
	v_or_b32_e32 v2, 9, v8
	v_cmp_gt_i32_e64 s7, s45, v4
	v_lshlrev_b32_e32 v12, 5, v4
	v_lshlrev_b32_e32 v4, 5, v0
	v_cmp_gt_i32_e64 s9, s45, v0
	v_or_b32_e32 v0, 12, v8
	v_cmp_gt_i32_e64 s6, s45, v3
	v_lshlrev_b32_e32 v3, 5, v2
	v_cmp_gt_i32_e64 s8, s45, v2
	v_or_b32_e32 v2, 11, v8
	v_and_b32_e32 v14, 0x1d00, v4
	v_lshlrev_b32_e32 v4, 5, v0
	v_and_b32_e32 v13, 0x1d00, v3
	v_cmp_gt_i32_e64 s11, s45, v0
	v_lshlrev_b32_e32 v3, 5, v2
	v_cmp_gt_i32_e64 s10, s45, v2
	v_or_b32_e32 v2, 13, v8
	v_or_b32_e32 v0, 14, v8
	v_and_b32_e32 v16, 0x1d00, v4
	v_or_b32_e32 v4, 15, v8
	v_and_b32_e32 v15, 0x1d00, v3
	v_lshlrev_b32_e32 v3, 5, v2
	v_cmp_gt_i32_e64 s12, s45, v2
	v_lshlrev_b32_e32 v2, 5, v0
	v_cmp_gt_i32_e64 s13, s45, v0
	v_lshlrev_b32_e32 v0, 5, v4
	v_and_b32_e32 v17, 0x1d00, v3
	v_or_b32_e32 v3, 16, v8
	v_and_b32_e32 v18, 0x1d00, v2
	v_or_b32_e32 v2, 17, v8
	;; [unrolled: 2-line block ×3, first 2 shown]
	v_cmp_gt_i32_e64 s14, s45, v4
	v_cmp_gt_i32_e64 s16, s45, v3
	v_lshlrev_b32_e32 v4, 5, v2
	v_lshlrev_b32_e32 v20, 5, v3
	v_cmp_gt_i32_e64 s17, s45, v2
	v_or_b32_e32 v2, 19, v8
	v_lshlrev_b32_e32 v3, 5, v0
	v_cmp_gt_i32_e64 s18, s45, v0
	v_or_b32_e32 v0, 20, v8
	v_and_b32_e32 v21, 0x1e00, v4
	v_lshlrev_b32_e32 v4, 5, v2
	v_and_b32_e32 v22, 0x1e00, v3
	v_cmp_gt_i32_e64 s19, s45, v2
	v_or_b32_e32 v2, 21, v8
	v_lshlrev_b32_e32 v3, 5, v0
	v_cmp_gt_i32_e64 s20, s45, v0
	v_or_b32_e32 v0, 22, v8
	v_and_b32_e32 v23, 0x1e00, v4
	v_lshlrev_b32_e32 v4, 5, v2
	v_and_b32_e32 v24, 0x1e00, v3
	v_or_b32_e32 v3, 23, v8
	v_cmp_gt_i32_e64 s21, s45, v2
	v_lshlrev_b32_e32 v2, 5, v0
	v_cmp_gt_i32_e64 s22, s45, v0
	v_or_b32_e32 v5, 27, v8
	v_lshlrev_b32_e32 v0, 5, v3
	v_cmp_gt_i32_e64 s23, s45, v3
	v_and_b32_e32 v26, 0x1e00, v2
	v_or_b32_e32 v2, 25, v8
	s_load_b32 s42, s[42:43], 0x0
	v_and_b32_e32 v27, 0x1e00, v0
	v_or_b32_e32 v0, 26, v8
	v_and_b32_e32 v25, 0x1e00, v4
	v_lshlrev_b32_e32 v3, 5, v2
	v_or_b32_e32 v4, 24, v8
	v_cmp_gt_i32_e64 s25, s45, v2
	v_lshlrev_b32_e32 v2, 5, v0
	v_cmp_gt_i32_e64 s26, s45, v0
	v_and_b32_e32 v29, 0x1f00, v3
	v_lshlrev_b32_e32 v3, 5, v5
	v_or_b32_e32 v0, 28, v8
	v_cmp_gt_i32_e64 s24, s45, v4
	v_lshlrev_b32_e32 v28, 5, v4
	v_and_b32_e32 v30, 0x1f00, v2
	v_and_b32_e32 v31, 0x1f00, v3
	v_or_b32_e32 v2, 29, v8
	v_lshlrev_b32_e32 v3, 5, v0
	v_or_b32_e32 v4, 30, v8
	v_cmp_gt_i32_e64 s28, s45, v0
	v_or_b32_e32 v0, 31, v8
	v_cmp_gt_i32_e64 s27, s45, v5
	v_lshlrev_b32_e32 v5, 5, v2
	v_and_b32_e32 v32, 0x1f00, v3
	v_lshlrev_b32_e32 v3, 5, v4
	v_cmp_gt_i32_e64 s29, s45, v2
	v_lshlrev_b32_e32 v2, 5, v0
	s_and_b32 s39, s39, 0xffff
	v_cmp_gt_i32_e32 vcc_lo, s45, v8
	v_and_b32_e32 v33, 0x1f00, v5
	v_cmp_gt_i32_e64 s30, s45, v4
	v_and_b32_e32 v34, 0x1f00, v3
	v_cmp_gt_i32_e64 s31, s45, v0
	v_and_b32_e32 v35, 0x1f00, v2
	s_cmp_eq_u32 s52, 1
	s_mov_b32 s51, -1
	s_mov_b64 s[48:49], s[38:39]
	s_cselect_b32 s33, -1, 0
	s_lshl_b32 s38, s47, 5
	s_branch .LBB242_3
.LBB242_2:                              ;   in Loop: Header=BB242_3 Depth=1
	s_or_b32 exec_lo, exec_lo, s35
	v_add_nc_u32_e32 v9, s38, v9
	s_add_i32 s15, s15, s47
	s_delay_alu instid0(SALU_CYCLE_1)
	s_cmp_lt_i32 s15, s46
	s_cbranch_scc0 .LBB242_70
.LBB242_3:                              ; =>This Inner Loop Header: Depth=1
	s_waitcnt vmcnt(0)
	v_mov_b32_e32 v1, s44
	v_ashrrev_i32_e32 v10, 31, v9
	s_mov_b32 s35, exec_lo
	s_waitcnt lgkmcnt(0)
	v_cmpx_gt_i32_e64 s42, v9
	s_cbranch_execz .LBB242_5
; %bb.4:                                ;   in Loop: Header=BB242_3 Depth=1
	v_lshlrev_b64 v[0:1], 2, v[9:10]
	s_delay_alu instid0(VALU_DEP_1) | instskip(NEXT) | instid1(VALU_DEP_1)
	v_add_co_u32 v0, s34, s40, v0
	v_add_co_ci_u32_e64 v1, s34, s41, v1, s34
	global_load_b32 v1, v[0:1], off
.LBB242_5:                              ;   in Loop: Header=BB242_3 Depth=1
	s_or_b32 exec_lo, exec_lo, s35
	s_waitcnt vmcnt(0)
	v_ashrrev_i32_e32 v0, 24, v1
	v_and_b32_e32 v1, 0xffffff, v1
	s_delay_alu instid0(VALU_DEP_2) | instskip(NEXT) | instid1(VALU_DEP_2)
	v_cmp_gt_i32_e64 s34, s52, v0
	v_cmp_gt_i32_e64 s35, s44, v1
	s_delay_alu instid0(VALU_DEP_2)
	s_or_b32 s34, s33, s34
	s_delay_alu instid0(VALU_DEP_1) | instid1(SALU_CYCLE_1)
	s_and_b32 s34, s35, s34
	s_delay_alu instid0(SALU_CYCLE_1)
	s_and_saveexec_b32 s35, s34
	s_cbranch_execz .LBB242_2
; %bb.6:                                ;   in Loop: Header=BB242_3 Depth=1
	v_mad_u64_u32 v[2:3], null, v1, s52, v[0:1]
	v_lshrrev_b32_e32 v36, 27, v10
	v_lshrrev_b32_e32 v10, 28, v10
	s_delay_alu instid0(VALU_DEP_2) | instskip(NEXT) | instid1(VALU_DEP_4)
	v_add_nc_u32_e32 v36, v9, v36
	v_cndmask_b32_e64 v2, v2, v1, s33
	s_delay_alu instid0(VALU_DEP_3) | instskip(NEXT) | instid1(VALU_DEP_3)
	v_add_nc_u32_e32 v10, v9, v10
	v_and_b32_e32 v37, 0xffe0, v36
	s_delay_alu instid0(VALU_DEP_3) | instskip(NEXT) | instid1(VALU_DEP_3)
	v_mad_u64_u32 v[0:1], null, v2, s45, v[8:9]
	v_and_b32_e32 v10, 0x3ffffff0, v10
	v_ashrrev_i32_e32 v36, 5, v36
	s_delay_alu instid0(VALU_DEP_4)
	v_sub_nc_u32_e32 v37, v9, v37
	s_clause 0x1
	buffer_load_b128 v[4:7], v0, s[48:51], 0 offen
	buffer_load_b128 v[0:3], v0, s[48:51], 16 offen
	v_bfe_i32 v38, v37, 0, 8
	v_sub_nc_u32_e32 v10, v9, v10
	v_mul_lo_u32 v36, s53, v36
	s_delay_alu instid0(VALU_DEP_3) | instskip(NEXT) | instid1(VALU_DEP_3)
	v_lshrrev_b16 v38, 11, v38
	v_lshlrev_b32_e32 v10, 2, v10
	s_delay_alu instid0(VALU_DEP_2) | instskip(NEXT) | instid1(VALU_DEP_1)
	v_and_b32_e32 v38, 15, v38
	v_add_nc_u16 v37, v37, v38
	s_delay_alu instid0(VALU_DEP_1) | instskip(NEXT) | instid1(VALU_DEP_1)
	v_bfe_i32 v37, v37, 0, 8
	v_ashrrev_i16 v37, 4, v37
	s_delay_alu instid0(VALU_DEP_1) | instskip(NEXT) | instid1(VALU_DEP_1)
	v_bfe_i32 v37, v37, 0, 16
	v_add3_u32 v10, v10, v36, v37
	s_and_saveexec_b32 s39, vcc_lo
	s_cbranch_execnz .LBB242_38
; %bb.7:                                ;   in Loop: Header=BB242_3 Depth=1
	s_or_b32 exec_lo, exec_lo, s39
	s_and_saveexec_b32 s39, s0
	s_cbranch_execnz .LBB242_39
.LBB242_8:                              ;   in Loop: Header=BB242_3 Depth=1
	s_or_b32 exec_lo, exec_lo, s39
	s_and_saveexec_b32 s39, s1
	s_cbranch_execnz .LBB242_40
.LBB242_9:                              ;   in Loop: Header=BB242_3 Depth=1
	s_or_b32 exec_lo, exec_lo, s39
	s_and_saveexec_b32 s39, s2
	s_cbranch_execnz .LBB242_41
.LBB242_10:                             ;   in Loop: Header=BB242_3 Depth=1
	s_or_b32 exec_lo, exec_lo, s39
	s_and_saveexec_b32 s39, s3
	s_cbranch_execnz .LBB242_42
.LBB242_11:                             ;   in Loop: Header=BB242_3 Depth=1
	s_or_b32 exec_lo, exec_lo, s39
	s_and_saveexec_b32 s39, s4
	s_cbranch_execnz .LBB242_43
.LBB242_12:                             ;   in Loop: Header=BB242_3 Depth=1
	s_or_b32 exec_lo, exec_lo, s39
	s_and_saveexec_b32 s39, s5
	s_cbranch_execnz .LBB242_44
.LBB242_13:                             ;   in Loop: Header=BB242_3 Depth=1
	s_or_b32 exec_lo, exec_lo, s39
	s_and_saveexec_b32 s39, s6
	s_cbranch_execnz .LBB242_45
.LBB242_14:                             ;   in Loop: Header=BB242_3 Depth=1
	s_or_b32 exec_lo, exec_lo, s39
	s_and_saveexec_b32 s39, s7
	s_cbranch_execnz .LBB242_46
.LBB242_15:                             ;   in Loop: Header=BB242_3 Depth=1
	s_or_b32 exec_lo, exec_lo, s39
	s_and_saveexec_b32 s39, s8
	s_cbranch_execnz .LBB242_47
.LBB242_16:                             ;   in Loop: Header=BB242_3 Depth=1
	s_or_b32 exec_lo, exec_lo, s39
	s_and_saveexec_b32 s39, s9
	s_cbranch_execnz .LBB242_48
.LBB242_17:                             ;   in Loop: Header=BB242_3 Depth=1
	s_or_b32 exec_lo, exec_lo, s39
	s_and_saveexec_b32 s39, s10
	s_cbranch_execnz .LBB242_49
.LBB242_18:                             ;   in Loop: Header=BB242_3 Depth=1
	s_or_b32 exec_lo, exec_lo, s39
	s_and_saveexec_b32 s39, s11
	s_cbranch_execnz .LBB242_50
.LBB242_19:                             ;   in Loop: Header=BB242_3 Depth=1
	s_or_b32 exec_lo, exec_lo, s39
	s_and_saveexec_b32 s39, s12
	s_cbranch_execnz .LBB242_51
.LBB242_20:                             ;   in Loop: Header=BB242_3 Depth=1
	s_or_b32 exec_lo, exec_lo, s39
	s_and_saveexec_b32 s39, s13
	s_cbranch_execnz .LBB242_52
.LBB242_21:                             ;   in Loop: Header=BB242_3 Depth=1
	s_or_b32 exec_lo, exec_lo, s39
	s_and_saveexec_b32 s39, s14
	s_cbranch_execnz .LBB242_53
.LBB242_22:                             ;   in Loop: Header=BB242_3 Depth=1
	s_or_b32 exec_lo, exec_lo, s39
	s_and_saveexec_b32 s39, s16
	s_cbranch_execnz .LBB242_54
.LBB242_23:                             ;   in Loop: Header=BB242_3 Depth=1
	s_or_b32 exec_lo, exec_lo, s39
	s_and_saveexec_b32 s39, s17
	s_cbranch_execnz .LBB242_55
.LBB242_24:                             ;   in Loop: Header=BB242_3 Depth=1
	s_or_b32 exec_lo, exec_lo, s39
	s_and_saveexec_b32 s39, s18
	s_cbranch_execnz .LBB242_56
.LBB242_25:                             ;   in Loop: Header=BB242_3 Depth=1
	s_or_b32 exec_lo, exec_lo, s39
	s_and_saveexec_b32 s39, s19
	s_cbranch_execnz .LBB242_57
.LBB242_26:                             ;   in Loop: Header=BB242_3 Depth=1
	s_or_b32 exec_lo, exec_lo, s39
	s_and_saveexec_b32 s39, s20
	s_cbranch_execnz .LBB242_58
.LBB242_27:                             ;   in Loop: Header=BB242_3 Depth=1
	s_or_b32 exec_lo, exec_lo, s39
	s_and_saveexec_b32 s39, s21
	s_cbranch_execnz .LBB242_59
.LBB242_28:                             ;   in Loop: Header=BB242_3 Depth=1
	s_or_b32 exec_lo, exec_lo, s39
	s_and_saveexec_b32 s39, s22
	s_cbranch_execnz .LBB242_60
.LBB242_29:                             ;   in Loop: Header=BB242_3 Depth=1
	s_or_b32 exec_lo, exec_lo, s39
	s_and_saveexec_b32 s39, s23
	s_cbranch_execnz .LBB242_61
.LBB242_30:                             ;   in Loop: Header=BB242_3 Depth=1
	s_or_b32 exec_lo, exec_lo, s39
	s_and_saveexec_b32 s39, s24
	s_cbranch_execnz .LBB242_62
.LBB242_31:                             ;   in Loop: Header=BB242_3 Depth=1
	s_or_b32 exec_lo, exec_lo, s39
	s_and_saveexec_b32 s39, s25
	s_cbranch_execnz .LBB242_63
.LBB242_32:                             ;   in Loop: Header=BB242_3 Depth=1
	s_or_b32 exec_lo, exec_lo, s39
	s_and_saveexec_b32 s39, s26
	s_cbranch_execnz .LBB242_64
.LBB242_33:                             ;   in Loop: Header=BB242_3 Depth=1
	s_or_b32 exec_lo, exec_lo, s39
	s_and_saveexec_b32 s39, s27
	s_cbranch_execnz .LBB242_65
.LBB242_34:                             ;   in Loop: Header=BB242_3 Depth=1
	s_or_b32 exec_lo, exec_lo, s39
	s_and_saveexec_b32 s39, s28
	s_cbranch_execnz .LBB242_66
.LBB242_35:                             ;   in Loop: Header=BB242_3 Depth=1
	s_or_b32 exec_lo, exec_lo, s39
	s_and_saveexec_b32 s39, s29
	s_cbranch_execnz .LBB242_67
.LBB242_36:                             ;   in Loop: Header=BB242_3 Depth=1
	s_or_b32 exec_lo, exec_lo, s39
	s_and_saveexec_b32 s39, s30
	s_cbranch_execnz .LBB242_68
.LBB242_37:                             ;   in Loop: Header=BB242_3 Depth=1
	s_or_b32 exec_lo, exec_lo, s39
	s_delay_alu instid0(SALU_CYCLE_1)
	s_and_b32 exec_lo, exec_lo, s31
	s_cbranch_execz .LBB242_2
	s_branch .LBB242_69
.LBB242_38:                             ;   in Loop: Header=BB242_3 Depth=1
	s_delay_alu instid0(VALU_DEP_1) | instskip(NEXT) | instid1(VALU_DEP_1)
	v_add_nc_u32_e32 v36, v10, v11
	v_ashrrev_i32_e32 v37, 31, v36
	v_add_co_u32 v36, s34, s36, v36
	s_delay_alu instid0(VALU_DEP_1)
	v_add_co_ci_u32_e64 v37, s34, s37, v37, s34
	s_waitcnt vmcnt(1)
	global_store_b8 v[36:37], v4, off
	s_or_b32 exec_lo, exec_lo, s39
	s_and_saveexec_b32 s39, s0
	s_cbranch_execz .LBB242_8
.LBB242_39:                             ;   in Loop: Header=BB242_3 Depth=1
	v_add3_u32 v36, v10, v11, 64
	s_waitcnt vmcnt(1)
	v_lshrrev_b32_e32 v38, 8, v4
	s_delay_alu instid0(VALU_DEP_2) | instskip(SKIP_1) | instid1(VALU_DEP_1)
	v_ashrrev_i32_e32 v37, 31, v36
	v_add_co_u32 v36, s34, s36, v36
	v_add_co_ci_u32_e64 v37, s34, s37, v37, s34
	global_store_b8 v[36:37], v38, off
	s_or_b32 exec_lo, exec_lo, s39
	s_and_saveexec_b32 s39, s1
	s_cbranch_execz .LBB242_9
.LBB242_40:                             ;   in Loop: Header=BB242_3 Depth=1
	v_add3_u32 v36, v10, v11, 0x80
	s_delay_alu instid0(VALU_DEP_1) | instskip(SKIP_1) | instid1(VALU_DEP_1)
	v_ashrrev_i32_e32 v37, 31, v36
	v_add_co_u32 v36, s34, s36, v36
	v_add_co_ci_u32_e64 v37, s34, s37, v37, s34
	s_waitcnt vmcnt(1)
	global_store_d16_hi_b8 v[36:37], v4, off
	s_or_b32 exec_lo, exec_lo, s39
	s_and_saveexec_b32 s39, s2
	s_cbranch_execz .LBB242_10
.LBB242_41:                             ;   in Loop: Header=BB242_3 Depth=1
	v_add3_u32 v36, v10, v11, 0xc0
	s_waitcnt vmcnt(1)
	v_lshrrev_b32_e32 v4, 24, v4
	s_delay_alu instid0(VALU_DEP_2) | instskip(SKIP_1) | instid1(VALU_DEP_1)
	v_ashrrev_i32_e32 v37, 31, v36
	v_add_co_u32 v36, s34, s36, v36
	v_add_co_ci_u32_e64 v37, s34, s37, v37, s34
	global_store_b8 v[36:37], v4, off
	s_or_b32 exec_lo, exec_lo, s39
	s_and_saveexec_b32 s39, s3
	s_cbranch_execz .LBB242_11
.LBB242_42:                             ;   in Loop: Header=BB242_3 Depth=1
	s_waitcnt vmcnt(1)
	v_add3_u32 v4, v10, v11, 2
	s_delay_alu instid0(VALU_DEP_1) | instskip(SKIP_1) | instid1(VALU_DEP_1)
	v_ashrrev_i32_e32 v37, 31, v4
	v_add_co_u32 v36, s34, s36, v4
	v_add_co_ci_u32_e64 v37, s34, s37, v37, s34
	global_store_b8 v[36:37], v5, off
	s_or_b32 exec_lo, exec_lo, s39
	s_and_saveexec_b32 s39, s4
	s_cbranch_execz .LBB242_12
.LBB242_43:                             ;   in Loop: Header=BB242_3 Depth=1
	s_waitcnt vmcnt(1)
	v_add3_u32 v4, v10, v11, 0x42
	v_lshrrev_b32_e32 v38, 8, v5
	s_delay_alu instid0(VALU_DEP_2) | instskip(SKIP_1) | instid1(VALU_DEP_1)
	v_ashrrev_i32_e32 v37, 31, v4
	v_add_co_u32 v36, s34, s36, v4
	v_add_co_ci_u32_e64 v37, s34, s37, v37, s34
	global_store_b8 v[36:37], v38, off
	s_or_b32 exec_lo, exec_lo, s39
	s_and_saveexec_b32 s39, s5
	s_cbranch_execz .LBB242_13
.LBB242_44:                             ;   in Loop: Header=BB242_3 Depth=1
	s_waitcnt vmcnt(1)
	v_add3_u32 v4, v10, v11, 0x82
	s_delay_alu instid0(VALU_DEP_1) | instskip(SKIP_1) | instid1(VALU_DEP_1)
	v_ashrrev_i32_e32 v37, 31, v4
	v_add_co_u32 v36, s34, s36, v4
	v_add_co_ci_u32_e64 v37, s34, s37, v37, s34
	global_store_d16_hi_b8 v[36:37], v5, off
	s_or_b32 exec_lo, exec_lo, s39
	s_and_saveexec_b32 s39, s6
	s_cbranch_execz .LBB242_14
.LBB242_45:                             ;   in Loop: Header=BB242_3 Depth=1
	s_waitcnt vmcnt(1)
	v_add3_u32 v4, v10, v11, 0xc2
	v_lshrrev_b32_e32 v37, 24, v5
	s_delay_alu instid0(VALU_DEP_2) | instskip(SKIP_1) | instid1(VALU_DEP_1)
	v_ashrrev_i32_e32 v36, 31, v4
	v_add_co_u32 v4, s34, s36, v4
	v_add_co_ci_u32_e64 v5, s34, s37, v36, s34
	global_store_b8 v[4:5], v37, off
	s_or_b32 exec_lo, exec_lo, s39
	s_and_saveexec_b32 s39, s7
	s_cbranch_execz .LBB242_15
.LBB242_46:                             ;   in Loop: Header=BB242_3 Depth=1
	s_waitcnt vmcnt(1)
	v_add_nc_u32_e32 v4, v10, v12
	s_delay_alu instid0(VALU_DEP_1) | instskip(SKIP_1) | instid1(VALU_DEP_1)
	v_ashrrev_i32_e32 v5, 31, v4
	v_add_co_u32 v4, s34, s36, v4
	v_add_co_ci_u32_e64 v5, s34, s37, v5, s34
	global_store_b8 v[4:5], v6, off
	s_or_b32 exec_lo, exec_lo, s39
	s_and_saveexec_b32 s39, s8
	s_cbranch_execz .LBB242_16
.LBB242_47:                             ;   in Loop: Header=BB242_3 Depth=1
	s_waitcnt vmcnt(1)
	v_add3_u32 v4, v10, v13, 64
	v_lshrrev_b32_e32 v36, 8, v6
	s_delay_alu instid0(VALU_DEP_2) | instskip(SKIP_1) | instid1(VALU_DEP_1)
	v_ashrrev_i32_e32 v5, 31, v4
	v_add_co_u32 v4, s34, s36, v4
	v_add_co_ci_u32_e64 v5, s34, s37, v5, s34
	global_store_b8 v[4:5], v36, off
	s_or_b32 exec_lo, exec_lo, s39
	s_and_saveexec_b32 s39, s9
	s_cbranch_execz .LBB242_17
.LBB242_48:                             ;   in Loop: Header=BB242_3 Depth=1
	s_waitcnt vmcnt(1)
	v_add3_u32 v4, v10, v14, 0x80
	s_delay_alu instid0(VALU_DEP_1) | instskip(SKIP_1) | instid1(VALU_DEP_1)
	v_ashrrev_i32_e32 v5, 31, v4
	v_add_co_u32 v4, s34, s36, v4
	v_add_co_ci_u32_e64 v5, s34, s37, v5, s34
	global_store_d16_hi_b8 v[4:5], v6, off
	s_or_b32 exec_lo, exec_lo, s39
	s_and_saveexec_b32 s39, s10
	s_cbranch_execz .LBB242_18
.LBB242_49:                             ;   in Loop: Header=BB242_3 Depth=1
	s_waitcnt vmcnt(1)
	v_add3_u32 v4, v10, v15, 0xc0
	v_lshrrev_b32_e32 v6, 24, v6
	s_delay_alu instid0(VALU_DEP_2) | instskip(SKIP_1) | instid1(VALU_DEP_1)
	v_ashrrev_i32_e32 v5, 31, v4
	v_add_co_u32 v4, s34, s36, v4
	v_add_co_ci_u32_e64 v5, s34, s37, v5, s34
	global_store_b8 v[4:5], v6, off
	s_or_b32 exec_lo, exec_lo, s39
	s_and_saveexec_b32 s39, s11
	s_cbranch_execz .LBB242_19
.LBB242_50:                             ;   in Loop: Header=BB242_3 Depth=1
	s_waitcnt vmcnt(1)
	v_add3_u32 v4, v10, v16, 2
	s_delay_alu instid0(VALU_DEP_1) | instskip(SKIP_1) | instid1(VALU_DEP_1)
	v_ashrrev_i32_e32 v5, 31, v4
	v_add_co_u32 v4, s34, s36, v4
	v_add_co_ci_u32_e64 v5, s34, s37, v5, s34
	global_store_b8 v[4:5], v7, off
	s_or_b32 exec_lo, exec_lo, s39
	s_and_saveexec_b32 s39, s12
	s_cbranch_execz .LBB242_20
.LBB242_51:                             ;   in Loop: Header=BB242_3 Depth=1
	s_waitcnt vmcnt(1)
	v_add3_u32 v4, v10, v17, 0x42
	v_lshrrev_b32_e32 v6, 8, v7
	s_delay_alu instid0(VALU_DEP_2) | instskip(SKIP_1) | instid1(VALU_DEP_1)
	v_ashrrev_i32_e32 v5, 31, v4
	v_add_co_u32 v4, s34, s36, v4
	v_add_co_ci_u32_e64 v5, s34, s37, v5, s34
	global_store_b8 v[4:5], v6, off
	s_or_b32 exec_lo, exec_lo, s39
	s_and_saveexec_b32 s39, s13
	s_cbranch_execz .LBB242_21
.LBB242_52:                             ;   in Loop: Header=BB242_3 Depth=1
	s_waitcnt vmcnt(1)
	v_add3_u32 v4, v10, v18, 0x82
	s_delay_alu instid0(VALU_DEP_1) | instskip(SKIP_1) | instid1(VALU_DEP_1)
	v_ashrrev_i32_e32 v5, 31, v4
	v_add_co_u32 v4, s34, s36, v4
	v_add_co_ci_u32_e64 v5, s34, s37, v5, s34
	global_store_d16_hi_b8 v[4:5], v7, off
	s_or_b32 exec_lo, exec_lo, s39
	s_and_saveexec_b32 s39, s14
	s_cbranch_execz .LBB242_22
.LBB242_53:                             ;   in Loop: Header=BB242_3 Depth=1
	s_waitcnt vmcnt(1)
	v_add3_u32 v4, v10, v19, 0xc2
	v_lshrrev_b32_e32 v6, 24, v7
	s_delay_alu instid0(VALU_DEP_2) | instskip(SKIP_1) | instid1(VALU_DEP_1)
	v_ashrrev_i32_e32 v5, 31, v4
	v_add_co_u32 v4, s34, s36, v4
	v_add_co_ci_u32_e64 v5, s34, s37, v5, s34
	global_store_b8 v[4:5], v6, off
	s_or_b32 exec_lo, exec_lo, s39
	s_and_saveexec_b32 s39, s16
	s_cbranch_execz .LBB242_23
.LBB242_54:                             ;   in Loop: Header=BB242_3 Depth=1
	s_waitcnt vmcnt(1)
	v_add_nc_u32_e32 v4, v10, v20
	s_delay_alu instid0(VALU_DEP_1) | instskip(SKIP_1) | instid1(VALU_DEP_1)
	v_ashrrev_i32_e32 v5, 31, v4
	v_add_co_u32 v4, s34, s36, v4
	v_add_co_ci_u32_e64 v5, s34, s37, v5, s34
	s_waitcnt vmcnt(0)
	global_store_b8 v[4:5], v0, off
	s_or_b32 exec_lo, exec_lo, s39
	s_and_saveexec_b32 s39, s17
	s_cbranch_execz .LBB242_24
.LBB242_55:                             ;   in Loop: Header=BB242_3 Depth=1
	s_waitcnt vmcnt(1)
	v_add3_u32 v4, v10, v21, 64
	s_waitcnt vmcnt(0)
	v_lshrrev_b32_e32 v6, 8, v0
	s_delay_alu instid0(VALU_DEP_2) | instskip(SKIP_1) | instid1(VALU_DEP_1)
	v_ashrrev_i32_e32 v5, 31, v4
	v_add_co_u32 v4, s34, s36, v4
	v_add_co_ci_u32_e64 v5, s34, s37, v5, s34
	global_store_b8 v[4:5], v6, off
	s_or_b32 exec_lo, exec_lo, s39
	s_and_saveexec_b32 s39, s18
	s_cbranch_execz .LBB242_25
.LBB242_56:                             ;   in Loop: Header=BB242_3 Depth=1
	s_waitcnt vmcnt(1)
	v_add3_u32 v4, v10, v22, 0x80
	s_delay_alu instid0(VALU_DEP_1) | instskip(SKIP_1) | instid1(VALU_DEP_1)
	v_ashrrev_i32_e32 v5, 31, v4
	v_add_co_u32 v4, s34, s36, v4
	v_add_co_ci_u32_e64 v5, s34, s37, v5, s34
	s_waitcnt vmcnt(0)
	global_store_d16_hi_b8 v[4:5], v0, off
	s_or_b32 exec_lo, exec_lo, s39
	s_and_saveexec_b32 s39, s19
	s_cbranch_execz .LBB242_26
.LBB242_57:                             ;   in Loop: Header=BB242_3 Depth=1
	s_waitcnt vmcnt(1)
	v_add3_u32 v4, v10, v23, 0xc0
	s_waitcnt vmcnt(0)
	v_lshrrev_b32_e32 v0, 24, v0
	s_delay_alu instid0(VALU_DEP_2) | instskip(SKIP_1) | instid1(VALU_DEP_1)
	v_ashrrev_i32_e32 v5, 31, v4
	v_add_co_u32 v4, s34, s36, v4
	v_add_co_ci_u32_e64 v5, s34, s37, v5, s34
	global_store_b8 v[4:5], v0, off
	s_or_b32 exec_lo, exec_lo, s39
	s_and_saveexec_b32 s39, s20
	s_cbranch_execz .LBB242_27
.LBB242_58:                             ;   in Loop: Header=BB242_3 Depth=1
	s_waitcnt vmcnt(0)
	v_add3_u32 v0, v10, v24, 2
	s_delay_alu instid0(VALU_DEP_1) | instskip(SKIP_1) | instid1(VALU_DEP_1)
	v_ashrrev_i32_e32 v5, 31, v0
	v_add_co_u32 v4, s34, s36, v0
	v_add_co_ci_u32_e64 v5, s34, s37, v5, s34
	global_store_b8 v[4:5], v1, off
	s_or_b32 exec_lo, exec_lo, s39
	s_and_saveexec_b32 s39, s21
	s_cbranch_execz .LBB242_28
.LBB242_59:                             ;   in Loop: Header=BB242_3 Depth=1
	s_waitcnt vmcnt(0)
	v_add3_u32 v0, v10, v25, 0x42
	v_lshrrev_b32_e32 v6, 8, v1
	s_delay_alu instid0(VALU_DEP_2) | instskip(SKIP_1) | instid1(VALU_DEP_1)
	v_ashrrev_i32_e32 v5, 31, v0
	v_add_co_u32 v4, s34, s36, v0
	v_add_co_ci_u32_e64 v5, s34, s37, v5, s34
	global_store_b8 v[4:5], v6, off
	s_or_b32 exec_lo, exec_lo, s39
	s_and_saveexec_b32 s39, s22
	s_cbranch_execz .LBB242_29
.LBB242_60:                             ;   in Loop: Header=BB242_3 Depth=1
	s_waitcnt vmcnt(0)
	v_add3_u32 v0, v10, v26, 0x82
	s_delay_alu instid0(VALU_DEP_1) | instskip(SKIP_1) | instid1(VALU_DEP_1)
	v_ashrrev_i32_e32 v5, 31, v0
	v_add_co_u32 v4, s34, s36, v0
	v_add_co_ci_u32_e64 v5, s34, s37, v5, s34
	global_store_d16_hi_b8 v[4:5], v1, off
	s_or_b32 exec_lo, exec_lo, s39
	s_and_saveexec_b32 s39, s23
	s_cbranch_execz .LBB242_30
.LBB242_61:                             ;   in Loop: Header=BB242_3 Depth=1
	s_waitcnt vmcnt(0)
	v_add3_u32 v0, v10, v27, 0xc2
	v_lshrrev_b32_e32 v5, 24, v1
	s_delay_alu instid0(VALU_DEP_2) | instskip(SKIP_1) | instid1(VALU_DEP_1)
	v_ashrrev_i32_e32 v4, 31, v0
	v_add_co_u32 v0, s34, s36, v0
	v_add_co_ci_u32_e64 v1, s34, s37, v4, s34
	global_store_b8 v[0:1], v5, off
	s_or_b32 exec_lo, exec_lo, s39
	s_and_saveexec_b32 s39, s24
	s_cbranch_execz .LBB242_31
.LBB242_62:                             ;   in Loop: Header=BB242_3 Depth=1
	s_waitcnt vmcnt(0)
	v_add_nc_u32_e32 v0, v10, v28
	s_delay_alu instid0(VALU_DEP_1) | instskip(SKIP_1) | instid1(VALU_DEP_1)
	v_ashrrev_i32_e32 v1, 31, v0
	v_add_co_u32 v0, s34, s36, v0
	v_add_co_ci_u32_e64 v1, s34, s37, v1, s34
	global_store_b8 v[0:1], v2, off
	s_or_b32 exec_lo, exec_lo, s39
	s_and_saveexec_b32 s39, s25
	s_cbranch_execz .LBB242_32
.LBB242_63:                             ;   in Loop: Header=BB242_3 Depth=1
	s_waitcnt vmcnt(0)
	v_add3_u32 v0, v10, v29, 64
	v_lshrrev_b32_e32 v4, 8, v2
	s_delay_alu instid0(VALU_DEP_2) | instskip(SKIP_1) | instid1(VALU_DEP_1)
	v_ashrrev_i32_e32 v1, 31, v0
	v_add_co_u32 v0, s34, s36, v0
	v_add_co_ci_u32_e64 v1, s34, s37, v1, s34
	global_store_b8 v[0:1], v4, off
	s_or_b32 exec_lo, exec_lo, s39
	s_and_saveexec_b32 s39, s26
	s_cbranch_execz .LBB242_33
.LBB242_64:                             ;   in Loop: Header=BB242_3 Depth=1
	s_waitcnt vmcnt(0)
	v_add3_u32 v0, v10, v30, 0x80
	s_delay_alu instid0(VALU_DEP_1) | instskip(SKIP_1) | instid1(VALU_DEP_1)
	v_ashrrev_i32_e32 v1, 31, v0
	v_add_co_u32 v0, s34, s36, v0
	v_add_co_ci_u32_e64 v1, s34, s37, v1, s34
	global_store_d16_hi_b8 v[0:1], v2, off
	s_or_b32 exec_lo, exec_lo, s39
	s_and_saveexec_b32 s39, s27
	s_cbranch_execz .LBB242_34
.LBB242_65:                             ;   in Loop: Header=BB242_3 Depth=1
	s_waitcnt vmcnt(0)
	v_add3_u32 v0, v10, v31, 0xc0
	v_lshrrev_b32_e32 v2, 24, v2
	s_delay_alu instid0(VALU_DEP_2) | instskip(SKIP_1) | instid1(VALU_DEP_1)
	v_ashrrev_i32_e32 v1, 31, v0
	v_add_co_u32 v0, s34, s36, v0
	v_add_co_ci_u32_e64 v1, s34, s37, v1, s34
	global_store_b8 v[0:1], v2, off
	s_or_b32 exec_lo, exec_lo, s39
	s_and_saveexec_b32 s39, s28
	s_cbranch_execz .LBB242_35
.LBB242_66:                             ;   in Loop: Header=BB242_3 Depth=1
	s_waitcnt vmcnt(0)
	v_add3_u32 v0, v10, v32, 2
	s_delay_alu instid0(VALU_DEP_1) | instskip(SKIP_1) | instid1(VALU_DEP_1)
	v_ashrrev_i32_e32 v1, 31, v0
	v_add_co_u32 v0, s34, s36, v0
	v_add_co_ci_u32_e64 v1, s34, s37, v1, s34
	global_store_b8 v[0:1], v3, off
	s_or_b32 exec_lo, exec_lo, s39
	s_and_saveexec_b32 s39, s29
	s_cbranch_execz .LBB242_36
.LBB242_67:                             ;   in Loop: Header=BB242_3 Depth=1
	s_waitcnt vmcnt(0)
	v_add3_u32 v0, v10, v33, 0x42
	v_lshrrev_b32_e32 v2, 8, v3
	s_delay_alu instid0(VALU_DEP_2) | instskip(SKIP_1) | instid1(VALU_DEP_1)
	v_ashrrev_i32_e32 v1, 31, v0
	v_add_co_u32 v0, s34, s36, v0
	v_add_co_ci_u32_e64 v1, s34, s37, v1, s34
	global_store_b8 v[0:1], v2, off
	s_or_b32 exec_lo, exec_lo, s39
	s_and_saveexec_b32 s39, s30
	s_cbranch_execz .LBB242_37
.LBB242_68:                             ;   in Loop: Header=BB242_3 Depth=1
	s_waitcnt vmcnt(0)
	v_add3_u32 v0, v10, v34, 0x82
	s_delay_alu instid0(VALU_DEP_1) | instskip(SKIP_1) | instid1(VALU_DEP_1)
	v_ashrrev_i32_e32 v1, 31, v0
	v_add_co_u32 v0, s34, s36, v0
	v_add_co_ci_u32_e64 v1, s34, s37, v1, s34
	global_store_d16_hi_b8 v[0:1], v3, off
	s_or_b32 exec_lo, exec_lo, s39
	s_delay_alu instid0(SALU_CYCLE_1)
	s_and_b32 exec_lo, exec_lo, s31
	s_cbranch_execz .LBB242_2
.LBB242_69:                             ;   in Loop: Header=BB242_3 Depth=1
	s_waitcnt vmcnt(0)
	v_add3_u32 v0, v10, v35, 0xc2
	v_lshrrev_b32_e32 v2, 24, v3
	s_delay_alu instid0(VALU_DEP_2) | instskip(SKIP_1) | instid1(VALU_DEP_1)
	v_ashrrev_i32_e32 v1, 31, v0
	v_add_co_u32 v0, s34, s36, v0
	v_add_co_ci_u32_e64 v1, s34, s37, v1, s34
	global_store_b8 v[0:1], v2, off
	s_branch .LBB242_2
.LBB242_70:
	s_nop 0
	s_sendmsg sendmsg(MSG_DEALLOC_VGPRS)
	s_endpgm
	.section	.rodata,"a",@progbits
	.p2align	6, 0x0
	.amdhsa_kernel _ZN5aiter21mxfp4_moe_sort_kernelILi256ELi32ELi32ELi32EEEvPhS1_PKiS3_iiiii
		.amdhsa_group_segment_fixed_size 0
		.amdhsa_private_segment_fixed_size 0
		.amdhsa_kernarg_size 52
		.amdhsa_user_sgpr_count 15
		.amdhsa_user_sgpr_dispatch_ptr 0
		.amdhsa_user_sgpr_queue_ptr 0
		.amdhsa_user_sgpr_kernarg_segment_ptr 1
		.amdhsa_user_sgpr_dispatch_id 0
		.amdhsa_user_sgpr_private_segment_size 0
		.amdhsa_wavefront_size32 1
		.amdhsa_uses_dynamic_stack 0
		.amdhsa_enable_private_segment 0
		.amdhsa_system_sgpr_workgroup_id_x 1
		.amdhsa_system_sgpr_workgroup_id_y 0
		.amdhsa_system_sgpr_workgroup_id_z 0
		.amdhsa_system_sgpr_workgroup_info 0
		.amdhsa_system_vgpr_workitem_id 0
		.amdhsa_next_free_vgpr 39
		.amdhsa_next_free_sgpr 54
		.amdhsa_reserve_vcc 1
		.amdhsa_float_round_mode_32 0
		.amdhsa_float_round_mode_16_64 0
		.amdhsa_float_denorm_mode_32 3
		.amdhsa_float_denorm_mode_16_64 3
		.amdhsa_dx10_clamp 1
		.amdhsa_ieee_mode 1
		.amdhsa_fp16_overflow 0
		.amdhsa_workgroup_processor_mode 1
		.amdhsa_memory_ordered 1
		.amdhsa_forward_progress 0
		.amdhsa_shared_vgpr_count 0
		.amdhsa_exception_fp_ieee_invalid_op 0
		.amdhsa_exception_fp_denorm_src 0
		.amdhsa_exception_fp_ieee_div_zero 0
		.amdhsa_exception_fp_ieee_overflow 0
		.amdhsa_exception_fp_ieee_underflow 0
		.amdhsa_exception_fp_ieee_inexact 0
		.amdhsa_exception_int_div_zero 0
	.end_amdhsa_kernel
	.section	.text._ZN5aiter21mxfp4_moe_sort_kernelILi256ELi32ELi32ELi32EEEvPhS1_PKiS3_iiiii,"axG",@progbits,_ZN5aiter21mxfp4_moe_sort_kernelILi256ELi32ELi32ELi32EEEvPhS1_PKiS3_iiiii,comdat
.Lfunc_end242:
	.size	_ZN5aiter21mxfp4_moe_sort_kernelILi256ELi32ELi32ELi32EEEvPhS1_PKiS3_iiiii, .Lfunc_end242-_ZN5aiter21mxfp4_moe_sort_kernelILi256ELi32ELi32ELi32EEEvPhS1_PKiS3_iiiii
                                        ; -- End function
	.section	.AMDGPU.csdata,"",@progbits
; Kernel info:
; codeLenInByte = 3500
; NumSgprs: 56
; NumVgprs: 39
; ScratchSize: 0
; MemoryBound: 0
; FloatMode: 240
; IeeeMode: 1
; LDSByteSize: 0 bytes/workgroup (compile time only)
; SGPRBlocks: 6
; VGPRBlocks: 4
; NumSGPRsForWavesPerEU: 56
; NumVGPRsForWavesPerEU: 39
; Occupancy: 16
; WaveLimiterHint : 0
; COMPUTE_PGM_RSRC2:SCRATCH_EN: 0
; COMPUTE_PGM_RSRC2:USER_SGPR: 15
; COMPUTE_PGM_RSRC2:TRAP_HANDLER: 0
; COMPUTE_PGM_RSRC2:TGID_X_EN: 1
; COMPUTE_PGM_RSRC2:TGID_Y_EN: 0
; COMPUTE_PGM_RSRC2:TGID_Z_EN: 0
; COMPUTE_PGM_RSRC2:TIDIG_COMP_CNT: 0
	.section	.text._ZN5aiter21mxfp4_moe_sort_kernelILi256ELi16ELi32ELi32EEEvPhS1_PKiS3_iiiii,"axG",@progbits,_ZN5aiter21mxfp4_moe_sort_kernelILi256ELi16ELi32ELi32EEEvPhS1_PKiS3_iiiii,comdat
	.protected	_ZN5aiter21mxfp4_moe_sort_kernelILi256ELi16ELi32ELi32EEEvPhS1_PKiS3_iiiii ; -- Begin function _ZN5aiter21mxfp4_moe_sort_kernelILi256ELi16ELi32ELi32EEEvPhS1_PKiS3_iiiii
	.globl	_ZN5aiter21mxfp4_moe_sort_kernelILi256ELi16ELi32ELi32EEEvPhS1_PKiS3_iiiii
	.p2align	8
	.type	_ZN5aiter21mxfp4_moe_sort_kernelILi256ELi16ELi32ELi32EEEvPhS1_PKiS3_iiiii,@function
_ZN5aiter21mxfp4_moe_sort_kernelILi256ELi16ELi32ELi32EEEvPhS1_PKiS3_iiiii: ; @_ZN5aiter21mxfp4_moe_sort_kernelILi256ELi16ELi32ELi32EEEvPhS1_PKiS3_iiiii
; %bb.0:
	s_load_b128 s[44:47], s[0:1], 0x20
	s_waitcnt lgkmcnt(0)
	s_cmp_ge_i32 s15, s46
	s_cbranch_scc1 .LBB243_70
; %bb.1:
	v_lshlrev_b32_e32 v2, 5, v0
	s_clause 0x1
	s_load_b256 s[36:43], s[0:1], 0x0
	s_load_b32 s52, s[0:1], 0x30
	s_add_i32 s0, s45, 31
	v_lshrrev_b32_e32 v1, 4, v0
	s_ashr_i32 s1, s0, 31
	v_lshlrev_b32_e32 v0, 10, v0
	v_and_b32_e32 v8, 0x1e0, v2
	s_lshr_b32 s1, s1, 27
	v_lshl_add_u32 v9, s15, 4, v1
	s_add_i32 s0, s0, s1
	v_and_b32_e32 v11, 0x3c00, v0
	s_ashr_i32 s45, s0, 5
	v_or_b32_e32 v0, 4, v8
	s_add_i32 s0, s45, 7
	v_or_b32_e32 v2, 1, v8
	s_lshr_b32 s1, s0, 29
	v_or_b32_e32 v4, 3, v8
	v_cmp_gt_i32_e64 s3, s45, v0
	v_or_b32_e32 v0, 6, v8
	s_add_i32 s0, s0, s1
	v_or_b32_e32 v3, 2, v8
	s_lshl_b32 s0, s0, 5
	v_cmp_gt_i32_e64 s2, s45, v4
	s_and_b32 s53, s0, 0xffffff00
	v_cmp_gt_i32_e64 s0, s45, v2
	v_or_b32_e32 v2, 5, v8
	v_or_b32_e32 v4, 8, v8
	v_cmp_gt_i32_e64 s5, s45, v0
	v_or_b32_e32 v0, 10, v8
	s_mul_i32 s1, s45, s44
	v_cmp_gt_i32_e64 s4, s45, v2
	s_waitcnt lgkmcnt(0)
	s_mul_i32 s50, s1, s52
	v_cmp_gt_i32_e64 s1, s45, v3
	v_or_b32_e32 v3, 7, v8
	v_or_b32_e32 v2, 9, v8
	v_cmp_gt_i32_e64 s7, s45, v4
	v_lshlrev_b32_e32 v12, 5, v4
	v_lshlrev_b32_e32 v4, 5, v0
	v_cmp_gt_i32_e64 s9, s45, v0
	v_or_b32_e32 v0, 12, v8
	v_cmp_gt_i32_e64 s6, s45, v3
	v_lshlrev_b32_e32 v3, 5, v2
	v_cmp_gt_i32_e64 s8, s45, v2
	v_or_b32_e32 v2, 11, v8
	v_and_b32_e32 v14, 0x3d00, v4
	v_lshlrev_b32_e32 v4, 5, v0
	v_and_b32_e32 v13, 0x3d00, v3
	v_cmp_gt_i32_e64 s11, s45, v0
	v_lshlrev_b32_e32 v3, 5, v2
	v_cmp_gt_i32_e64 s10, s45, v2
	v_or_b32_e32 v2, 13, v8
	v_or_b32_e32 v0, 14, v8
	v_and_b32_e32 v16, 0x3d00, v4
	v_or_b32_e32 v4, 15, v8
	v_and_b32_e32 v15, 0x3d00, v3
	v_lshlrev_b32_e32 v3, 5, v2
	v_cmp_gt_i32_e64 s12, s45, v2
	v_lshlrev_b32_e32 v2, 5, v0
	v_cmp_gt_i32_e64 s13, s45, v0
	v_lshlrev_b32_e32 v0, 5, v4
	v_and_b32_e32 v17, 0x3d00, v3
	v_or_b32_e32 v3, 16, v8
	v_and_b32_e32 v18, 0x3d00, v2
	v_or_b32_e32 v2, 17, v8
	;; [unrolled: 2-line block ×3, first 2 shown]
	v_cmp_gt_i32_e64 s14, s45, v4
	v_cmp_gt_i32_e64 s16, s45, v3
	v_lshlrev_b32_e32 v4, 5, v2
	v_lshlrev_b32_e32 v20, 5, v3
	v_cmp_gt_i32_e64 s17, s45, v2
	v_or_b32_e32 v2, 19, v8
	v_lshlrev_b32_e32 v3, 5, v0
	v_cmp_gt_i32_e64 s18, s45, v0
	v_or_b32_e32 v0, 20, v8
	v_and_b32_e32 v21, 0x3e00, v4
	v_lshlrev_b32_e32 v4, 5, v2
	v_and_b32_e32 v22, 0x3e00, v3
	v_cmp_gt_i32_e64 s19, s45, v2
	v_or_b32_e32 v2, 21, v8
	v_lshlrev_b32_e32 v3, 5, v0
	v_cmp_gt_i32_e64 s20, s45, v0
	v_or_b32_e32 v0, 22, v8
	v_and_b32_e32 v23, 0x3e00, v4
	v_lshlrev_b32_e32 v4, 5, v2
	v_and_b32_e32 v24, 0x3e00, v3
	v_or_b32_e32 v3, 23, v8
	v_cmp_gt_i32_e64 s21, s45, v2
	v_lshlrev_b32_e32 v2, 5, v0
	v_cmp_gt_i32_e64 s22, s45, v0
	v_or_b32_e32 v5, 27, v8
	v_lshlrev_b32_e32 v0, 5, v3
	v_cmp_gt_i32_e64 s23, s45, v3
	v_and_b32_e32 v26, 0x3e00, v2
	v_or_b32_e32 v2, 25, v8
	s_load_b32 s42, s[42:43], 0x0
	v_and_b32_e32 v27, 0x3e00, v0
	v_or_b32_e32 v0, 26, v8
	v_and_b32_e32 v25, 0x3e00, v4
	v_lshlrev_b32_e32 v3, 5, v2
	v_or_b32_e32 v4, 24, v8
	v_cmp_gt_i32_e64 s25, s45, v2
	v_lshlrev_b32_e32 v2, 5, v0
	v_cmp_gt_i32_e64 s26, s45, v0
	v_and_b32_e32 v29, 0x3f00, v3
	v_lshlrev_b32_e32 v3, 5, v5
	v_or_b32_e32 v0, 28, v8
	v_cmp_gt_i32_e64 s24, s45, v4
	v_lshlrev_b32_e32 v28, 5, v4
	v_and_b32_e32 v30, 0x3f00, v2
	v_and_b32_e32 v31, 0x3f00, v3
	v_or_b32_e32 v2, 29, v8
	v_lshlrev_b32_e32 v3, 5, v0
	v_or_b32_e32 v4, 30, v8
	v_cmp_gt_i32_e64 s28, s45, v0
	v_or_b32_e32 v0, 31, v8
	v_cmp_gt_i32_e64 s27, s45, v5
	v_lshlrev_b32_e32 v5, 5, v2
	v_and_b32_e32 v32, 0x3f00, v3
	v_lshlrev_b32_e32 v3, 5, v4
	v_cmp_gt_i32_e64 s29, s45, v2
	v_lshlrev_b32_e32 v2, 5, v0
	s_and_b32 s39, s39, 0xffff
	v_cmp_gt_i32_e32 vcc_lo, s45, v8
	v_and_b32_e32 v33, 0x3f00, v5
	v_cmp_gt_i32_e64 s30, s45, v4
	v_and_b32_e32 v34, 0x3f00, v3
	v_cmp_gt_i32_e64 s31, s45, v0
	v_and_b32_e32 v35, 0x3f00, v2
	s_cmp_eq_u32 s52, 1
	s_mov_b32 s51, -1
	s_mov_b64 s[48:49], s[38:39]
	s_cselect_b32 s33, -1, 0
	s_lshl_b32 s38, s47, 4
	s_branch .LBB243_3
.LBB243_2:                              ;   in Loop: Header=BB243_3 Depth=1
	s_or_b32 exec_lo, exec_lo, s35
	v_add_nc_u32_e32 v9, s38, v9
	s_add_i32 s15, s15, s47
	s_delay_alu instid0(SALU_CYCLE_1)
	s_cmp_lt_i32 s15, s46
	s_cbranch_scc0 .LBB243_70
.LBB243_3:                              ; =>This Inner Loop Header: Depth=1
	s_waitcnt vmcnt(0)
	v_mov_b32_e32 v1, s44
	v_ashrrev_i32_e32 v10, 31, v9
	s_mov_b32 s35, exec_lo
	s_waitcnt lgkmcnt(0)
	v_cmpx_gt_i32_e64 s42, v9
	s_cbranch_execz .LBB243_5
; %bb.4:                                ;   in Loop: Header=BB243_3 Depth=1
	v_lshlrev_b64 v[0:1], 2, v[9:10]
	s_delay_alu instid0(VALU_DEP_1) | instskip(NEXT) | instid1(VALU_DEP_1)
	v_add_co_u32 v0, s34, s40, v0
	v_add_co_ci_u32_e64 v1, s34, s41, v1, s34
	global_load_b32 v1, v[0:1], off
.LBB243_5:                              ;   in Loop: Header=BB243_3 Depth=1
	s_or_b32 exec_lo, exec_lo, s35
	s_waitcnt vmcnt(0)
	v_ashrrev_i32_e32 v0, 24, v1
	v_and_b32_e32 v1, 0xffffff, v1
	s_delay_alu instid0(VALU_DEP_2) | instskip(NEXT) | instid1(VALU_DEP_2)
	v_cmp_gt_i32_e64 s34, s52, v0
	v_cmp_gt_i32_e64 s35, s44, v1
	s_delay_alu instid0(VALU_DEP_2)
	s_or_b32 s34, s33, s34
	s_delay_alu instid0(VALU_DEP_1) | instid1(SALU_CYCLE_1)
	s_and_b32 s34, s35, s34
	s_delay_alu instid0(SALU_CYCLE_1)
	s_and_saveexec_b32 s35, s34
	s_cbranch_execz .LBB243_2
; %bb.6:                                ;   in Loop: Header=BB243_3 Depth=1
	v_mad_u64_u32 v[2:3], null, v1, s52, v[0:1]
	v_lshrrev_b32_e32 v36, 27, v10
	v_lshrrev_b32_e32 v10, 28, v10
	s_delay_alu instid0(VALU_DEP_2) | instskip(NEXT) | instid1(VALU_DEP_4)
	v_add_nc_u32_e32 v36, v9, v36
	v_cndmask_b32_e64 v2, v2, v1, s33
	s_delay_alu instid0(VALU_DEP_3) | instskip(NEXT) | instid1(VALU_DEP_3)
	v_add_nc_u32_e32 v10, v9, v10
	v_and_b32_e32 v37, 0xffe0, v36
	s_delay_alu instid0(VALU_DEP_3) | instskip(NEXT) | instid1(VALU_DEP_3)
	v_mad_u64_u32 v[0:1], null, v2, s45, v[8:9]
	v_and_b32_e32 v10, 0x3ffffff0, v10
	v_ashrrev_i32_e32 v36, 5, v36
	s_delay_alu instid0(VALU_DEP_4)
	v_sub_nc_u32_e32 v37, v9, v37
	s_clause 0x1
	buffer_load_b128 v[4:7], v0, s[48:51], 0 offen
	buffer_load_b128 v[0:3], v0, s[48:51], 16 offen
	v_bfe_i32 v38, v37, 0, 8
	v_sub_nc_u32_e32 v10, v9, v10
	v_mul_lo_u32 v36, s53, v36
	s_delay_alu instid0(VALU_DEP_3) | instskip(NEXT) | instid1(VALU_DEP_3)
	v_lshrrev_b16 v38, 11, v38
	v_lshlrev_b32_e32 v10, 2, v10
	s_delay_alu instid0(VALU_DEP_2) | instskip(NEXT) | instid1(VALU_DEP_1)
	v_and_b32_e32 v38, 15, v38
	v_add_nc_u16 v37, v37, v38
	s_delay_alu instid0(VALU_DEP_1) | instskip(NEXT) | instid1(VALU_DEP_1)
	v_bfe_i32 v37, v37, 0, 8
	v_ashrrev_i16 v37, 4, v37
	s_delay_alu instid0(VALU_DEP_1) | instskip(NEXT) | instid1(VALU_DEP_1)
	v_bfe_i32 v37, v37, 0, 16
	v_add3_u32 v10, v10, v36, v37
	s_and_saveexec_b32 s39, vcc_lo
	s_cbranch_execnz .LBB243_38
; %bb.7:                                ;   in Loop: Header=BB243_3 Depth=1
	s_or_b32 exec_lo, exec_lo, s39
	s_and_saveexec_b32 s39, s0
	s_cbranch_execnz .LBB243_39
.LBB243_8:                              ;   in Loop: Header=BB243_3 Depth=1
	s_or_b32 exec_lo, exec_lo, s39
	s_and_saveexec_b32 s39, s1
	s_cbranch_execnz .LBB243_40
.LBB243_9:                              ;   in Loop: Header=BB243_3 Depth=1
	s_or_b32 exec_lo, exec_lo, s39
	s_and_saveexec_b32 s39, s2
	s_cbranch_execnz .LBB243_41
.LBB243_10:                             ;   in Loop: Header=BB243_3 Depth=1
	s_or_b32 exec_lo, exec_lo, s39
	s_and_saveexec_b32 s39, s3
	s_cbranch_execnz .LBB243_42
.LBB243_11:                             ;   in Loop: Header=BB243_3 Depth=1
	s_or_b32 exec_lo, exec_lo, s39
	s_and_saveexec_b32 s39, s4
	s_cbranch_execnz .LBB243_43
.LBB243_12:                             ;   in Loop: Header=BB243_3 Depth=1
	s_or_b32 exec_lo, exec_lo, s39
	s_and_saveexec_b32 s39, s5
	s_cbranch_execnz .LBB243_44
.LBB243_13:                             ;   in Loop: Header=BB243_3 Depth=1
	s_or_b32 exec_lo, exec_lo, s39
	s_and_saveexec_b32 s39, s6
	s_cbranch_execnz .LBB243_45
.LBB243_14:                             ;   in Loop: Header=BB243_3 Depth=1
	s_or_b32 exec_lo, exec_lo, s39
	s_and_saveexec_b32 s39, s7
	s_cbranch_execnz .LBB243_46
.LBB243_15:                             ;   in Loop: Header=BB243_3 Depth=1
	s_or_b32 exec_lo, exec_lo, s39
	s_and_saveexec_b32 s39, s8
	s_cbranch_execnz .LBB243_47
.LBB243_16:                             ;   in Loop: Header=BB243_3 Depth=1
	s_or_b32 exec_lo, exec_lo, s39
	s_and_saveexec_b32 s39, s9
	s_cbranch_execnz .LBB243_48
.LBB243_17:                             ;   in Loop: Header=BB243_3 Depth=1
	s_or_b32 exec_lo, exec_lo, s39
	s_and_saveexec_b32 s39, s10
	s_cbranch_execnz .LBB243_49
.LBB243_18:                             ;   in Loop: Header=BB243_3 Depth=1
	s_or_b32 exec_lo, exec_lo, s39
	s_and_saveexec_b32 s39, s11
	s_cbranch_execnz .LBB243_50
.LBB243_19:                             ;   in Loop: Header=BB243_3 Depth=1
	s_or_b32 exec_lo, exec_lo, s39
	s_and_saveexec_b32 s39, s12
	s_cbranch_execnz .LBB243_51
.LBB243_20:                             ;   in Loop: Header=BB243_3 Depth=1
	s_or_b32 exec_lo, exec_lo, s39
	s_and_saveexec_b32 s39, s13
	s_cbranch_execnz .LBB243_52
.LBB243_21:                             ;   in Loop: Header=BB243_3 Depth=1
	s_or_b32 exec_lo, exec_lo, s39
	s_and_saveexec_b32 s39, s14
	s_cbranch_execnz .LBB243_53
.LBB243_22:                             ;   in Loop: Header=BB243_3 Depth=1
	s_or_b32 exec_lo, exec_lo, s39
	s_and_saveexec_b32 s39, s16
	s_cbranch_execnz .LBB243_54
.LBB243_23:                             ;   in Loop: Header=BB243_3 Depth=1
	s_or_b32 exec_lo, exec_lo, s39
	s_and_saveexec_b32 s39, s17
	s_cbranch_execnz .LBB243_55
.LBB243_24:                             ;   in Loop: Header=BB243_3 Depth=1
	s_or_b32 exec_lo, exec_lo, s39
	s_and_saveexec_b32 s39, s18
	s_cbranch_execnz .LBB243_56
.LBB243_25:                             ;   in Loop: Header=BB243_3 Depth=1
	s_or_b32 exec_lo, exec_lo, s39
	s_and_saveexec_b32 s39, s19
	s_cbranch_execnz .LBB243_57
.LBB243_26:                             ;   in Loop: Header=BB243_3 Depth=1
	s_or_b32 exec_lo, exec_lo, s39
	s_and_saveexec_b32 s39, s20
	s_cbranch_execnz .LBB243_58
.LBB243_27:                             ;   in Loop: Header=BB243_3 Depth=1
	s_or_b32 exec_lo, exec_lo, s39
	s_and_saveexec_b32 s39, s21
	s_cbranch_execnz .LBB243_59
.LBB243_28:                             ;   in Loop: Header=BB243_3 Depth=1
	s_or_b32 exec_lo, exec_lo, s39
	s_and_saveexec_b32 s39, s22
	s_cbranch_execnz .LBB243_60
.LBB243_29:                             ;   in Loop: Header=BB243_3 Depth=1
	s_or_b32 exec_lo, exec_lo, s39
	s_and_saveexec_b32 s39, s23
	s_cbranch_execnz .LBB243_61
.LBB243_30:                             ;   in Loop: Header=BB243_3 Depth=1
	s_or_b32 exec_lo, exec_lo, s39
	s_and_saveexec_b32 s39, s24
	s_cbranch_execnz .LBB243_62
.LBB243_31:                             ;   in Loop: Header=BB243_3 Depth=1
	s_or_b32 exec_lo, exec_lo, s39
	s_and_saveexec_b32 s39, s25
	s_cbranch_execnz .LBB243_63
.LBB243_32:                             ;   in Loop: Header=BB243_3 Depth=1
	s_or_b32 exec_lo, exec_lo, s39
	s_and_saveexec_b32 s39, s26
	s_cbranch_execnz .LBB243_64
.LBB243_33:                             ;   in Loop: Header=BB243_3 Depth=1
	s_or_b32 exec_lo, exec_lo, s39
	s_and_saveexec_b32 s39, s27
	s_cbranch_execnz .LBB243_65
.LBB243_34:                             ;   in Loop: Header=BB243_3 Depth=1
	s_or_b32 exec_lo, exec_lo, s39
	s_and_saveexec_b32 s39, s28
	s_cbranch_execnz .LBB243_66
.LBB243_35:                             ;   in Loop: Header=BB243_3 Depth=1
	s_or_b32 exec_lo, exec_lo, s39
	s_and_saveexec_b32 s39, s29
	s_cbranch_execnz .LBB243_67
.LBB243_36:                             ;   in Loop: Header=BB243_3 Depth=1
	s_or_b32 exec_lo, exec_lo, s39
	s_and_saveexec_b32 s39, s30
	s_cbranch_execnz .LBB243_68
.LBB243_37:                             ;   in Loop: Header=BB243_3 Depth=1
	s_or_b32 exec_lo, exec_lo, s39
	s_delay_alu instid0(SALU_CYCLE_1)
	s_and_b32 exec_lo, exec_lo, s31
	s_cbranch_execz .LBB243_2
	s_branch .LBB243_69
.LBB243_38:                             ;   in Loop: Header=BB243_3 Depth=1
	s_delay_alu instid0(VALU_DEP_1) | instskip(NEXT) | instid1(VALU_DEP_1)
	v_add_nc_u32_e32 v36, v10, v11
	v_ashrrev_i32_e32 v37, 31, v36
	v_add_co_u32 v36, s34, s36, v36
	s_delay_alu instid0(VALU_DEP_1)
	v_add_co_ci_u32_e64 v37, s34, s37, v37, s34
	s_waitcnt vmcnt(1)
	global_store_b8 v[36:37], v4, off
	s_or_b32 exec_lo, exec_lo, s39
	s_and_saveexec_b32 s39, s0
	s_cbranch_execz .LBB243_8
.LBB243_39:                             ;   in Loop: Header=BB243_3 Depth=1
	v_add3_u32 v36, v10, v11, 64
	s_waitcnt vmcnt(1)
	v_lshrrev_b32_e32 v38, 8, v4
	s_delay_alu instid0(VALU_DEP_2) | instskip(SKIP_1) | instid1(VALU_DEP_1)
	v_ashrrev_i32_e32 v37, 31, v36
	v_add_co_u32 v36, s34, s36, v36
	v_add_co_ci_u32_e64 v37, s34, s37, v37, s34
	global_store_b8 v[36:37], v38, off
	s_or_b32 exec_lo, exec_lo, s39
	s_and_saveexec_b32 s39, s1
	s_cbranch_execz .LBB243_9
.LBB243_40:                             ;   in Loop: Header=BB243_3 Depth=1
	v_add3_u32 v36, v10, v11, 0x80
	s_delay_alu instid0(VALU_DEP_1) | instskip(SKIP_1) | instid1(VALU_DEP_1)
	v_ashrrev_i32_e32 v37, 31, v36
	v_add_co_u32 v36, s34, s36, v36
	v_add_co_ci_u32_e64 v37, s34, s37, v37, s34
	s_waitcnt vmcnt(1)
	global_store_d16_hi_b8 v[36:37], v4, off
	s_or_b32 exec_lo, exec_lo, s39
	s_and_saveexec_b32 s39, s2
	s_cbranch_execz .LBB243_10
.LBB243_41:                             ;   in Loop: Header=BB243_3 Depth=1
	v_add3_u32 v36, v10, v11, 0xc0
	s_waitcnt vmcnt(1)
	v_lshrrev_b32_e32 v4, 24, v4
	s_delay_alu instid0(VALU_DEP_2) | instskip(SKIP_1) | instid1(VALU_DEP_1)
	v_ashrrev_i32_e32 v37, 31, v36
	v_add_co_u32 v36, s34, s36, v36
	v_add_co_ci_u32_e64 v37, s34, s37, v37, s34
	global_store_b8 v[36:37], v4, off
	s_or_b32 exec_lo, exec_lo, s39
	s_and_saveexec_b32 s39, s3
	s_cbranch_execz .LBB243_11
.LBB243_42:                             ;   in Loop: Header=BB243_3 Depth=1
	s_waitcnt vmcnt(1)
	v_add3_u32 v4, v10, v11, 2
	s_delay_alu instid0(VALU_DEP_1) | instskip(SKIP_1) | instid1(VALU_DEP_1)
	v_ashrrev_i32_e32 v37, 31, v4
	v_add_co_u32 v36, s34, s36, v4
	v_add_co_ci_u32_e64 v37, s34, s37, v37, s34
	global_store_b8 v[36:37], v5, off
	s_or_b32 exec_lo, exec_lo, s39
	s_and_saveexec_b32 s39, s4
	s_cbranch_execz .LBB243_12
.LBB243_43:                             ;   in Loop: Header=BB243_3 Depth=1
	s_waitcnt vmcnt(1)
	v_add3_u32 v4, v10, v11, 0x42
	v_lshrrev_b32_e32 v38, 8, v5
	s_delay_alu instid0(VALU_DEP_2) | instskip(SKIP_1) | instid1(VALU_DEP_1)
	v_ashrrev_i32_e32 v37, 31, v4
	v_add_co_u32 v36, s34, s36, v4
	v_add_co_ci_u32_e64 v37, s34, s37, v37, s34
	global_store_b8 v[36:37], v38, off
	s_or_b32 exec_lo, exec_lo, s39
	s_and_saveexec_b32 s39, s5
	s_cbranch_execz .LBB243_13
.LBB243_44:                             ;   in Loop: Header=BB243_3 Depth=1
	s_waitcnt vmcnt(1)
	v_add3_u32 v4, v10, v11, 0x82
	s_delay_alu instid0(VALU_DEP_1) | instskip(SKIP_1) | instid1(VALU_DEP_1)
	v_ashrrev_i32_e32 v37, 31, v4
	v_add_co_u32 v36, s34, s36, v4
	v_add_co_ci_u32_e64 v37, s34, s37, v37, s34
	global_store_d16_hi_b8 v[36:37], v5, off
	s_or_b32 exec_lo, exec_lo, s39
	s_and_saveexec_b32 s39, s6
	s_cbranch_execz .LBB243_14
.LBB243_45:                             ;   in Loop: Header=BB243_3 Depth=1
	s_waitcnt vmcnt(1)
	v_add3_u32 v4, v10, v11, 0xc2
	v_lshrrev_b32_e32 v37, 24, v5
	s_delay_alu instid0(VALU_DEP_2) | instskip(SKIP_1) | instid1(VALU_DEP_1)
	v_ashrrev_i32_e32 v36, 31, v4
	v_add_co_u32 v4, s34, s36, v4
	v_add_co_ci_u32_e64 v5, s34, s37, v36, s34
	global_store_b8 v[4:5], v37, off
	s_or_b32 exec_lo, exec_lo, s39
	s_and_saveexec_b32 s39, s7
	s_cbranch_execz .LBB243_15
.LBB243_46:                             ;   in Loop: Header=BB243_3 Depth=1
	s_waitcnt vmcnt(1)
	v_add_nc_u32_e32 v4, v10, v12
	s_delay_alu instid0(VALU_DEP_1) | instskip(SKIP_1) | instid1(VALU_DEP_1)
	v_ashrrev_i32_e32 v5, 31, v4
	v_add_co_u32 v4, s34, s36, v4
	v_add_co_ci_u32_e64 v5, s34, s37, v5, s34
	global_store_b8 v[4:5], v6, off
	s_or_b32 exec_lo, exec_lo, s39
	s_and_saveexec_b32 s39, s8
	s_cbranch_execz .LBB243_16
.LBB243_47:                             ;   in Loop: Header=BB243_3 Depth=1
	s_waitcnt vmcnt(1)
	v_add3_u32 v4, v10, v13, 64
	v_lshrrev_b32_e32 v36, 8, v6
	s_delay_alu instid0(VALU_DEP_2) | instskip(SKIP_1) | instid1(VALU_DEP_1)
	v_ashrrev_i32_e32 v5, 31, v4
	v_add_co_u32 v4, s34, s36, v4
	v_add_co_ci_u32_e64 v5, s34, s37, v5, s34
	global_store_b8 v[4:5], v36, off
	s_or_b32 exec_lo, exec_lo, s39
	s_and_saveexec_b32 s39, s9
	s_cbranch_execz .LBB243_17
.LBB243_48:                             ;   in Loop: Header=BB243_3 Depth=1
	s_waitcnt vmcnt(1)
	v_add3_u32 v4, v10, v14, 0x80
	s_delay_alu instid0(VALU_DEP_1) | instskip(SKIP_1) | instid1(VALU_DEP_1)
	v_ashrrev_i32_e32 v5, 31, v4
	v_add_co_u32 v4, s34, s36, v4
	v_add_co_ci_u32_e64 v5, s34, s37, v5, s34
	global_store_d16_hi_b8 v[4:5], v6, off
	s_or_b32 exec_lo, exec_lo, s39
	s_and_saveexec_b32 s39, s10
	s_cbranch_execz .LBB243_18
.LBB243_49:                             ;   in Loop: Header=BB243_3 Depth=1
	s_waitcnt vmcnt(1)
	v_add3_u32 v4, v10, v15, 0xc0
	v_lshrrev_b32_e32 v6, 24, v6
	s_delay_alu instid0(VALU_DEP_2) | instskip(SKIP_1) | instid1(VALU_DEP_1)
	v_ashrrev_i32_e32 v5, 31, v4
	v_add_co_u32 v4, s34, s36, v4
	v_add_co_ci_u32_e64 v5, s34, s37, v5, s34
	global_store_b8 v[4:5], v6, off
	s_or_b32 exec_lo, exec_lo, s39
	s_and_saveexec_b32 s39, s11
	s_cbranch_execz .LBB243_19
.LBB243_50:                             ;   in Loop: Header=BB243_3 Depth=1
	s_waitcnt vmcnt(1)
	v_add3_u32 v4, v10, v16, 2
	s_delay_alu instid0(VALU_DEP_1) | instskip(SKIP_1) | instid1(VALU_DEP_1)
	v_ashrrev_i32_e32 v5, 31, v4
	v_add_co_u32 v4, s34, s36, v4
	v_add_co_ci_u32_e64 v5, s34, s37, v5, s34
	global_store_b8 v[4:5], v7, off
	s_or_b32 exec_lo, exec_lo, s39
	s_and_saveexec_b32 s39, s12
	s_cbranch_execz .LBB243_20
.LBB243_51:                             ;   in Loop: Header=BB243_3 Depth=1
	s_waitcnt vmcnt(1)
	v_add3_u32 v4, v10, v17, 0x42
	v_lshrrev_b32_e32 v6, 8, v7
	s_delay_alu instid0(VALU_DEP_2) | instskip(SKIP_1) | instid1(VALU_DEP_1)
	v_ashrrev_i32_e32 v5, 31, v4
	v_add_co_u32 v4, s34, s36, v4
	v_add_co_ci_u32_e64 v5, s34, s37, v5, s34
	global_store_b8 v[4:5], v6, off
	s_or_b32 exec_lo, exec_lo, s39
	s_and_saveexec_b32 s39, s13
	s_cbranch_execz .LBB243_21
.LBB243_52:                             ;   in Loop: Header=BB243_3 Depth=1
	s_waitcnt vmcnt(1)
	v_add3_u32 v4, v10, v18, 0x82
	s_delay_alu instid0(VALU_DEP_1) | instskip(SKIP_1) | instid1(VALU_DEP_1)
	v_ashrrev_i32_e32 v5, 31, v4
	v_add_co_u32 v4, s34, s36, v4
	v_add_co_ci_u32_e64 v5, s34, s37, v5, s34
	global_store_d16_hi_b8 v[4:5], v7, off
	s_or_b32 exec_lo, exec_lo, s39
	s_and_saveexec_b32 s39, s14
	s_cbranch_execz .LBB243_22
.LBB243_53:                             ;   in Loop: Header=BB243_3 Depth=1
	s_waitcnt vmcnt(1)
	v_add3_u32 v4, v10, v19, 0xc2
	v_lshrrev_b32_e32 v6, 24, v7
	s_delay_alu instid0(VALU_DEP_2) | instskip(SKIP_1) | instid1(VALU_DEP_1)
	v_ashrrev_i32_e32 v5, 31, v4
	v_add_co_u32 v4, s34, s36, v4
	v_add_co_ci_u32_e64 v5, s34, s37, v5, s34
	global_store_b8 v[4:5], v6, off
	s_or_b32 exec_lo, exec_lo, s39
	s_and_saveexec_b32 s39, s16
	s_cbranch_execz .LBB243_23
.LBB243_54:                             ;   in Loop: Header=BB243_3 Depth=1
	s_waitcnt vmcnt(1)
	v_add_nc_u32_e32 v4, v10, v20
	s_delay_alu instid0(VALU_DEP_1) | instskip(SKIP_1) | instid1(VALU_DEP_1)
	v_ashrrev_i32_e32 v5, 31, v4
	v_add_co_u32 v4, s34, s36, v4
	v_add_co_ci_u32_e64 v5, s34, s37, v5, s34
	s_waitcnt vmcnt(0)
	global_store_b8 v[4:5], v0, off
	s_or_b32 exec_lo, exec_lo, s39
	s_and_saveexec_b32 s39, s17
	s_cbranch_execz .LBB243_24
.LBB243_55:                             ;   in Loop: Header=BB243_3 Depth=1
	s_waitcnt vmcnt(1)
	v_add3_u32 v4, v10, v21, 64
	s_waitcnt vmcnt(0)
	v_lshrrev_b32_e32 v6, 8, v0
	s_delay_alu instid0(VALU_DEP_2) | instskip(SKIP_1) | instid1(VALU_DEP_1)
	v_ashrrev_i32_e32 v5, 31, v4
	v_add_co_u32 v4, s34, s36, v4
	v_add_co_ci_u32_e64 v5, s34, s37, v5, s34
	global_store_b8 v[4:5], v6, off
	s_or_b32 exec_lo, exec_lo, s39
	s_and_saveexec_b32 s39, s18
	s_cbranch_execz .LBB243_25
.LBB243_56:                             ;   in Loop: Header=BB243_3 Depth=1
	s_waitcnt vmcnt(1)
	v_add3_u32 v4, v10, v22, 0x80
	s_delay_alu instid0(VALU_DEP_1) | instskip(SKIP_1) | instid1(VALU_DEP_1)
	v_ashrrev_i32_e32 v5, 31, v4
	v_add_co_u32 v4, s34, s36, v4
	v_add_co_ci_u32_e64 v5, s34, s37, v5, s34
	s_waitcnt vmcnt(0)
	global_store_d16_hi_b8 v[4:5], v0, off
	s_or_b32 exec_lo, exec_lo, s39
	s_and_saveexec_b32 s39, s19
	s_cbranch_execz .LBB243_26
.LBB243_57:                             ;   in Loop: Header=BB243_3 Depth=1
	s_waitcnt vmcnt(1)
	v_add3_u32 v4, v10, v23, 0xc0
	s_waitcnt vmcnt(0)
	v_lshrrev_b32_e32 v0, 24, v0
	s_delay_alu instid0(VALU_DEP_2) | instskip(SKIP_1) | instid1(VALU_DEP_1)
	v_ashrrev_i32_e32 v5, 31, v4
	v_add_co_u32 v4, s34, s36, v4
	v_add_co_ci_u32_e64 v5, s34, s37, v5, s34
	global_store_b8 v[4:5], v0, off
	s_or_b32 exec_lo, exec_lo, s39
	s_and_saveexec_b32 s39, s20
	s_cbranch_execz .LBB243_27
.LBB243_58:                             ;   in Loop: Header=BB243_3 Depth=1
	s_waitcnt vmcnt(0)
	v_add3_u32 v0, v10, v24, 2
	s_delay_alu instid0(VALU_DEP_1) | instskip(SKIP_1) | instid1(VALU_DEP_1)
	v_ashrrev_i32_e32 v5, 31, v0
	v_add_co_u32 v4, s34, s36, v0
	v_add_co_ci_u32_e64 v5, s34, s37, v5, s34
	global_store_b8 v[4:5], v1, off
	s_or_b32 exec_lo, exec_lo, s39
	s_and_saveexec_b32 s39, s21
	s_cbranch_execz .LBB243_28
.LBB243_59:                             ;   in Loop: Header=BB243_3 Depth=1
	s_waitcnt vmcnt(0)
	v_add3_u32 v0, v10, v25, 0x42
	v_lshrrev_b32_e32 v6, 8, v1
	s_delay_alu instid0(VALU_DEP_2) | instskip(SKIP_1) | instid1(VALU_DEP_1)
	v_ashrrev_i32_e32 v5, 31, v0
	v_add_co_u32 v4, s34, s36, v0
	v_add_co_ci_u32_e64 v5, s34, s37, v5, s34
	global_store_b8 v[4:5], v6, off
	s_or_b32 exec_lo, exec_lo, s39
	s_and_saveexec_b32 s39, s22
	s_cbranch_execz .LBB243_29
.LBB243_60:                             ;   in Loop: Header=BB243_3 Depth=1
	s_waitcnt vmcnt(0)
	v_add3_u32 v0, v10, v26, 0x82
	s_delay_alu instid0(VALU_DEP_1) | instskip(SKIP_1) | instid1(VALU_DEP_1)
	v_ashrrev_i32_e32 v5, 31, v0
	v_add_co_u32 v4, s34, s36, v0
	v_add_co_ci_u32_e64 v5, s34, s37, v5, s34
	global_store_d16_hi_b8 v[4:5], v1, off
	s_or_b32 exec_lo, exec_lo, s39
	s_and_saveexec_b32 s39, s23
	s_cbranch_execz .LBB243_30
.LBB243_61:                             ;   in Loop: Header=BB243_3 Depth=1
	s_waitcnt vmcnt(0)
	v_add3_u32 v0, v10, v27, 0xc2
	v_lshrrev_b32_e32 v5, 24, v1
	s_delay_alu instid0(VALU_DEP_2) | instskip(SKIP_1) | instid1(VALU_DEP_1)
	v_ashrrev_i32_e32 v4, 31, v0
	v_add_co_u32 v0, s34, s36, v0
	v_add_co_ci_u32_e64 v1, s34, s37, v4, s34
	global_store_b8 v[0:1], v5, off
	s_or_b32 exec_lo, exec_lo, s39
	s_and_saveexec_b32 s39, s24
	s_cbranch_execz .LBB243_31
.LBB243_62:                             ;   in Loop: Header=BB243_3 Depth=1
	s_waitcnt vmcnt(0)
	v_add_nc_u32_e32 v0, v10, v28
	s_delay_alu instid0(VALU_DEP_1) | instskip(SKIP_1) | instid1(VALU_DEP_1)
	v_ashrrev_i32_e32 v1, 31, v0
	v_add_co_u32 v0, s34, s36, v0
	v_add_co_ci_u32_e64 v1, s34, s37, v1, s34
	global_store_b8 v[0:1], v2, off
	s_or_b32 exec_lo, exec_lo, s39
	s_and_saveexec_b32 s39, s25
	s_cbranch_execz .LBB243_32
.LBB243_63:                             ;   in Loop: Header=BB243_3 Depth=1
	s_waitcnt vmcnt(0)
	v_add3_u32 v0, v10, v29, 64
	v_lshrrev_b32_e32 v4, 8, v2
	s_delay_alu instid0(VALU_DEP_2) | instskip(SKIP_1) | instid1(VALU_DEP_1)
	v_ashrrev_i32_e32 v1, 31, v0
	v_add_co_u32 v0, s34, s36, v0
	v_add_co_ci_u32_e64 v1, s34, s37, v1, s34
	global_store_b8 v[0:1], v4, off
	s_or_b32 exec_lo, exec_lo, s39
	s_and_saveexec_b32 s39, s26
	s_cbranch_execz .LBB243_33
.LBB243_64:                             ;   in Loop: Header=BB243_3 Depth=1
	s_waitcnt vmcnt(0)
	v_add3_u32 v0, v10, v30, 0x80
	s_delay_alu instid0(VALU_DEP_1) | instskip(SKIP_1) | instid1(VALU_DEP_1)
	v_ashrrev_i32_e32 v1, 31, v0
	v_add_co_u32 v0, s34, s36, v0
	v_add_co_ci_u32_e64 v1, s34, s37, v1, s34
	global_store_d16_hi_b8 v[0:1], v2, off
	s_or_b32 exec_lo, exec_lo, s39
	s_and_saveexec_b32 s39, s27
	s_cbranch_execz .LBB243_34
.LBB243_65:                             ;   in Loop: Header=BB243_3 Depth=1
	s_waitcnt vmcnt(0)
	v_add3_u32 v0, v10, v31, 0xc0
	v_lshrrev_b32_e32 v2, 24, v2
	s_delay_alu instid0(VALU_DEP_2) | instskip(SKIP_1) | instid1(VALU_DEP_1)
	v_ashrrev_i32_e32 v1, 31, v0
	v_add_co_u32 v0, s34, s36, v0
	v_add_co_ci_u32_e64 v1, s34, s37, v1, s34
	global_store_b8 v[0:1], v2, off
	s_or_b32 exec_lo, exec_lo, s39
	s_and_saveexec_b32 s39, s28
	s_cbranch_execz .LBB243_35
.LBB243_66:                             ;   in Loop: Header=BB243_3 Depth=1
	s_waitcnt vmcnt(0)
	v_add3_u32 v0, v10, v32, 2
	s_delay_alu instid0(VALU_DEP_1) | instskip(SKIP_1) | instid1(VALU_DEP_1)
	v_ashrrev_i32_e32 v1, 31, v0
	v_add_co_u32 v0, s34, s36, v0
	v_add_co_ci_u32_e64 v1, s34, s37, v1, s34
	global_store_b8 v[0:1], v3, off
	s_or_b32 exec_lo, exec_lo, s39
	s_and_saveexec_b32 s39, s29
	s_cbranch_execz .LBB243_36
.LBB243_67:                             ;   in Loop: Header=BB243_3 Depth=1
	s_waitcnt vmcnt(0)
	v_add3_u32 v0, v10, v33, 0x42
	v_lshrrev_b32_e32 v2, 8, v3
	s_delay_alu instid0(VALU_DEP_2) | instskip(SKIP_1) | instid1(VALU_DEP_1)
	v_ashrrev_i32_e32 v1, 31, v0
	v_add_co_u32 v0, s34, s36, v0
	v_add_co_ci_u32_e64 v1, s34, s37, v1, s34
	global_store_b8 v[0:1], v2, off
	s_or_b32 exec_lo, exec_lo, s39
	s_and_saveexec_b32 s39, s30
	s_cbranch_execz .LBB243_37
.LBB243_68:                             ;   in Loop: Header=BB243_3 Depth=1
	s_waitcnt vmcnt(0)
	v_add3_u32 v0, v10, v34, 0x82
	s_delay_alu instid0(VALU_DEP_1) | instskip(SKIP_1) | instid1(VALU_DEP_1)
	v_ashrrev_i32_e32 v1, 31, v0
	v_add_co_u32 v0, s34, s36, v0
	v_add_co_ci_u32_e64 v1, s34, s37, v1, s34
	global_store_d16_hi_b8 v[0:1], v3, off
	s_or_b32 exec_lo, exec_lo, s39
	s_delay_alu instid0(SALU_CYCLE_1)
	s_and_b32 exec_lo, exec_lo, s31
	s_cbranch_execz .LBB243_2
.LBB243_69:                             ;   in Loop: Header=BB243_3 Depth=1
	s_waitcnt vmcnt(0)
	v_add3_u32 v0, v10, v35, 0xc2
	v_lshrrev_b32_e32 v2, 24, v3
	s_delay_alu instid0(VALU_DEP_2) | instskip(SKIP_1) | instid1(VALU_DEP_1)
	v_ashrrev_i32_e32 v1, 31, v0
	v_add_co_u32 v0, s34, s36, v0
	v_add_co_ci_u32_e64 v1, s34, s37, v1, s34
	global_store_b8 v[0:1], v2, off
	s_branch .LBB243_2
.LBB243_70:
	s_nop 0
	s_sendmsg sendmsg(MSG_DEALLOC_VGPRS)
	s_endpgm
	.section	.rodata,"a",@progbits
	.p2align	6, 0x0
	.amdhsa_kernel _ZN5aiter21mxfp4_moe_sort_kernelILi256ELi16ELi32ELi32EEEvPhS1_PKiS3_iiiii
		.amdhsa_group_segment_fixed_size 0
		.amdhsa_private_segment_fixed_size 0
		.amdhsa_kernarg_size 52
		.amdhsa_user_sgpr_count 15
		.amdhsa_user_sgpr_dispatch_ptr 0
		.amdhsa_user_sgpr_queue_ptr 0
		.amdhsa_user_sgpr_kernarg_segment_ptr 1
		.amdhsa_user_sgpr_dispatch_id 0
		.amdhsa_user_sgpr_private_segment_size 0
		.amdhsa_wavefront_size32 1
		.amdhsa_uses_dynamic_stack 0
		.amdhsa_enable_private_segment 0
		.amdhsa_system_sgpr_workgroup_id_x 1
		.amdhsa_system_sgpr_workgroup_id_y 0
		.amdhsa_system_sgpr_workgroup_id_z 0
		.amdhsa_system_sgpr_workgroup_info 0
		.amdhsa_system_vgpr_workitem_id 0
		.amdhsa_next_free_vgpr 39
		.amdhsa_next_free_sgpr 54
		.amdhsa_reserve_vcc 1
		.amdhsa_float_round_mode_32 0
		.amdhsa_float_round_mode_16_64 0
		.amdhsa_float_denorm_mode_32 3
		.amdhsa_float_denorm_mode_16_64 3
		.amdhsa_dx10_clamp 1
		.amdhsa_ieee_mode 1
		.amdhsa_fp16_overflow 0
		.amdhsa_workgroup_processor_mode 1
		.amdhsa_memory_ordered 1
		.amdhsa_forward_progress 0
		.amdhsa_shared_vgpr_count 0
		.amdhsa_exception_fp_ieee_invalid_op 0
		.amdhsa_exception_fp_denorm_src 0
		.amdhsa_exception_fp_ieee_div_zero 0
		.amdhsa_exception_fp_ieee_overflow 0
		.amdhsa_exception_fp_ieee_underflow 0
		.amdhsa_exception_fp_ieee_inexact 0
		.amdhsa_exception_int_div_zero 0
	.end_amdhsa_kernel
	.section	.text._ZN5aiter21mxfp4_moe_sort_kernelILi256ELi16ELi32ELi32EEEvPhS1_PKiS3_iiiii,"axG",@progbits,_ZN5aiter21mxfp4_moe_sort_kernelILi256ELi16ELi32ELi32EEEvPhS1_PKiS3_iiiii,comdat
.Lfunc_end243:
	.size	_ZN5aiter21mxfp4_moe_sort_kernelILi256ELi16ELi32ELi32EEEvPhS1_PKiS3_iiiii, .Lfunc_end243-_ZN5aiter21mxfp4_moe_sort_kernelILi256ELi16ELi32ELi32EEEvPhS1_PKiS3_iiiii
                                        ; -- End function
	.section	.AMDGPU.csdata,"",@progbits
; Kernel info:
; codeLenInByte = 3500
; NumSgprs: 56
; NumVgprs: 39
; ScratchSize: 0
; MemoryBound: 0
; FloatMode: 240
; IeeeMode: 1
; LDSByteSize: 0 bytes/workgroup (compile time only)
; SGPRBlocks: 6
; VGPRBlocks: 4
; NumSGPRsForWavesPerEU: 56
; NumVGPRsForWavesPerEU: 39
; Occupancy: 16
; WaveLimiterHint : 0
; COMPUTE_PGM_RSRC2:SCRATCH_EN: 0
; COMPUTE_PGM_RSRC2:USER_SGPR: 15
; COMPUTE_PGM_RSRC2:TRAP_HANDLER: 0
; COMPUTE_PGM_RSRC2:TGID_X_EN: 1
; COMPUTE_PGM_RSRC2:TGID_Y_EN: 0
; COMPUTE_PGM_RSRC2:TGID_Z_EN: 0
; COMPUTE_PGM_RSRC2:TIDIG_COMP_CNT: 0
	.text
	.p2alignl 7, 3214868480
	.fill 96, 4, 3214868480
	.type	__hip_cuid_634ea28f90099c53,@object ; @__hip_cuid_634ea28f90099c53
	.section	.bss,"aw",@nobits
	.globl	__hip_cuid_634ea28f90099c53
__hip_cuid_634ea28f90099c53:
	.byte	0                               ; 0x0
	.size	__hip_cuid_634ea28f90099c53, 1

	.ident	"AMD clang version 19.0.0git (https://github.com/RadeonOpenCompute/llvm-project roc-6.4.0 25133 c7fe45cf4b819c5991fe208aaa96edf142730f1d)"
	.section	".note.GNU-stack","",@progbits
	.addrsig
	.addrsig_sym __hip_cuid_634ea28f90099c53
	.amdgpu_metadata
---
amdhsa.kernels:
  - .args:           []
    .group_segment_fixed_size: 0
    .kernarg_segment_align: 4
    .kernarg_segment_size: 0
    .language:       OpenCL C
    .language_version:
      - 2
      - 0
    .max_flat_workgroup_size: 1024
    .name:           _ZN7ck_tileL11flush_cacheEv
    .private_segment_fixed_size: 0
    .sgpr_count:     0
    .sgpr_spill_count: 0
    .symbol:         _ZN7ck_tileL11flush_cacheEv.kd
    .uniform_work_group_size: 1
    .uses_dynamic_stack: false
    .vgpr_count:     0
    .vgpr_spill_count: 0
    .wavefront_size: 32
    .workgroup_processor_mode: 1
  - .args:
      - .address_space:  global
        .offset:         0
        .size:           8
        .value_kind:     global_buffer
      - .offset:         8
        .size:           4
        .value_kind:     by_value
      - .offset:         12
        .size:           4
        .value_kind:     by_value
      - .offset:         16
        .size:           4
        .value_kind:     hidden_block_count_x
      - .offset:         20
        .size:           4
        .value_kind:     hidden_block_count_y
      - .offset:         24
        .size:           4
        .value_kind:     hidden_block_count_z
      - .offset:         28
        .size:           2
        .value_kind:     hidden_group_size_x
      - .offset:         30
        .size:           2
        .value_kind:     hidden_group_size_y
      - .offset:         32
        .size:           2
        .value_kind:     hidden_group_size_z
      - .offset:         34
        .size:           2
        .value_kind:     hidden_remainder_x
      - .offset:         36
        .size:           2
        .value_kind:     hidden_remainder_y
      - .offset:         38
        .size:           2
        .value_kind:     hidden_remainder_z
      - .offset:         56
        .size:           8
        .value_kind:     hidden_global_offset_x
      - .offset:         64
        .size:           8
        .value_kind:     hidden_global_offset_y
      - .offset:         72
        .size:           8
        .value_kind:     hidden_global_offset_z
      - .offset:         80
        .size:           2
        .value_kind:     hidden_grid_dims
    .group_segment_fixed_size: 0
    .kernarg_segment_align: 8
    .kernarg_segment_size: 272
    .language:       OpenCL C
    .language_version:
      - 2
      - 0
    .max_flat_workgroup_size: 1024
    .name:           _ZN5aiter15initializeScaleEPfif
    .private_segment_fixed_size: 0
    .sgpr_count:     18
    .sgpr_spill_count: 0
    .symbol:         _ZN5aiter15initializeScaleEPfif.kd
    .uniform_work_group_size: 1
    .uses_dynamic_stack: false
    .vgpr_count:     3
    .vgpr_spill_count: 0
    .wavefront_size: 32
    .workgroup_processor_mode: 1
  - .args:
      - .actual_access:  write_only
        .address_space:  global
        .offset:         0
        .size:           8
        .value_kind:     global_buffer
      - .actual_access:  read_only
        .address_space:  global
        .offset:         8
        .size:           8
        .value_kind:     global_buffer
      - .actual_access:  read_only
        .address_space:  global
        .offset:         16
        .size:           8
        .value_kind:     global_buffer
      - .offset:         24
        .size:           4
        .value_kind:     by_value
    .group_segment_fixed_size: 0
    .kernarg_segment_align: 8
    .kernarg_segment_size: 28
    .language:       OpenCL C
    .language_version:
      - 2
      - 0
    .max_flat_workgroup_size: 1024
    .name:           _ZN5aiter19scaled_quant_kernelIDF16_DB8_EEvPT0_PKT_PKfi
    .private_segment_fixed_size: 0
    .sgpr_count:     18
    .sgpr_spill_count: 0
    .symbol:         _ZN5aiter19scaled_quant_kernelIDF16_DB8_EEvPT0_PKT_PKfi.kd
    .uniform_work_group_size: 1
    .uses_dynamic_stack: false
    .vgpr_count:     32
    .vgpr_spill_count: 0
    .wavefront_size: 32
    .workgroup_processor_mode: 1
  - .args:
      - .actual_access:  write_only
        .address_space:  global
        .offset:         0
        .size:           8
        .value_kind:     global_buffer
      - .actual_access:  read_only
        .address_space:  global
        .offset:         8
        .size:           8
        .value_kind:     global_buffer
      - .actual_access:  read_only
        .address_space:  global
        .offset:         16
        .size:           8
        .value_kind:     global_buffer
      - .offset:         24
        .size:           4
        .value_kind:     by_value
    .group_segment_fixed_size: 0
    .kernarg_segment_align: 8
    .kernarg_segment_size: 28
    .language:       OpenCL C
    .language_version:
      - 2
      - 0
    .max_flat_workgroup_size: 1024
    .name:           _ZN5aiter19scaled_quant_kernelItDB8_EEvPT0_PKT_PKfi
    .private_segment_fixed_size: 0
    .sgpr_count:     18
    .sgpr_spill_count: 0
    .symbol:         _ZN5aiter19scaled_quant_kernelItDB8_EEvPT0_PKT_PKfi.kd
    .uniform_work_group_size: 1
    .uses_dynamic_stack: false
    .vgpr_count:     32
    .vgpr_spill_count: 0
    .wavefront_size: 32
    .workgroup_processor_mode: 1
  - .args:
      - .actual_access:  write_only
        .address_space:  global
        .offset:         0
        .size:           8
        .value_kind:     global_buffer
      - .actual_access:  read_only
        .address_space:  global
        .offset:         8
        .size:           8
        .value_kind:     global_buffer
      - .actual_access:  read_only
        .address_space:  global
        .offset:         16
        .size:           8
        .value_kind:     global_buffer
      - .offset:         24
        .size:           4
        .value_kind:     by_value
    .group_segment_fixed_size: 0
    .kernarg_segment_align: 8
    .kernarg_segment_size: 28
    .language:       OpenCL C
    .language_version:
      - 2
      - 0
    .max_flat_workgroup_size: 1024
    .name:           _ZN5aiter19scaled_quant_kernelIDF16_aEEvPT0_PKT_PKfi
    .private_segment_fixed_size: 0
    .sgpr_count:     18
    .sgpr_spill_count: 0
    .symbol:         _ZN5aiter19scaled_quant_kernelIDF16_aEEvPT0_PKT_PKfi.kd
    .uniform_work_group_size: 1
    .uses_dynamic_stack: false
    .vgpr_count:     29
    .vgpr_spill_count: 0
    .wavefront_size: 32
    .workgroup_processor_mode: 1
  - .args:
      - .actual_access:  write_only
        .address_space:  global
        .offset:         0
        .size:           8
        .value_kind:     global_buffer
      - .actual_access:  read_only
        .address_space:  global
        .offset:         8
        .size:           8
        .value_kind:     global_buffer
      - .actual_access:  read_only
        .address_space:  global
        .offset:         16
        .size:           8
        .value_kind:     global_buffer
      - .offset:         24
        .size:           4
        .value_kind:     by_value
    .group_segment_fixed_size: 0
    .kernarg_segment_align: 8
    .kernarg_segment_size: 28
    .language:       OpenCL C
    .language_version:
      - 2
      - 0
    .max_flat_workgroup_size: 1024
    .name:           _ZN5aiter19scaled_quant_kernelItaEEvPT0_PKT_PKfi
    .private_segment_fixed_size: 0
    .sgpr_count:     18
    .sgpr_spill_count: 0
    .symbol:         _ZN5aiter19scaled_quant_kernelItaEEvPT0_PKT_PKfi.kd
    .uniform_work_group_size: 1
    .uses_dynamic_stack: false
    .vgpr_count:     29
    .vgpr_spill_count: 0
    .wavefront_size: 32
    .workgroup_processor_mode: 1
  - .args:
      - .address_space:  global
        .offset:         0
        .size:           8
        .value_kind:     global_buffer
      - .actual_access:  read_only
        .address_space:  global
        .offset:         8
        .size:           8
        .value_kind:     global_buffer
      - .offset:         16
        .size:           4
        .value_kind:     by_value
    .group_segment_fixed_size: 32
    .kernarg_segment_align: 8
    .kernarg_segment_size: 20
    .language:       OpenCL C
    .language_version:
      - 2
      - 0
    .max_flat_workgroup_size: 1024
    .name:           _ZN5aiter20data_to_scale_kernelIDF16_DB8_EEvPfPKT_i
    .private_segment_fixed_size: 0
    .sgpr_count:     18
    .sgpr_spill_count: 0
    .symbol:         _ZN5aiter20data_to_scale_kernelIDF16_DB8_EEvPfPKT_i.kd
    .uniform_work_group_size: 1
    .uses_dynamic_stack: false
    .vgpr_count:     25
    .vgpr_spill_count: 0
    .wavefront_size: 32
    .workgroup_processor_mode: 1
  - .args:
      - .address_space:  global
        .offset:         0
        .size:           8
        .value_kind:     global_buffer
      - .actual_access:  read_only
        .address_space:  global
        .offset:         8
        .size:           8
        .value_kind:     global_buffer
      - .offset:         16
        .size:           4
        .value_kind:     by_value
    .group_segment_fixed_size: 32
    .kernarg_segment_align: 8
    .kernarg_segment_size: 20
    .language:       OpenCL C
    .language_version:
      - 2
      - 0
    .max_flat_workgroup_size: 1024
    .name:           _ZN5aiter20data_to_scale_kernelItDB8_EEvPfPKT_i
    .private_segment_fixed_size: 0
    .sgpr_count:     18
    .sgpr_spill_count: 0
    .symbol:         _ZN5aiter20data_to_scale_kernelItDB8_EEvPfPKT_i.kd
    .uniform_work_group_size: 1
    .uses_dynamic_stack: false
    .vgpr_count:     27
    .vgpr_spill_count: 0
    .wavefront_size: 32
    .workgroup_processor_mode: 1
  - .args:
      - .address_space:  global
        .offset:         0
        .size:           8
        .value_kind:     global_buffer
      - .actual_access:  read_only
        .address_space:  global
        .offset:         8
        .size:           8
        .value_kind:     global_buffer
      - .offset:         16
        .size:           4
        .value_kind:     by_value
    .group_segment_fixed_size: 32
    .kernarg_segment_align: 8
    .kernarg_segment_size: 20
    .language:       OpenCL C
    .language_version:
      - 2
      - 0
    .max_flat_workgroup_size: 1024
    .name:           _ZN5aiter20data_to_scale_kernelIDF16_aEEvPfPKT_i
    .private_segment_fixed_size: 0
    .sgpr_count:     18
    .sgpr_spill_count: 0
    .symbol:         _ZN5aiter20data_to_scale_kernelIDF16_aEEvPfPKT_i.kd
    .uniform_work_group_size: 1
    .uses_dynamic_stack: false
    .vgpr_count:     25
    .vgpr_spill_count: 0
    .wavefront_size: 32
    .workgroup_processor_mode: 1
  - .args:
      - .address_space:  global
        .offset:         0
        .size:           8
        .value_kind:     global_buffer
      - .actual_access:  read_only
        .address_space:  global
        .offset:         8
        .size:           8
        .value_kind:     global_buffer
      - .offset:         16
        .size:           4
        .value_kind:     by_value
    .group_segment_fixed_size: 32
    .kernarg_segment_align: 8
    .kernarg_segment_size: 20
    .language:       OpenCL C
    .language_version:
      - 2
      - 0
    .max_flat_workgroup_size: 1024
    .name:           _ZN5aiter20data_to_scale_kernelItaEEvPfPKT_i
    .private_segment_fixed_size: 0
    .sgpr_count:     18
    .sgpr_spill_count: 0
    .symbol:         _ZN5aiter20data_to_scale_kernelItaEEvPfPKT_i.kd
    .uniform_work_group_size: 1
    .uses_dynamic_stack: false
    .vgpr_count:     27
    .vgpr_spill_count: 0
    .wavefront_size: 32
    .workgroup_processor_mode: 1
  - .args:
      - .actual_access:  write_only
        .address_space:  global
        .offset:         0
        .size:           8
        .value_kind:     global_buffer
      - .actual_access:  write_only
        .address_space:  global
        .offset:         8
        .size:           8
        .value_kind:     global_buffer
      - .actual_access:  read_only
        .address_space:  global
        .offset:         16
        .size:           8
        .value_kind:     global_buffer
      - .actual_access:  read_only
        .address_space:  global
        .offset:         24
        .size:           8
        .value_kind:     global_buffer
      - .offset:         32
        .size:           8
        .value_kind:     by_value
      - .offset:         40
        .size:           4
        .value_kind:     by_value
      - .offset:         44
        .size:           4
        .value_kind:     by_value
      - .offset:         48
        .size:           8
        .value_kind:     by_value
      - .actual_access:  read_only
        .address_space:  global
        .offset:         56
        .size:           8
        .value_kind:     global_buffer
      - .offset:         64
        .size:           4
        .value_kind:     by_value
    .group_segment_fixed_size: 0
    .kernarg_segment_align: 8
    .kernarg_segment_size: 68
    .language:       OpenCL C
    .language_version:
      - 2
      - 0
    .max_flat_workgroup_size: 64
    .name:           _ZN5aiter37dynamic_per_group_scaled_quant_kernelIDF16_DB8_Li32ELi32ELb1ELi64ELb0EEEvPT0_PfPKT_PKfliilPKii
    .private_segment_fixed_size: 0
    .sgpr_count:     18
    .sgpr_spill_count: 0
    .symbol:         _ZN5aiter37dynamic_per_group_scaled_quant_kernelIDF16_DB8_Li32ELi32ELb1ELi64ELb0EEEvPT0_PfPKT_PKfliilPKii.kd
    .uniform_work_group_size: 1
    .uses_dynamic_stack: false
    .vgpr_count:     44
    .vgpr_spill_count: 0
    .wavefront_size: 32
    .workgroup_processor_mode: 1
  - .args:
      - .actual_access:  write_only
        .address_space:  global
        .offset:         0
        .size:           8
        .value_kind:     global_buffer
      - .actual_access:  write_only
        .address_space:  global
        .offset:         8
        .size:           8
        .value_kind:     global_buffer
      - .actual_access:  read_only
        .address_space:  global
        .offset:         16
        .size:           8
        .value_kind:     global_buffer
      - .actual_access:  read_only
        .address_space:  global
        .offset:         24
        .size:           8
        .value_kind:     global_buffer
      - .offset:         32
        .size:           8
        .value_kind:     by_value
      - .offset:         40
        .size:           4
        .value_kind:     by_value
      - .offset:         44
        .size:           4
        .value_kind:     by_value
      - .offset:         48
        .size:           8
        .value_kind:     by_value
      - .actual_access:  read_only
        .address_space:  global
        .offset:         56
        .size:           8
        .value_kind:     global_buffer
      - .offset:         64
        .size:           4
        .value_kind:     by_value
    .group_segment_fixed_size: 0
    .kernarg_segment_align: 8
    .kernarg_segment_size: 68
    .language:       OpenCL C
    .language_version:
      - 2
      - 0
    .max_flat_workgroup_size: 64
    .name:           _ZN5aiter37dynamic_per_group_scaled_quant_kernelItDB8_Li32ELi32ELb1ELi64ELb0EEEvPT0_PfPKT_PKfliilPKii
    .private_segment_fixed_size: 0
    .sgpr_count:     18
    .sgpr_spill_count: 0
    .symbol:         _ZN5aiter37dynamic_per_group_scaled_quant_kernelItDB8_Li32ELi32ELb1ELi64ELb0EEEvPT0_PfPKT_PKfliilPKii.kd
    .uniform_work_group_size: 1
    .uses_dynamic_stack: false
    .vgpr_count:     45
    .vgpr_spill_count: 0
    .wavefront_size: 32
    .workgroup_processor_mode: 1
  - .args:
      - .actual_access:  write_only
        .address_space:  global
        .offset:         0
        .size:           8
        .value_kind:     global_buffer
      - .actual_access:  write_only
        .address_space:  global
        .offset:         8
        .size:           8
        .value_kind:     global_buffer
      - .actual_access:  read_only
        .address_space:  global
        .offset:         16
        .size:           8
        .value_kind:     global_buffer
      - .actual_access:  read_only
        .address_space:  global
        .offset:         24
        .size:           8
        .value_kind:     global_buffer
      - .offset:         32
        .size:           8
        .value_kind:     by_value
      - .offset:         40
        .size:           4
        .value_kind:     by_value
      - .offset:         44
        .size:           4
        .value_kind:     by_value
      - .offset:         48
        .size:           8
        .value_kind:     by_value
      - .actual_access:  read_only
        .address_space:  global
        .offset:         56
        .size:           8
        .value_kind:     global_buffer
      - .offset:         64
        .size:           4
        .value_kind:     by_value
    .group_segment_fixed_size: 0
    .kernarg_segment_align: 8
    .kernarg_segment_size: 68
    .language:       OpenCL C
    .language_version:
      - 2
      - 0
    .max_flat_workgroup_size: 64
    .name:           _ZN5aiter37dynamic_per_group_scaled_quant_kernelIDF16_aLi32ELi32ELb1ELi64ELb0EEEvPT0_PfPKT_PKfliilPKii
    .private_segment_fixed_size: 0
    .sgpr_count:     18
    .sgpr_spill_count: 0
    .symbol:         _ZN5aiter37dynamic_per_group_scaled_quant_kernelIDF16_aLi32ELi32ELb1ELi64ELb0EEEvPT0_PfPKT_PKfliilPKii.kd
    .uniform_work_group_size: 1
    .uses_dynamic_stack: false
    .vgpr_count:     44
    .vgpr_spill_count: 0
    .wavefront_size: 32
    .workgroup_processor_mode: 1
  - .args:
      - .actual_access:  write_only
        .address_space:  global
        .offset:         0
        .size:           8
        .value_kind:     global_buffer
      - .actual_access:  write_only
        .address_space:  global
        .offset:         8
        .size:           8
        .value_kind:     global_buffer
      - .actual_access:  read_only
        .address_space:  global
        .offset:         16
        .size:           8
        .value_kind:     global_buffer
      - .actual_access:  read_only
        .address_space:  global
        .offset:         24
        .size:           8
        .value_kind:     global_buffer
      - .offset:         32
        .size:           8
        .value_kind:     by_value
      - .offset:         40
        .size:           4
        .value_kind:     by_value
      - .offset:         44
        .size:           4
        .value_kind:     by_value
      - .offset:         48
        .size:           8
        .value_kind:     by_value
      - .actual_access:  read_only
        .address_space:  global
        .offset:         56
        .size:           8
        .value_kind:     global_buffer
      - .offset:         64
        .size:           4
        .value_kind:     by_value
    .group_segment_fixed_size: 0
    .kernarg_segment_align: 8
    .kernarg_segment_size: 68
    .language:       OpenCL C
    .language_version:
      - 2
      - 0
    .max_flat_workgroup_size: 64
    .name:           _ZN5aiter37dynamic_per_group_scaled_quant_kernelItaLi32ELi32ELb1ELi64ELb0EEEvPT0_PfPKT_PKfliilPKii
    .private_segment_fixed_size: 0
    .sgpr_count:     18
    .sgpr_spill_count: 0
    .symbol:         _ZN5aiter37dynamic_per_group_scaled_quant_kernelItaLi32ELi32ELb1ELi64ELb0EEEvPT0_PfPKT_PKfliilPKii.kd
    .uniform_work_group_size: 1
    .uses_dynamic_stack: false
    .vgpr_count:     45
    .vgpr_spill_count: 0
    .wavefront_size: 32
    .workgroup_processor_mode: 1
  - .args:
      - .actual_access:  write_only
        .address_space:  global
        .offset:         0
        .size:           8
        .value_kind:     global_buffer
      - .actual_access:  write_only
        .address_space:  global
        .offset:         8
        .size:           8
        .value_kind:     global_buffer
      - .actual_access:  read_only
        .address_space:  global
        .offset:         16
        .size:           8
        .value_kind:     global_buffer
      - .actual_access:  read_only
        .address_space:  global
        .offset:         24
        .size:           8
        .value_kind:     global_buffer
      - .offset:         32
        .size:           8
        .value_kind:     by_value
      - .offset:         40
        .size:           4
        .value_kind:     by_value
      - .offset:         44
        .size:           4
        .value_kind:     by_value
      - .offset:         48
        .size:           8
        .value_kind:     by_value
      - .actual_access:  read_only
        .address_space:  global
        .offset:         56
        .size:           8
        .value_kind:     global_buffer
      - .offset:         64
        .size:           4
        .value_kind:     by_value
    .group_segment_fixed_size: 0
    .kernarg_segment_align: 8
    .kernarg_segment_size: 68
    .language:       OpenCL C
    .language_version:
      - 2
      - 0
    .max_flat_workgroup_size: 64
    .name:           _ZN5aiter37dynamic_per_group_scaled_quant_kernelIDF16_DB8_Li32ELi32ELb0ELi64ELb0EEEvPT0_PfPKT_PKfliilPKii
    .private_segment_fixed_size: 0
    .sgpr_count:     18
    .sgpr_spill_count: 0
    .symbol:         _ZN5aiter37dynamic_per_group_scaled_quant_kernelIDF16_DB8_Li32ELi32ELb0ELi64ELb0EEEvPT0_PfPKT_PKfliilPKii.kd
    .uniform_work_group_size: 1
    .uses_dynamic_stack: false
    .vgpr_count:     43
    .vgpr_spill_count: 0
    .wavefront_size: 32
    .workgroup_processor_mode: 1
  - .args:
      - .actual_access:  write_only
        .address_space:  global
        .offset:         0
        .size:           8
        .value_kind:     global_buffer
      - .actual_access:  write_only
        .address_space:  global
        .offset:         8
        .size:           8
        .value_kind:     global_buffer
      - .actual_access:  read_only
        .address_space:  global
        .offset:         16
        .size:           8
        .value_kind:     global_buffer
      - .actual_access:  read_only
        .address_space:  global
        .offset:         24
        .size:           8
        .value_kind:     global_buffer
      - .offset:         32
        .size:           8
        .value_kind:     by_value
      - .offset:         40
        .size:           4
        .value_kind:     by_value
      - .offset:         44
        .size:           4
        .value_kind:     by_value
      - .offset:         48
        .size:           8
        .value_kind:     by_value
      - .actual_access:  read_only
        .address_space:  global
        .offset:         56
        .size:           8
        .value_kind:     global_buffer
      - .offset:         64
        .size:           4
        .value_kind:     by_value
    .group_segment_fixed_size: 0
    .kernarg_segment_align: 8
    .kernarg_segment_size: 68
    .language:       OpenCL C
    .language_version:
      - 2
      - 0
    .max_flat_workgroup_size: 64
    .name:           _ZN5aiter37dynamic_per_group_scaled_quant_kernelItDB8_Li32ELi32ELb0ELi64ELb0EEEvPT0_PfPKT_PKfliilPKii
    .private_segment_fixed_size: 0
    .sgpr_count:     18
    .sgpr_spill_count: 0
    .symbol:         _ZN5aiter37dynamic_per_group_scaled_quant_kernelItDB8_Li32ELi32ELb0ELi64ELb0EEEvPT0_PfPKT_PKfliilPKii.kd
    .uniform_work_group_size: 1
    .uses_dynamic_stack: false
    .vgpr_count:     41
    .vgpr_spill_count: 0
    .wavefront_size: 32
    .workgroup_processor_mode: 1
  - .args:
      - .actual_access:  write_only
        .address_space:  global
        .offset:         0
        .size:           8
        .value_kind:     global_buffer
      - .actual_access:  write_only
        .address_space:  global
        .offset:         8
        .size:           8
        .value_kind:     global_buffer
      - .actual_access:  read_only
        .address_space:  global
        .offset:         16
        .size:           8
        .value_kind:     global_buffer
      - .actual_access:  read_only
        .address_space:  global
        .offset:         24
        .size:           8
        .value_kind:     global_buffer
      - .offset:         32
        .size:           8
        .value_kind:     by_value
      - .offset:         40
        .size:           4
        .value_kind:     by_value
      - .offset:         44
        .size:           4
        .value_kind:     by_value
      - .offset:         48
        .size:           8
        .value_kind:     by_value
      - .actual_access:  read_only
        .address_space:  global
        .offset:         56
        .size:           8
        .value_kind:     global_buffer
      - .offset:         64
        .size:           4
        .value_kind:     by_value
    .group_segment_fixed_size: 0
    .kernarg_segment_align: 8
    .kernarg_segment_size: 68
    .language:       OpenCL C
    .language_version:
      - 2
      - 0
    .max_flat_workgroup_size: 64
    .name:           _ZN5aiter37dynamic_per_group_scaled_quant_kernelIDF16_aLi32ELi32ELb0ELi64ELb0EEEvPT0_PfPKT_PKfliilPKii
    .private_segment_fixed_size: 0
    .sgpr_count:     18
    .sgpr_spill_count: 0
    .symbol:         _ZN5aiter37dynamic_per_group_scaled_quant_kernelIDF16_aLi32ELi32ELb0ELi64ELb0EEEvPT0_PfPKT_PKfliilPKii.kd
    .uniform_work_group_size: 1
    .uses_dynamic_stack: false
    .vgpr_count:     41
    .vgpr_spill_count: 0
    .wavefront_size: 32
    .workgroup_processor_mode: 1
  - .args:
      - .actual_access:  write_only
        .address_space:  global
        .offset:         0
        .size:           8
        .value_kind:     global_buffer
      - .actual_access:  write_only
        .address_space:  global
        .offset:         8
        .size:           8
        .value_kind:     global_buffer
      - .actual_access:  read_only
        .address_space:  global
        .offset:         16
        .size:           8
        .value_kind:     global_buffer
      - .actual_access:  read_only
        .address_space:  global
        .offset:         24
        .size:           8
        .value_kind:     global_buffer
      - .offset:         32
        .size:           8
        .value_kind:     by_value
      - .offset:         40
        .size:           4
        .value_kind:     by_value
      - .offset:         44
        .size:           4
        .value_kind:     by_value
      - .offset:         48
        .size:           8
        .value_kind:     by_value
      - .actual_access:  read_only
        .address_space:  global
        .offset:         56
        .size:           8
        .value_kind:     global_buffer
      - .offset:         64
        .size:           4
        .value_kind:     by_value
    .group_segment_fixed_size: 0
    .kernarg_segment_align: 8
    .kernarg_segment_size: 68
    .language:       OpenCL C
    .language_version:
      - 2
      - 0
    .max_flat_workgroup_size: 64
    .name:           _ZN5aiter37dynamic_per_group_scaled_quant_kernelItaLi32ELi32ELb0ELi64ELb0EEEvPT0_PfPKT_PKfliilPKii
    .private_segment_fixed_size: 0
    .sgpr_count:     18
    .sgpr_spill_count: 0
    .symbol:         _ZN5aiter37dynamic_per_group_scaled_quant_kernelItaLi32ELi32ELb0ELi64ELb0EEEvPT0_PfPKT_PKfliilPKii.kd
    .uniform_work_group_size: 1
    .uses_dynamic_stack: false
    .vgpr_count:     40
    .vgpr_spill_count: 0
    .wavefront_size: 32
    .workgroup_processor_mode: 1
  - .args:
      - .actual_access:  write_only
        .address_space:  global
        .offset:         0
        .size:           8
        .value_kind:     global_buffer
      - .actual_access:  write_only
        .address_space:  global
        .offset:         8
        .size:           8
        .value_kind:     global_buffer
      - .actual_access:  read_only
        .address_space:  global
        .offset:         16
        .size:           8
        .value_kind:     global_buffer
      - .actual_access:  read_only
        .address_space:  global
        .offset:         24
        .size:           8
        .value_kind:     global_buffer
      - .offset:         32
        .size:           8
        .value_kind:     by_value
      - .offset:         40
        .size:           4
        .value_kind:     by_value
      - .offset:         44
        .size:           4
        .value_kind:     by_value
      - .offset:         48
        .size:           8
        .value_kind:     by_value
      - .actual_access:  read_only
        .address_space:  global
        .offset:         56
        .size:           8
        .value_kind:     global_buffer
      - .offset:         64
        .size:           4
        .value_kind:     by_value
    .group_segment_fixed_size: 0
    .kernarg_segment_align: 8
    .kernarg_segment_size: 68
    .language:       OpenCL C
    .language_version:
      - 2
      - 0
    .max_flat_workgroup_size: 64
    .name:           _ZN5aiter37dynamic_per_group_scaled_quant_kernelIDF16_DB8_Li32ELi64ELb1ELi64ELb0EEEvPT0_PfPKT_PKfliilPKii
    .private_segment_fixed_size: 0
    .sgpr_count:     18
    .sgpr_spill_count: 0
    .symbol:         _ZN5aiter37dynamic_per_group_scaled_quant_kernelIDF16_DB8_Li32ELi64ELb1ELi64ELb0EEEvPT0_PfPKT_PKfliilPKii.kd
    .uniform_work_group_size: 1
    .uses_dynamic_stack: false
    .vgpr_count:     44
    .vgpr_spill_count: 0
    .wavefront_size: 32
    .workgroup_processor_mode: 1
  - .args:
      - .actual_access:  write_only
        .address_space:  global
        .offset:         0
        .size:           8
        .value_kind:     global_buffer
      - .actual_access:  write_only
        .address_space:  global
        .offset:         8
        .size:           8
        .value_kind:     global_buffer
      - .actual_access:  read_only
        .address_space:  global
        .offset:         16
        .size:           8
        .value_kind:     global_buffer
      - .actual_access:  read_only
        .address_space:  global
        .offset:         24
        .size:           8
        .value_kind:     global_buffer
      - .offset:         32
        .size:           8
        .value_kind:     by_value
      - .offset:         40
        .size:           4
        .value_kind:     by_value
      - .offset:         44
        .size:           4
        .value_kind:     by_value
      - .offset:         48
        .size:           8
        .value_kind:     by_value
      - .actual_access:  read_only
        .address_space:  global
        .offset:         56
        .size:           8
        .value_kind:     global_buffer
      - .offset:         64
        .size:           4
        .value_kind:     by_value
    .group_segment_fixed_size: 0
    .kernarg_segment_align: 8
    .kernarg_segment_size: 68
    .language:       OpenCL C
    .language_version:
      - 2
      - 0
    .max_flat_workgroup_size: 64
    .name:           _ZN5aiter37dynamic_per_group_scaled_quant_kernelItDB8_Li32ELi64ELb1ELi64ELb0EEEvPT0_PfPKT_PKfliilPKii
    .private_segment_fixed_size: 0
    .sgpr_count:     18
    .sgpr_spill_count: 0
    .symbol:         _ZN5aiter37dynamic_per_group_scaled_quant_kernelItDB8_Li32ELi64ELb1ELi64ELb0EEEvPT0_PfPKT_PKfliilPKii.kd
    .uniform_work_group_size: 1
    .uses_dynamic_stack: false
    .vgpr_count:     43
    .vgpr_spill_count: 0
    .wavefront_size: 32
    .workgroup_processor_mode: 1
  - .args:
      - .actual_access:  write_only
        .address_space:  global
        .offset:         0
        .size:           8
        .value_kind:     global_buffer
      - .actual_access:  write_only
        .address_space:  global
        .offset:         8
        .size:           8
        .value_kind:     global_buffer
      - .actual_access:  read_only
        .address_space:  global
        .offset:         16
        .size:           8
        .value_kind:     global_buffer
      - .actual_access:  read_only
        .address_space:  global
        .offset:         24
        .size:           8
        .value_kind:     global_buffer
      - .offset:         32
        .size:           8
        .value_kind:     by_value
      - .offset:         40
        .size:           4
        .value_kind:     by_value
      - .offset:         44
        .size:           4
        .value_kind:     by_value
      - .offset:         48
        .size:           8
        .value_kind:     by_value
      - .actual_access:  read_only
        .address_space:  global
        .offset:         56
        .size:           8
        .value_kind:     global_buffer
      - .offset:         64
        .size:           4
        .value_kind:     by_value
    .group_segment_fixed_size: 0
    .kernarg_segment_align: 8
    .kernarg_segment_size: 68
    .language:       OpenCL C
    .language_version:
      - 2
      - 0
    .max_flat_workgroup_size: 64
    .name:           _ZN5aiter37dynamic_per_group_scaled_quant_kernelIDF16_aLi32ELi64ELb1ELi64ELb0EEEvPT0_PfPKT_PKfliilPKii
    .private_segment_fixed_size: 0
    .sgpr_count:     18
    .sgpr_spill_count: 0
    .symbol:         _ZN5aiter37dynamic_per_group_scaled_quant_kernelIDF16_aLi32ELi64ELb1ELi64ELb0EEEvPT0_PfPKT_PKfliilPKii.kd
    .uniform_work_group_size: 1
    .uses_dynamic_stack: false
    .vgpr_count:     44
    .vgpr_spill_count: 0
    .wavefront_size: 32
    .workgroup_processor_mode: 1
  - .args:
      - .actual_access:  write_only
        .address_space:  global
        .offset:         0
        .size:           8
        .value_kind:     global_buffer
      - .actual_access:  write_only
        .address_space:  global
        .offset:         8
        .size:           8
        .value_kind:     global_buffer
      - .actual_access:  read_only
        .address_space:  global
        .offset:         16
        .size:           8
        .value_kind:     global_buffer
      - .actual_access:  read_only
        .address_space:  global
        .offset:         24
        .size:           8
        .value_kind:     global_buffer
      - .offset:         32
        .size:           8
        .value_kind:     by_value
      - .offset:         40
        .size:           4
        .value_kind:     by_value
      - .offset:         44
        .size:           4
        .value_kind:     by_value
      - .offset:         48
        .size:           8
        .value_kind:     by_value
      - .actual_access:  read_only
        .address_space:  global
        .offset:         56
        .size:           8
        .value_kind:     global_buffer
      - .offset:         64
        .size:           4
        .value_kind:     by_value
    .group_segment_fixed_size: 0
    .kernarg_segment_align: 8
    .kernarg_segment_size: 68
    .language:       OpenCL C
    .language_version:
      - 2
      - 0
    .max_flat_workgroup_size: 64
    .name:           _ZN5aiter37dynamic_per_group_scaled_quant_kernelItaLi32ELi64ELb1ELi64ELb0EEEvPT0_PfPKT_PKfliilPKii
    .private_segment_fixed_size: 0
    .sgpr_count:     18
    .sgpr_spill_count: 0
    .symbol:         _ZN5aiter37dynamic_per_group_scaled_quant_kernelItaLi32ELi64ELb1ELi64ELb0EEEvPT0_PfPKT_PKfliilPKii.kd
    .uniform_work_group_size: 1
    .uses_dynamic_stack: false
    .vgpr_count:     43
    .vgpr_spill_count: 0
    .wavefront_size: 32
    .workgroup_processor_mode: 1
  - .args:
      - .actual_access:  write_only
        .address_space:  global
        .offset:         0
        .size:           8
        .value_kind:     global_buffer
      - .actual_access:  write_only
        .address_space:  global
        .offset:         8
        .size:           8
        .value_kind:     global_buffer
      - .actual_access:  read_only
        .address_space:  global
        .offset:         16
        .size:           8
        .value_kind:     global_buffer
      - .actual_access:  read_only
        .address_space:  global
        .offset:         24
        .size:           8
        .value_kind:     global_buffer
      - .offset:         32
        .size:           8
        .value_kind:     by_value
      - .offset:         40
        .size:           4
        .value_kind:     by_value
      - .offset:         44
        .size:           4
        .value_kind:     by_value
      - .offset:         48
        .size:           8
        .value_kind:     by_value
      - .actual_access:  read_only
        .address_space:  global
        .offset:         56
        .size:           8
        .value_kind:     global_buffer
      - .offset:         64
        .size:           4
        .value_kind:     by_value
    .group_segment_fixed_size: 0
    .kernarg_segment_align: 8
    .kernarg_segment_size: 68
    .language:       OpenCL C
    .language_version:
      - 2
      - 0
    .max_flat_workgroup_size: 64
    .name:           _ZN5aiter37dynamic_per_group_scaled_quant_kernelIDF16_DB8_Li32ELi64ELb0ELi64ELb0EEEvPT0_PfPKT_PKfliilPKii
    .private_segment_fixed_size: 0
    .sgpr_count:     18
    .sgpr_spill_count: 0
    .symbol:         _ZN5aiter37dynamic_per_group_scaled_quant_kernelIDF16_DB8_Li32ELi64ELb0ELi64ELb0EEEvPT0_PfPKT_PKfliilPKii.kd
    .uniform_work_group_size: 1
    .uses_dynamic_stack: false
    .vgpr_count:     41
    .vgpr_spill_count: 0
    .wavefront_size: 32
    .workgroup_processor_mode: 1
  - .args:
      - .actual_access:  write_only
        .address_space:  global
        .offset:         0
        .size:           8
        .value_kind:     global_buffer
      - .actual_access:  write_only
        .address_space:  global
        .offset:         8
        .size:           8
        .value_kind:     global_buffer
      - .actual_access:  read_only
        .address_space:  global
        .offset:         16
        .size:           8
        .value_kind:     global_buffer
      - .actual_access:  read_only
        .address_space:  global
        .offset:         24
        .size:           8
        .value_kind:     global_buffer
      - .offset:         32
        .size:           8
        .value_kind:     by_value
      - .offset:         40
        .size:           4
        .value_kind:     by_value
      - .offset:         44
        .size:           4
        .value_kind:     by_value
      - .offset:         48
        .size:           8
        .value_kind:     by_value
      - .actual_access:  read_only
        .address_space:  global
        .offset:         56
        .size:           8
        .value_kind:     global_buffer
      - .offset:         64
        .size:           4
        .value_kind:     by_value
    .group_segment_fixed_size: 0
    .kernarg_segment_align: 8
    .kernarg_segment_size: 68
    .language:       OpenCL C
    .language_version:
      - 2
      - 0
    .max_flat_workgroup_size: 64
    .name:           _ZN5aiter37dynamic_per_group_scaled_quant_kernelItDB8_Li32ELi64ELb0ELi64ELb0EEEvPT0_PfPKT_PKfliilPKii
    .private_segment_fixed_size: 0
    .sgpr_count:     18
    .sgpr_spill_count: 0
    .symbol:         _ZN5aiter37dynamic_per_group_scaled_quant_kernelItDB8_Li32ELi64ELb0ELi64ELb0EEEvPT0_PfPKT_PKfliilPKii.kd
    .uniform_work_group_size: 1
    .uses_dynamic_stack: false
    .vgpr_count:     40
    .vgpr_spill_count: 0
    .wavefront_size: 32
    .workgroup_processor_mode: 1
  - .args:
      - .actual_access:  write_only
        .address_space:  global
        .offset:         0
        .size:           8
        .value_kind:     global_buffer
      - .actual_access:  write_only
        .address_space:  global
        .offset:         8
        .size:           8
        .value_kind:     global_buffer
      - .actual_access:  read_only
        .address_space:  global
        .offset:         16
        .size:           8
        .value_kind:     global_buffer
      - .actual_access:  read_only
        .address_space:  global
        .offset:         24
        .size:           8
        .value_kind:     global_buffer
      - .offset:         32
        .size:           8
        .value_kind:     by_value
      - .offset:         40
        .size:           4
        .value_kind:     by_value
      - .offset:         44
        .size:           4
        .value_kind:     by_value
      - .offset:         48
        .size:           8
        .value_kind:     by_value
      - .actual_access:  read_only
        .address_space:  global
        .offset:         56
        .size:           8
        .value_kind:     global_buffer
      - .offset:         64
        .size:           4
        .value_kind:     by_value
    .group_segment_fixed_size: 0
    .kernarg_segment_align: 8
    .kernarg_segment_size: 68
    .language:       OpenCL C
    .language_version:
      - 2
      - 0
    .max_flat_workgroup_size: 64
    .name:           _ZN5aiter37dynamic_per_group_scaled_quant_kernelIDF16_aLi32ELi64ELb0ELi64ELb0EEEvPT0_PfPKT_PKfliilPKii
    .private_segment_fixed_size: 0
    .sgpr_count:     18
    .sgpr_spill_count: 0
    .symbol:         _ZN5aiter37dynamic_per_group_scaled_quant_kernelIDF16_aLi32ELi64ELb0ELi64ELb0EEEvPT0_PfPKT_PKfliilPKii.kd
    .uniform_work_group_size: 1
    .uses_dynamic_stack: false
    .vgpr_count:     41
    .vgpr_spill_count: 0
    .wavefront_size: 32
    .workgroup_processor_mode: 1
  - .args:
      - .actual_access:  write_only
        .address_space:  global
        .offset:         0
        .size:           8
        .value_kind:     global_buffer
      - .actual_access:  write_only
        .address_space:  global
        .offset:         8
        .size:           8
        .value_kind:     global_buffer
      - .actual_access:  read_only
        .address_space:  global
        .offset:         16
        .size:           8
        .value_kind:     global_buffer
      - .actual_access:  read_only
        .address_space:  global
        .offset:         24
        .size:           8
        .value_kind:     global_buffer
      - .offset:         32
        .size:           8
        .value_kind:     by_value
      - .offset:         40
        .size:           4
        .value_kind:     by_value
      - .offset:         44
        .size:           4
        .value_kind:     by_value
      - .offset:         48
        .size:           8
        .value_kind:     by_value
      - .actual_access:  read_only
        .address_space:  global
        .offset:         56
        .size:           8
        .value_kind:     global_buffer
      - .offset:         64
        .size:           4
        .value_kind:     by_value
    .group_segment_fixed_size: 0
    .kernarg_segment_align: 8
    .kernarg_segment_size: 68
    .language:       OpenCL C
    .language_version:
      - 2
      - 0
    .max_flat_workgroup_size: 64
    .name:           _ZN5aiter37dynamic_per_group_scaled_quant_kernelItaLi32ELi64ELb0ELi64ELb0EEEvPT0_PfPKT_PKfliilPKii
    .private_segment_fixed_size: 0
    .sgpr_count:     18
    .sgpr_spill_count: 0
    .symbol:         _ZN5aiter37dynamic_per_group_scaled_quant_kernelItaLi32ELi64ELb0ELi64ELb0EEEvPT0_PfPKT_PKfliilPKii.kd
    .uniform_work_group_size: 1
    .uses_dynamic_stack: false
    .vgpr_count:     40
    .vgpr_spill_count: 0
    .wavefront_size: 32
    .workgroup_processor_mode: 1
  - .args:
      - .actual_access:  write_only
        .address_space:  global
        .offset:         0
        .size:           8
        .value_kind:     global_buffer
      - .actual_access:  write_only
        .address_space:  global
        .offset:         8
        .size:           8
        .value_kind:     global_buffer
      - .actual_access:  read_only
        .address_space:  global
        .offset:         16
        .size:           8
        .value_kind:     global_buffer
      - .actual_access:  read_only
        .address_space:  global
        .offset:         24
        .size:           8
        .value_kind:     global_buffer
      - .offset:         32
        .size:           8
        .value_kind:     by_value
      - .offset:         40
        .size:           4
        .value_kind:     by_value
      - .offset:         44
        .size:           4
        .value_kind:     by_value
      - .offset:         48
        .size:           8
        .value_kind:     by_value
      - .actual_access:  read_only
        .address_space:  global
        .offset:         56
        .size:           8
        .value_kind:     global_buffer
      - .offset:         64
        .size:           4
        .value_kind:     by_value
    .group_segment_fixed_size: 0
    .kernarg_segment_align: 8
    .kernarg_segment_size: 68
    .language:       OpenCL C
    .language_version:
      - 2
      - 0
    .max_flat_workgroup_size: 64
    .name:           _ZN5aiter37dynamic_per_group_scaled_quant_kernelIDF16_DB8_Li32ELi128ELb1ELi64ELb0EEEvPT0_PfPKT_PKfliilPKii
    .private_segment_fixed_size: 0
    .sgpr_count:     18
    .sgpr_spill_count: 0
    .symbol:         _ZN5aiter37dynamic_per_group_scaled_quant_kernelIDF16_DB8_Li32ELi128ELb1ELi64ELb0EEEvPT0_PfPKT_PKfliilPKii.kd
    .uniform_work_group_size: 1
    .uses_dynamic_stack: false
    .vgpr_count:     44
    .vgpr_spill_count: 0
    .wavefront_size: 32
    .workgroup_processor_mode: 1
  - .args:
      - .actual_access:  write_only
        .address_space:  global
        .offset:         0
        .size:           8
        .value_kind:     global_buffer
      - .actual_access:  write_only
        .address_space:  global
        .offset:         8
        .size:           8
        .value_kind:     global_buffer
      - .actual_access:  read_only
        .address_space:  global
        .offset:         16
        .size:           8
        .value_kind:     global_buffer
      - .actual_access:  read_only
        .address_space:  global
        .offset:         24
        .size:           8
        .value_kind:     global_buffer
      - .offset:         32
        .size:           8
        .value_kind:     by_value
      - .offset:         40
        .size:           4
        .value_kind:     by_value
      - .offset:         44
        .size:           4
        .value_kind:     by_value
      - .offset:         48
        .size:           8
        .value_kind:     by_value
      - .actual_access:  read_only
        .address_space:  global
        .offset:         56
        .size:           8
        .value_kind:     global_buffer
      - .offset:         64
        .size:           4
        .value_kind:     by_value
    .group_segment_fixed_size: 0
    .kernarg_segment_align: 8
    .kernarg_segment_size: 68
    .language:       OpenCL C
    .language_version:
      - 2
      - 0
    .max_flat_workgroup_size: 64
    .name:           _ZN5aiter37dynamic_per_group_scaled_quant_kernelItDB8_Li32ELi128ELb1ELi64ELb0EEEvPT0_PfPKT_PKfliilPKii
    .private_segment_fixed_size: 0
    .sgpr_count:     18
    .sgpr_spill_count: 0
    .symbol:         _ZN5aiter37dynamic_per_group_scaled_quant_kernelItDB8_Li32ELi128ELb1ELi64ELb0EEEvPT0_PfPKT_PKfliilPKii.kd
    .uniform_work_group_size: 1
    .uses_dynamic_stack: false
    .vgpr_count:     43
    .vgpr_spill_count: 0
    .wavefront_size: 32
    .workgroup_processor_mode: 1
  - .args:
      - .actual_access:  write_only
        .address_space:  global
        .offset:         0
        .size:           8
        .value_kind:     global_buffer
      - .actual_access:  write_only
        .address_space:  global
        .offset:         8
        .size:           8
        .value_kind:     global_buffer
      - .actual_access:  read_only
        .address_space:  global
        .offset:         16
        .size:           8
        .value_kind:     global_buffer
      - .actual_access:  read_only
        .address_space:  global
        .offset:         24
        .size:           8
        .value_kind:     global_buffer
      - .offset:         32
        .size:           8
        .value_kind:     by_value
      - .offset:         40
        .size:           4
        .value_kind:     by_value
      - .offset:         44
        .size:           4
        .value_kind:     by_value
      - .offset:         48
        .size:           8
        .value_kind:     by_value
      - .actual_access:  read_only
        .address_space:  global
        .offset:         56
        .size:           8
        .value_kind:     global_buffer
      - .offset:         64
        .size:           4
        .value_kind:     by_value
    .group_segment_fixed_size: 0
    .kernarg_segment_align: 8
    .kernarg_segment_size: 68
    .language:       OpenCL C
    .language_version:
      - 2
      - 0
    .max_flat_workgroup_size: 64
    .name:           _ZN5aiter37dynamic_per_group_scaled_quant_kernelIDF16_aLi32ELi128ELb1ELi64ELb0EEEvPT0_PfPKT_PKfliilPKii
    .private_segment_fixed_size: 0
    .sgpr_count:     18
    .sgpr_spill_count: 0
    .symbol:         _ZN5aiter37dynamic_per_group_scaled_quant_kernelIDF16_aLi32ELi128ELb1ELi64ELb0EEEvPT0_PfPKT_PKfliilPKii.kd
    .uniform_work_group_size: 1
    .uses_dynamic_stack: false
    .vgpr_count:     44
    .vgpr_spill_count: 0
    .wavefront_size: 32
    .workgroup_processor_mode: 1
  - .args:
      - .actual_access:  write_only
        .address_space:  global
        .offset:         0
        .size:           8
        .value_kind:     global_buffer
      - .actual_access:  write_only
        .address_space:  global
        .offset:         8
        .size:           8
        .value_kind:     global_buffer
      - .actual_access:  read_only
        .address_space:  global
        .offset:         16
        .size:           8
        .value_kind:     global_buffer
      - .actual_access:  read_only
        .address_space:  global
        .offset:         24
        .size:           8
        .value_kind:     global_buffer
      - .offset:         32
        .size:           8
        .value_kind:     by_value
      - .offset:         40
        .size:           4
        .value_kind:     by_value
      - .offset:         44
        .size:           4
        .value_kind:     by_value
      - .offset:         48
        .size:           8
        .value_kind:     by_value
      - .actual_access:  read_only
        .address_space:  global
        .offset:         56
        .size:           8
        .value_kind:     global_buffer
      - .offset:         64
        .size:           4
        .value_kind:     by_value
    .group_segment_fixed_size: 0
    .kernarg_segment_align: 8
    .kernarg_segment_size: 68
    .language:       OpenCL C
    .language_version:
      - 2
      - 0
    .max_flat_workgroup_size: 64
    .name:           _ZN5aiter37dynamic_per_group_scaled_quant_kernelItaLi32ELi128ELb1ELi64ELb0EEEvPT0_PfPKT_PKfliilPKii
    .private_segment_fixed_size: 0
    .sgpr_count:     18
    .sgpr_spill_count: 0
    .symbol:         _ZN5aiter37dynamic_per_group_scaled_quant_kernelItaLi32ELi128ELb1ELi64ELb0EEEvPT0_PfPKT_PKfliilPKii.kd
    .uniform_work_group_size: 1
    .uses_dynamic_stack: false
    .vgpr_count:     43
    .vgpr_spill_count: 0
    .wavefront_size: 32
    .workgroup_processor_mode: 1
  - .args:
      - .actual_access:  write_only
        .address_space:  global
        .offset:         0
        .size:           8
        .value_kind:     global_buffer
      - .actual_access:  write_only
        .address_space:  global
        .offset:         8
        .size:           8
        .value_kind:     global_buffer
      - .actual_access:  read_only
        .address_space:  global
        .offset:         16
        .size:           8
        .value_kind:     global_buffer
      - .actual_access:  read_only
        .address_space:  global
        .offset:         24
        .size:           8
        .value_kind:     global_buffer
      - .offset:         32
        .size:           8
        .value_kind:     by_value
      - .offset:         40
        .size:           4
        .value_kind:     by_value
      - .offset:         44
        .size:           4
        .value_kind:     by_value
      - .offset:         48
        .size:           8
        .value_kind:     by_value
      - .actual_access:  read_only
        .address_space:  global
        .offset:         56
        .size:           8
        .value_kind:     global_buffer
      - .offset:         64
        .size:           4
        .value_kind:     by_value
    .group_segment_fixed_size: 0
    .kernarg_segment_align: 8
    .kernarg_segment_size: 68
    .language:       OpenCL C
    .language_version:
      - 2
      - 0
    .max_flat_workgroup_size: 64
    .name:           _ZN5aiter37dynamic_per_group_scaled_quant_kernelIDF16_DB8_Li32ELi128ELb0ELi64ELb0EEEvPT0_PfPKT_PKfliilPKii
    .private_segment_fixed_size: 0
    .sgpr_count:     18
    .sgpr_spill_count: 0
    .symbol:         _ZN5aiter37dynamic_per_group_scaled_quant_kernelIDF16_DB8_Li32ELi128ELb0ELi64ELb0EEEvPT0_PfPKT_PKfliilPKii.kd
    .uniform_work_group_size: 1
    .uses_dynamic_stack: false
    .vgpr_count:     41
    .vgpr_spill_count: 0
    .wavefront_size: 32
    .workgroup_processor_mode: 1
  - .args:
      - .actual_access:  write_only
        .address_space:  global
        .offset:         0
        .size:           8
        .value_kind:     global_buffer
      - .actual_access:  write_only
        .address_space:  global
        .offset:         8
        .size:           8
        .value_kind:     global_buffer
      - .actual_access:  read_only
        .address_space:  global
        .offset:         16
        .size:           8
        .value_kind:     global_buffer
      - .actual_access:  read_only
        .address_space:  global
        .offset:         24
        .size:           8
        .value_kind:     global_buffer
      - .offset:         32
        .size:           8
        .value_kind:     by_value
      - .offset:         40
        .size:           4
        .value_kind:     by_value
      - .offset:         44
        .size:           4
        .value_kind:     by_value
      - .offset:         48
        .size:           8
        .value_kind:     by_value
      - .actual_access:  read_only
        .address_space:  global
        .offset:         56
        .size:           8
        .value_kind:     global_buffer
      - .offset:         64
        .size:           4
        .value_kind:     by_value
    .group_segment_fixed_size: 0
    .kernarg_segment_align: 8
    .kernarg_segment_size: 68
    .language:       OpenCL C
    .language_version:
      - 2
      - 0
    .max_flat_workgroup_size: 64
    .name:           _ZN5aiter37dynamic_per_group_scaled_quant_kernelItDB8_Li32ELi128ELb0ELi64ELb0EEEvPT0_PfPKT_PKfliilPKii
    .private_segment_fixed_size: 0
    .sgpr_count:     18
    .sgpr_spill_count: 0
    .symbol:         _ZN5aiter37dynamic_per_group_scaled_quant_kernelItDB8_Li32ELi128ELb0ELi64ELb0EEEvPT0_PfPKT_PKfliilPKii.kd
    .uniform_work_group_size: 1
    .uses_dynamic_stack: false
    .vgpr_count:     40
    .vgpr_spill_count: 0
    .wavefront_size: 32
    .workgroup_processor_mode: 1
  - .args:
      - .actual_access:  write_only
        .address_space:  global
        .offset:         0
        .size:           8
        .value_kind:     global_buffer
      - .actual_access:  write_only
        .address_space:  global
        .offset:         8
        .size:           8
        .value_kind:     global_buffer
      - .actual_access:  read_only
        .address_space:  global
        .offset:         16
        .size:           8
        .value_kind:     global_buffer
      - .actual_access:  read_only
        .address_space:  global
        .offset:         24
        .size:           8
        .value_kind:     global_buffer
      - .offset:         32
        .size:           8
        .value_kind:     by_value
      - .offset:         40
        .size:           4
        .value_kind:     by_value
      - .offset:         44
        .size:           4
        .value_kind:     by_value
      - .offset:         48
        .size:           8
        .value_kind:     by_value
      - .actual_access:  read_only
        .address_space:  global
        .offset:         56
        .size:           8
        .value_kind:     global_buffer
      - .offset:         64
        .size:           4
        .value_kind:     by_value
    .group_segment_fixed_size: 0
    .kernarg_segment_align: 8
    .kernarg_segment_size: 68
    .language:       OpenCL C
    .language_version:
      - 2
      - 0
    .max_flat_workgroup_size: 64
    .name:           _ZN5aiter37dynamic_per_group_scaled_quant_kernelIDF16_aLi32ELi128ELb0ELi64ELb0EEEvPT0_PfPKT_PKfliilPKii
    .private_segment_fixed_size: 0
    .sgpr_count:     18
    .sgpr_spill_count: 0
    .symbol:         _ZN5aiter37dynamic_per_group_scaled_quant_kernelIDF16_aLi32ELi128ELb0ELi64ELb0EEEvPT0_PfPKT_PKfliilPKii.kd
    .uniform_work_group_size: 1
    .uses_dynamic_stack: false
    .vgpr_count:     41
    .vgpr_spill_count: 0
    .wavefront_size: 32
    .workgroup_processor_mode: 1
  - .args:
      - .actual_access:  write_only
        .address_space:  global
        .offset:         0
        .size:           8
        .value_kind:     global_buffer
      - .actual_access:  write_only
        .address_space:  global
        .offset:         8
        .size:           8
        .value_kind:     global_buffer
      - .actual_access:  read_only
        .address_space:  global
        .offset:         16
        .size:           8
        .value_kind:     global_buffer
      - .actual_access:  read_only
        .address_space:  global
        .offset:         24
        .size:           8
        .value_kind:     global_buffer
      - .offset:         32
        .size:           8
        .value_kind:     by_value
      - .offset:         40
        .size:           4
        .value_kind:     by_value
      - .offset:         44
        .size:           4
        .value_kind:     by_value
      - .offset:         48
        .size:           8
        .value_kind:     by_value
      - .actual_access:  read_only
        .address_space:  global
        .offset:         56
        .size:           8
        .value_kind:     global_buffer
      - .offset:         64
        .size:           4
        .value_kind:     by_value
    .group_segment_fixed_size: 0
    .kernarg_segment_align: 8
    .kernarg_segment_size: 68
    .language:       OpenCL C
    .language_version:
      - 2
      - 0
    .max_flat_workgroup_size: 64
    .name:           _ZN5aiter37dynamic_per_group_scaled_quant_kernelItaLi32ELi128ELb0ELi64ELb0EEEvPT0_PfPKT_PKfliilPKii
    .private_segment_fixed_size: 0
    .sgpr_count:     18
    .sgpr_spill_count: 0
    .symbol:         _ZN5aiter37dynamic_per_group_scaled_quant_kernelItaLi32ELi128ELb0ELi64ELb0EEEvPT0_PfPKT_PKfliilPKii.kd
    .uniform_work_group_size: 1
    .uses_dynamic_stack: false
    .vgpr_count:     40
    .vgpr_spill_count: 0
    .wavefront_size: 32
    .workgroup_processor_mode: 1
  - .args:
      - .actual_access:  write_only
        .address_space:  global
        .offset:         0
        .size:           8
        .value_kind:     global_buffer
      - .actual_access:  write_only
        .address_space:  global
        .offset:         8
        .size:           8
        .value_kind:     global_buffer
      - .actual_access:  read_only
        .address_space:  global
        .offset:         16
        .size:           8
        .value_kind:     global_buffer
      - .actual_access:  read_only
        .address_space:  global
        .offset:         24
        .size:           8
        .value_kind:     global_buffer
      - .offset:         32
        .size:           4
        .value_kind:     by_value
      - .actual_access:  read_only
        .address_space:  global
        .offset:         40
        .size:           8
        .value_kind:     global_buffer
      - .offset:         48
        .size:           4
        .value_kind:     by_value
    .group_segment_fixed_size: 32
    .kernarg_segment_align: 8
    .kernarg_segment_size: 52
    .language:       OpenCL C
    .language_version:
      - 2
      - 0
    .max_flat_workgroup_size: 1024
    .name:           _ZN5aiter37dynamic_per_token_scaled_quant_kernelIDF16_DB8_Li8EEEvPT0_PfPT_PKfiPKii
    .private_segment_fixed_size: 0
    .sgpr_count:     18
    .sgpr_spill_count: 0
    .symbol:         _ZN5aiter37dynamic_per_token_scaled_quant_kernelIDF16_DB8_Li8EEEvPT0_PfPT_PKfiPKii.kd
    .uniform_work_group_size: 1
    .uses_dynamic_stack: false
    .vgpr_count:     11
    .vgpr_spill_count: 0
    .wavefront_size: 32
    .workgroup_processor_mode: 1
  - .args:
      - .actual_access:  write_only
        .address_space:  global
        .offset:         0
        .size:           8
        .value_kind:     global_buffer
      - .actual_access:  write_only
        .address_space:  global
        .offset:         8
        .size:           8
        .value_kind:     global_buffer
      - .actual_access:  read_only
        .address_space:  global
        .offset:         16
        .size:           8
        .value_kind:     global_buffer
      - .actual_access:  read_only
        .address_space:  global
        .offset:         24
        .size:           8
        .value_kind:     global_buffer
      - .offset:         32
        .size:           4
        .value_kind:     by_value
      - .actual_access:  read_only
        .address_space:  global
        .offset:         40
        .size:           8
        .value_kind:     global_buffer
      - .offset:         48
        .size:           4
        .value_kind:     by_value
    .group_segment_fixed_size: 32
    .kernarg_segment_align: 8
    .kernarg_segment_size: 52
    .language:       OpenCL C
    .language_version:
      - 2
      - 0
    .max_flat_workgroup_size: 1024
    .name:           _ZN5aiter37dynamic_per_token_scaled_quant_kernelItDB8_Li8EEEvPT0_PfPT_PKfiPKii
    .private_segment_fixed_size: 0
    .sgpr_count:     18
    .sgpr_spill_count: 0
    .symbol:         _ZN5aiter37dynamic_per_token_scaled_quant_kernelItDB8_Li8EEEvPT0_PfPT_PKfiPKii.kd
    .uniform_work_group_size: 1
    .uses_dynamic_stack: false
    .vgpr_count:     11
    .vgpr_spill_count: 0
    .wavefront_size: 32
    .workgroup_processor_mode: 1
  - .args:
      - .actual_access:  write_only
        .address_space:  global
        .offset:         0
        .size:           8
        .value_kind:     global_buffer
      - .actual_access:  write_only
        .address_space:  global
        .offset:         8
        .size:           8
        .value_kind:     global_buffer
      - .actual_access:  read_only
        .address_space:  global
        .offset:         16
        .size:           8
        .value_kind:     global_buffer
      - .actual_access:  read_only
        .address_space:  global
        .offset:         24
        .size:           8
        .value_kind:     global_buffer
      - .offset:         32
        .size:           4
        .value_kind:     by_value
      - .actual_access:  read_only
        .address_space:  global
        .offset:         40
        .size:           8
        .value_kind:     global_buffer
      - .offset:         48
        .size:           4
        .value_kind:     by_value
    .group_segment_fixed_size: 32
    .kernarg_segment_align: 8
    .kernarg_segment_size: 52
    .language:       OpenCL C
    .language_version:
      - 2
      - 0
    .max_flat_workgroup_size: 1024
    .name:           _ZN5aiter37dynamic_per_token_scaled_quant_kernelIDF16_DB8_Li16EEEvPT0_PfPT_PKfiPKii
    .private_segment_fixed_size: 0
    .sgpr_count:     18
    .sgpr_spill_count: 0
    .symbol:         _ZN5aiter37dynamic_per_token_scaled_quant_kernelIDF16_DB8_Li16EEEvPT0_PfPT_PKfiPKii.kd
    .uniform_work_group_size: 1
    .uses_dynamic_stack: false
    .vgpr_count:     21
    .vgpr_spill_count: 0
    .wavefront_size: 32
    .workgroup_processor_mode: 1
  - .args:
      - .actual_access:  write_only
        .address_space:  global
        .offset:         0
        .size:           8
        .value_kind:     global_buffer
      - .actual_access:  write_only
        .address_space:  global
        .offset:         8
        .size:           8
        .value_kind:     global_buffer
      - .actual_access:  read_only
        .address_space:  global
        .offset:         16
        .size:           8
        .value_kind:     global_buffer
      - .actual_access:  read_only
        .address_space:  global
        .offset:         24
        .size:           8
        .value_kind:     global_buffer
      - .offset:         32
        .size:           4
        .value_kind:     by_value
      - .actual_access:  read_only
        .address_space:  global
        .offset:         40
        .size:           8
        .value_kind:     global_buffer
      - .offset:         48
        .size:           4
        .value_kind:     by_value
    .group_segment_fixed_size: 32
    .kernarg_segment_align: 8
    .kernarg_segment_size: 52
    .language:       OpenCL C
    .language_version:
      - 2
      - 0
    .max_flat_workgroup_size: 1024
    .name:           _ZN5aiter37dynamic_per_token_scaled_quant_kernelItDB8_Li16EEEvPT0_PfPT_PKfiPKii
    .private_segment_fixed_size: 0
    .sgpr_count:     18
    .sgpr_spill_count: 0
    .symbol:         _ZN5aiter37dynamic_per_token_scaled_quant_kernelItDB8_Li16EEEvPT0_PfPT_PKfiPKii.kd
    .uniform_work_group_size: 1
    .uses_dynamic_stack: false
    .vgpr_count:     21
    .vgpr_spill_count: 0
    .wavefront_size: 32
    .workgroup_processor_mode: 1
  - .args:
      - .actual_access:  write_only
        .address_space:  global
        .offset:         0
        .size:           8
        .value_kind:     global_buffer
      - .actual_access:  write_only
        .address_space:  global
        .offset:         8
        .size:           8
        .value_kind:     global_buffer
      - .actual_access:  read_only
        .address_space:  global
        .offset:         16
        .size:           8
        .value_kind:     global_buffer
      - .actual_access:  read_only
        .address_space:  global
        .offset:         24
        .size:           8
        .value_kind:     global_buffer
      - .offset:         32
        .size:           4
        .value_kind:     by_value
      - .actual_access:  read_only
        .address_space:  global
        .offset:         40
        .size:           8
        .value_kind:     global_buffer
      - .offset:         48
        .size:           4
        .value_kind:     by_value
    .group_segment_fixed_size: 32
    .kernarg_segment_align: 8
    .kernarg_segment_size: 52
    .language:       OpenCL C
    .language_version:
      - 2
      - 0
    .max_flat_workgroup_size: 1024
    .name:           _ZN5aiter37dynamic_per_token_scaled_quant_kernelIDF16_DB8_Li32EEEvPT0_PfPT_PKfiPKii
    .private_segment_fixed_size: 0
    .sgpr_count:     18
    .sgpr_spill_count: 0
    .symbol:         _ZN5aiter37dynamic_per_token_scaled_quant_kernelIDF16_DB8_Li32EEEvPT0_PfPT_PKfiPKii.kd
    .uniform_work_group_size: 1
    .uses_dynamic_stack: false
    .vgpr_count:     29
    .vgpr_spill_count: 0
    .wavefront_size: 32
    .workgroup_processor_mode: 1
  - .args:
      - .actual_access:  write_only
        .address_space:  global
        .offset:         0
        .size:           8
        .value_kind:     global_buffer
      - .actual_access:  write_only
        .address_space:  global
        .offset:         8
        .size:           8
        .value_kind:     global_buffer
      - .actual_access:  read_only
        .address_space:  global
        .offset:         16
        .size:           8
        .value_kind:     global_buffer
      - .actual_access:  read_only
        .address_space:  global
        .offset:         24
        .size:           8
        .value_kind:     global_buffer
      - .offset:         32
        .size:           4
        .value_kind:     by_value
      - .actual_access:  read_only
        .address_space:  global
        .offset:         40
        .size:           8
        .value_kind:     global_buffer
      - .offset:         48
        .size:           4
        .value_kind:     by_value
    .group_segment_fixed_size: 32
    .kernarg_segment_align: 8
    .kernarg_segment_size: 52
    .language:       OpenCL C
    .language_version:
      - 2
      - 0
    .max_flat_workgroup_size: 1024
    .name:           _ZN5aiter37dynamic_per_token_scaled_quant_kernelItDB8_Li32EEEvPT0_PfPT_PKfiPKii
    .private_segment_fixed_size: 0
    .sgpr_count:     18
    .sgpr_spill_count: 0
    .symbol:         _ZN5aiter37dynamic_per_token_scaled_quant_kernelItDB8_Li32EEEvPT0_PfPT_PKfiPKii.kd
    .uniform_work_group_size: 1
    .uses_dynamic_stack: false
    .vgpr_count:     29
    .vgpr_spill_count: 0
    .wavefront_size: 32
    .workgroup_processor_mode: 1
  - .args:
      - .actual_access:  write_only
        .address_space:  global
        .offset:         0
        .size:           8
        .value_kind:     global_buffer
      - .actual_access:  write_only
        .address_space:  global
        .offset:         8
        .size:           8
        .value_kind:     global_buffer
      - .actual_access:  read_only
        .address_space:  global
        .offset:         16
        .size:           8
        .value_kind:     global_buffer
      - .actual_access:  read_only
        .address_space:  global
        .offset:         24
        .size:           8
        .value_kind:     global_buffer
      - .offset:         32
        .size:           4
        .value_kind:     by_value
      - .actual_access:  read_only
        .address_space:  global
        .offset:         40
        .size:           8
        .value_kind:     global_buffer
      - .offset:         48
        .size:           4
        .value_kind:     by_value
    .group_segment_fixed_size: 32
    .kernarg_segment_align: 8
    .kernarg_segment_size: 52
    .language:       OpenCL C
    .language_version:
      - 2
      - 0
    .max_flat_workgroup_size: 1024
    .name:           _ZN5aiter37dynamic_per_token_scaled_quant_kernelIDF16_DB8_Li0EEEvPT0_PfPT_PKfiPKii
    .private_segment_fixed_size: 0
    .sgpr_count:     20
    .sgpr_spill_count: 0
    .symbol:         _ZN5aiter37dynamic_per_token_scaled_quant_kernelIDF16_DB8_Li0EEEvPT0_PfPT_PKfiPKii.kd
    .uniform_work_group_size: 1
    .uses_dynamic_stack: false
    .vgpr_count:     32
    .vgpr_spill_count: 0
    .wavefront_size: 32
    .workgroup_processor_mode: 1
  - .args:
      - .actual_access:  write_only
        .address_space:  global
        .offset:         0
        .size:           8
        .value_kind:     global_buffer
      - .actual_access:  write_only
        .address_space:  global
        .offset:         8
        .size:           8
        .value_kind:     global_buffer
      - .actual_access:  read_only
        .address_space:  global
        .offset:         16
        .size:           8
        .value_kind:     global_buffer
      - .actual_access:  read_only
        .address_space:  global
        .offset:         24
        .size:           8
        .value_kind:     global_buffer
      - .offset:         32
        .size:           4
        .value_kind:     by_value
      - .actual_access:  read_only
        .address_space:  global
        .offset:         40
        .size:           8
        .value_kind:     global_buffer
      - .offset:         48
        .size:           4
        .value_kind:     by_value
    .group_segment_fixed_size: 32
    .kernarg_segment_align: 8
    .kernarg_segment_size: 52
    .language:       OpenCL C
    .language_version:
      - 2
      - 0
    .max_flat_workgroup_size: 1024
    .name:           _ZN5aiter37dynamic_per_token_scaled_quant_kernelItDB8_Li0EEEvPT0_PfPT_PKfiPKii
    .private_segment_fixed_size: 0
    .sgpr_count:     20
    .sgpr_spill_count: 0
    .symbol:         _ZN5aiter37dynamic_per_token_scaled_quant_kernelItDB8_Li0EEEvPT0_PfPT_PKfiPKii.kd
    .uniform_work_group_size: 1
    .uses_dynamic_stack: false
    .vgpr_count:     32
    .vgpr_spill_count: 0
    .wavefront_size: 32
    .workgroup_processor_mode: 1
  - .args:
      - .actual_access:  write_only
        .address_space:  global
        .offset:         0
        .size:           8
        .value_kind:     global_buffer
      - .actual_access:  write_only
        .address_space:  global
        .offset:         8
        .size:           8
        .value_kind:     global_buffer
      - .actual_access:  read_only
        .address_space:  global
        .offset:         16
        .size:           8
        .value_kind:     global_buffer
      - .actual_access:  read_only
        .address_space:  global
        .offset:         24
        .size:           8
        .value_kind:     global_buffer
      - .offset:         32
        .size:           4
        .value_kind:     by_value
      - .actual_access:  read_only
        .address_space:  global
        .offset:         40
        .size:           8
        .value_kind:     global_buffer
      - .offset:         48
        .size:           4
        .value_kind:     by_value
    .group_segment_fixed_size: 32
    .kernarg_segment_align: 8
    .kernarg_segment_size: 52
    .language:       OpenCL C
    .language_version:
      - 2
      - 0
    .max_flat_workgroup_size: 1024
    .name:           _ZN5aiter37dynamic_per_token_scaled_quant_kernelIDF16_aLi8EEEvPT0_PfPT_PKfiPKii
    .private_segment_fixed_size: 0
    .sgpr_count:     18
    .sgpr_spill_count: 0
    .symbol:         _ZN5aiter37dynamic_per_token_scaled_quant_kernelIDF16_aLi8EEEvPT0_PfPT_PKfiPKii.kd
    .uniform_work_group_size: 1
    .uses_dynamic_stack: false
    .vgpr_count:     10
    .vgpr_spill_count: 0
    .wavefront_size: 32
    .workgroup_processor_mode: 1
  - .args:
      - .actual_access:  write_only
        .address_space:  global
        .offset:         0
        .size:           8
        .value_kind:     global_buffer
      - .actual_access:  write_only
        .address_space:  global
        .offset:         8
        .size:           8
        .value_kind:     global_buffer
      - .actual_access:  read_only
        .address_space:  global
        .offset:         16
        .size:           8
        .value_kind:     global_buffer
      - .actual_access:  read_only
        .address_space:  global
        .offset:         24
        .size:           8
        .value_kind:     global_buffer
      - .offset:         32
        .size:           4
        .value_kind:     by_value
      - .actual_access:  read_only
        .address_space:  global
        .offset:         40
        .size:           8
        .value_kind:     global_buffer
      - .offset:         48
        .size:           4
        .value_kind:     by_value
    .group_segment_fixed_size: 32
    .kernarg_segment_align: 8
    .kernarg_segment_size: 52
    .language:       OpenCL C
    .language_version:
      - 2
      - 0
    .max_flat_workgroup_size: 1024
    .name:           _ZN5aiter37dynamic_per_token_scaled_quant_kernelItaLi8EEEvPT0_PfPT_PKfiPKii
    .private_segment_fixed_size: 0
    .sgpr_count:     18
    .sgpr_spill_count: 0
    .symbol:         _ZN5aiter37dynamic_per_token_scaled_quant_kernelItaLi8EEEvPT0_PfPT_PKfiPKii.kd
    .uniform_work_group_size: 1
    .uses_dynamic_stack: false
    .vgpr_count:     11
    .vgpr_spill_count: 0
    .wavefront_size: 32
    .workgroup_processor_mode: 1
  - .args:
      - .actual_access:  write_only
        .address_space:  global
        .offset:         0
        .size:           8
        .value_kind:     global_buffer
      - .actual_access:  write_only
        .address_space:  global
        .offset:         8
        .size:           8
        .value_kind:     global_buffer
      - .actual_access:  read_only
        .address_space:  global
        .offset:         16
        .size:           8
        .value_kind:     global_buffer
      - .actual_access:  read_only
        .address_space:  global
        .offset:         24
        .size:           8
        .value_kind:     global_buffer
      - .offset:         32
        .size:           4
        .value_kind:     by_value
      - .actual_access:  read_only
        .address_space:  global
        .offset:         40
        .size:           8
        .value_kind:     global_buffer
      - .offset:         48
        .size:           4
        .value_kind:     by_value
    .group_segment_fixed_size: 32
    .kernarg_segment_align: 8
    .kernarg_segment_size: 52
    .language:       OpenCL C
    .language_version:
      - 2
      - 0
    .max_flat_workgroup_size: 1024
    .name:           _ZN5aiter37dynamic_per_token_scaled_quant_kernelIDF16_aLi16EEEvPT0_PfPT_PKfiPKii
    .private_segment_fixed_size: 0
    .sgpr_count:     18
    .sgpr_spill_count: 0
    .symbol:         _ZN5aiter37dynamic_per_token_scaled_quant_kernelIDF16_aLi16EEEvPT0_PfPT_PKfiPKii.kd
    .uniform_work_group_size: 1
    .uses_dynamic_stack: false
    .vgpr_count:     18
    .vgpr_spill_count: 0
    .wavefront_size: 32
    .workgroup_processor_mode: 1
  - .args:
      - .actual_access:  write_only
        .address_space:  global
        .offset:         0
        .size:           8
        .value_kind:     global_buffer
      - .actual_access:  write_only
        .address_space:  global
        .offset:         8
        .size:           8
        .value_kind:     global_buffer
      - .actual_access:  read_only
        .address_space:  global
        .offset:         16
        .size:           8
        .value_kind:     global_buffer
      - .actual_access:  read_only
        .address_space:  global
        .offset:         24
        .size:           8
        .value_kind:     global_buffer
      - .offset:         32
        .size:           4
        .value_kind:     by_value
      - .actual_access:  read_only
        .address_space:  global
        .offset:         40
        .size:           8
        .value_kind:     global_buffer
      - .offset:         48
        .size:           4
        .value_kind:     by_value
    .group_segment_fixed_size: 32
    .kernarg_segment_align: 8
    .kernarg_segment_size: 52
    .language:       OpenCL C
    .language_version:
      - 2
      - 0
    .max_flat_workgroup_size: 1024
    .name:           _ZN5aiter37dynamic_per_token_scaled_quant_kernelItaLi16EEEvPT0_PfPT_PKfiPKii
    .private_segment_fixed_size: 0
    .sgpr_count:     18
    .sgpr_spill_count: 0
    .symbol:         _ZN5aiter37dynamic_per_token_scaled_quant_kernelItaLi16EEEvPT0_PfPT_PKfiPKii.kd
    .uniform_work_group_size: 1
    .uses_dynamic_stack: false
    .vgpr_count:     18
    .vgpr_spill_count: 0
    .wavefront_size: 32
    .workgroup_processor_mode: 1
  - .args:
      - .actual_access:  write_only
        .address_space:  global
        .offset:         0
        .size:           8
        .value_kind:     global_buffer
      - .actual_access:  write_only
        .address_space:  global
        .offset:         8
        .size:           8
        .value_kind:     global_buffer
      - .actual_access:  read_only
        .address_space:  global
        .offset:         16
        .size:           8
        .value_kind:     global_buffer
      - .actual_access:  read_only
        .address_space:  global
        .offset:         24
        .size:           8
        .value_kind:     global_buffer
      - .offset:         32
        .size:           4
        .value_kind:     by_value
      - .actual_access:  read_only
        .address_space:  global
        .offset:         40
        .size:           8
        .value_kind:     global_buffer
      - .offset:         48
        .size:           4
        .value_kind:     by_value
    .group_segment_fixed_size: 32
    .kernarg_segment_align: 8
    .kernarg_segment_size: 52
    .language:       OpenCL C
    .language_version:
      - 2
      - 0
    .max_flat_workgroup_size: 1024
    .name:           _ZN5aiter37dynamic_per_token_scaled_quant_kernelIDF16_aLi32EEEvPT0_PfPT_PKfiPKii
    .private_segment_fixed_size: 0
    .sgpr_count:     18
    .sgpr_spill_count: 0
    .symbol:         _ZN5aiter37dynamic_per_token_scaled_quant_kernelIDF16_aLi32EEEvPT0_PfPT_PKfiPKii.kd
    .uniform_work_group_size: 1
    .uses_dynamic_stack: false
    .vgpr_count:     26
    .vgpr_spill_count: 0
    .wavefront_size: 32
    .workgroup_processor_mode: 1
  - .args:
      - .actual_access:  write_only
        .address_space:  global
        .offset:         0
        .size:           8
        .value_kind:     global_buffer
      - .actual_access:  write_only
        .address_space:  global
        .offset:         8
        .size:           8
        .value_kind:     global_buffer
      - .actual_access:  read_only
        .address_space:  global
        .offset:         16
        .size:           8
        .value_kind:     global_buffer
      - .actual_access:  read_only
        .address_space:  global
        .offset:         24
        .size:           8
        .value_kind:     global_buffer
      - .offset:         32
        .size:           4
        .value_kind:     by_value
      - .actual_access:  read_only
        .address_space:  global
        .offset:         40
        .size:           8
        .value_kind:     global_buffer
      - .offset:         48
        .size:           4
        .value_kind:     by_value
    .group_segment_fixed_size: 32
    .kernarg_segment_align: 8
    .kernarg_segment_size: 52
    .language:       OpenCL C
    .language_version:
      - 2
      - 0
    .max_flat_workgroup_size: 1024
    .name:           _ZN5aiter37dynamic_per_token_scaled_quant_kernelItaLi32EEEvPT0_PfPT_PKfiPKii
    .private_segment_fixed_size: 0
    .sgpr_count:     18
    .sgpr_spill_count: 0
    .symbol:         _ZN5aiter37dynamic_per_token_scaled_quant_kernelItaLi32EEEvPT0_PfPT_PKfiPKii.kd
    .uniform_work_group_size: 1
    .uses_dynamic_stack: false
    .vgpr_count:     26
    .vgpr_spill_count: 0
    .wavefront_size: 32
    .workgroup_processor_mode: 1
  - .args:
      - .actual_access:  write_only
        .address_space:  global
        .offset:         0
        .size:           8
        .value_kind:     global_buffer
      - .actual_access:  write_only
        .address_space:  global
        .offset:         8
        .size:           8
        .value_kind:     global_buffer
      - .actual_access:  read_only
        .address_space:  global
        .offset:         16
        .size:           8
        .value_kind:     global_buffer
      - .actual_access:  read_only
        .address_space:  global
        .offset:         24
        .size:           8
        .value_kind:     global_buffer
      - .offset:         32
        .size:           4
        .value_kind:     by_value
      - .actual_access:  read_only
        .address_space:  global
        .offset:         40
        .size:           8
        .value_kind:     global_buffer
      - .offset:         48
        .size:           4
        .value_kind:     by_value
    .group_segment_fixed_size: 32
    .kernarg_segment_align: 8
    .kernarg_segment_size: 52
    .language:       OpenCL C
    .language_version:
      - 2
      - 0
    .max_flat_workgroup_size: 1024
    .name:           _ZN5aiter37dynamic_per_token_scaled_quant_kernelIDF16_aLi0EEEvPT0_PfPT_PKfiPKii
    .private_segment_fixed_size: 0
    .sgpr_count:     20
    .sgpr_spill_count: 0
    .symbol:         _ZN5aiter37dynamic_per_token_scaled_quant_kernelIDF16_aLi0EEEvPT0_PfPT_PKfiPKii.kd
    .uniform_work_group_size: 1
    .uses_dynamic_stack: false
    .vgpr_count:     29
    .vgpr_spill_count: 0
    .wavefront_size: 32
    .workgroup_processor_mode: 1
  - .args:
      - .actual_access:  write_only
        .address_space:  global
        .offset:         0
        .size:           8
        .value_kind:     global_buffer
      - .actual_access:  write_only
        .address_space:  global
        .offset:         8
        .size:           8
        .value_kind:     global_buffer
      - .actual_access:  read_only
        .address_space:  global
        .offset:         16
        .size:           8
        .value_kind:     global_buffer
      - .actual_access:  read_only
        .address_space:  global
        .offset:         24
        .size:           8
        .value_kind:     global_buffer
      - .offset:         32
        .size:           4
        .value_kind:     by_value
      - .actual_access:  read_only
        .address_space:  global
        .offset:         40
        .size:           8
        .value_kind:     global_buffer
      - .offset:         48
        .size:           4
        .value_kind:     by_value
    .group_segment_fixed_size: 32
    .kernarg_segment_align: 8
    .kernarg_segment_size: 52
    .language:       OpenCL C
    .language_version:
      - 2
      - 0
    .max_flat_workgroup_size: 1024
    .name:           _ZN5aiter37dynamic_per_token_scaled_quant_kernelItaLi0EEEvPT0_PfPT_PKfiPKii
    .private_segment_fixed_size: 0
    .sgpr_count:     20
    .sgpr_spill_count: 0
    .symbol:         _ZN5aiter37dynamic_per_token_scaled_quant_kernelItaLi0EEEvPT0_PfPT_PKfiPKii.kd
    .uniform_work_group_size: 1
    .uses_dynamic_stack: false
    .vgpr_count:     31
    .vgpr_spill_count: 0
    .wavefront_size: 32
    .workgroup_processor_mode: 1
  - .args:
      - .actual_access:  write_only
        .address_space:  global
        .offset:         0
        .size:           8
        .value_kind:     global_buffer
      - .actual_access:  write_only
        .address_space:  global
        .offset:         8
        .size:           8
        .value_kind:     global_buffer
      - .actual_access:  read_only
        .address_space:  global
        .offset:         16
        .size:           8
        .value_kind:     global_buffer
      - .actual_access:  read_only
        .address_space:  global
        .offset:         24
        .size:           8
        .value_kind:     global_buffer
      - .offset:         32
        .size:           8
        .value_kind:     by_value
      - .offset:         40
        .size:           4
        .value_kind:     by_value
      - .offset:         44
        .size:           4
        .value_kind:     by_value
      - .offset:         48
        .size:           8
        .value_kind:     by_value
      - .actual_access:  read_only
        .address_space:  global
        .offset:         56
        .size:           8
        .value_kind:     global_buffer
      - .offset:         64
        .size:           4
        .value_kind:     by_value
    .group_segment_fixed_size: 0
    .kernarg_segment_align: 8
    .kernarg_segment_size: 68
    .language:       OpenCL C
    .language_version:
      - 2
      - 0
    .max_flat_workgroup_size: 64
    .name:           _ZN5aiter37dynamic_per_group_scaled_quant_kernelIDF16_DB8_Li32ELi32ELb1ELi64ELb1EEEvPT0_PfPKT_PKfliilPKii
    .private_segment_fixed_size: 0
    .sgpr_count:     18
    .sgpr_spill_count: 0
    .symbol:         _ZN5aiter37dynamic_per_group_scaled_quant_kernelIDF16_DB8_Li32ELi32ELb1ELi64ELb1EEEvPT0_PfPKT_PKfliilPKii.kd
    .uniform_work_group_size: 1
    .uses_dynamic_stack: false
    .vgpr_count:     44
    .vgpr_spill_count: 0
    .wavefront_size: 32
    .workgroup_processor_mode: 1
  - .args:
      - .actual_access:  write_only
        .address_space:  global
        .offset:         0
        .size:           8
        .value_kind:     global_buffer
      - .actual_access:  write_only
        .address_space:  global
        .offset:         8
        .size:           8
        .value_kind:     global_buffer
      - .actual_access:  read_only
        .address_space:  global
        .offset:         16
        .size:           8
        .value_kind:     global_buffer
      - .actual_access:  read_only
        .address_space:  global
        .offset:         24
        .size:           8
        .value_kind:     global_buffer
      - .offset:         32
        .size:           8
        .value_kind:     by_value
      - .offset:         40
        .size:           4
        .value_kind:     by_value
      - .offset:         44
        .size:           4
        .value_kind:     by_value
      - .offset:         48
        .size:           8
        .value_kind:     by_value
      - .actual_access:  read_only
        .address_space:  global
        .offset:         56
        .size:           8
        .value_kind:     global_buffer
      - .offset:         64
        .size:           4
        .value_kind:     by_value
    .group_segment_fixed_size: 0
    .kernarg_segment_align: 8
    .kernarg_segment_size: 68
    .language:       OpenCL C
    .language_version:
      - 2
      - 0
    .max_flat_workgroup_size: 64
    .name:           _ZN5aiter37dynamic_per_group_scaled_quant_kernelItDB8_Li32ELi32ELb1ELi64ELb1EEEvPT0_PfPKT_PKfliilPKii
    .private_segment_fixed_size: 0
    .sgpr_count:     18
    .sgpr_spill_count: 0
    .symbol:         _ZN5aiter37dynamic_per_group_scaled_quant_kernelItDB8_Li32ELi32ELb1ELi64ELb1EEEvPT0_PfPKT_PKfliilPKii.kd
    .uniform_work_group_size: 1
    .uses_dynamic_stack: false
    .vgpr_count:     46
    .vgpr_spill_count: 0
    .wavefront_size: 32
    .workgroup_processor_mode: 1
  - .args:
      - .actual_access:  write_only
        .address_space:  global
        .offset:         0
        .size:           8
        .value_kind:     global_buffer
      - .actual_access:  write_only
        .address_space:  global
        .offset:         8
        .size:           8
        .value_kind:     global_buffer
      - .actual_access:  read_only
        .address_space:  global
        .offset:         16
        .size:           8
        .value_kind:     global_buffer
      - .actual_access:  read_only
        .address_space:  global
        .offset:         24
        .size:           8
        .value_kind:     global_buffer
      - .offset:         32
        .size:           8
        .value_kind:     by_value
      - .offset:         40
        .size:           4
        .value_kind:     by_value
      - .offset:         44
        .size:           4
        .value_kind:     by_value
      - .offset:         48
        .size:           8
        .value_kind:     by_value
      - .actual_access:  read_only
        .address_space:  global
        .offset:         56
        .size:           8
        .value_kind:     global_buffer
      - .offset:         64
        .size:           4
        .value_kind:     by_value
    .group_segment_fixed_size: 0
    .kernarg_segment_align: 8
    .kernarg_segment_size: 68
    .language:       OpenCL C
    .language_version:
      - 2
      - 0
    .max_flat_workgroup_size: 64
    .name:           _ZN5aiter37dynamic_per_group_scaled_quant_kernelIDF16_DB8_Li32ELi32ELb0ELi64ELb1EEEvPT0_PfPKT_PKfliilPKii
    .private_segment_fixed_size: 0
    .sgpr_count:     18
    .sgpr_spill_count: 0
    .symbol:         _ZN5aiter37dynamic_per_group_scaled_quant_kernelIDF16_DB8_Li32ELi32ELb0ELi64ELb1EEEvPT0_PfPKT_PKfliilPKii.kd
    .uniform_work_group_size: 1
    .uses_dynamic_stack: false
    .vgpr_count:     44
    .vgpr_spill_count: 0
    .wavefront_size: 32
    .workgroup_processor_mode: 1
  - .args:
      - .actual_access:  write_only
        .address_space:  global
        .offset:         0
        .size:           8
        .value_kind:     global_buffer
      - .actual_access:  write_only
        .address_space:  global
        .offset:         8
        .size:           8
        .value_kind:     global_buffer
      - .actual_access:  read_only
        .address_space:  global
        .offset:         16
        .size:           8
        .value_kind:     global_buffer
      - .actual_access:  read_only
        .address_space:  global
        .offset:         24
        .size:           8
        .value_kind:     global_buffer
      - .offset:         32
        .size:           8
        .value_kind:     by_value
      - .offset:         40
        .size:           4
        .value_kind:     by_value
      - .offset:         44
        .size:           4
        .value_kind:     by_value
      - .offset:         48
        .size:           8
        .value_kind:     by_value
      - .actual_access:  read_only
        .address_space:  global
        .offset:         56
        .size:           8
        .value_kind:     global_buffer
      - .offset:         64
        .size:           4
        .value_kind:     by_value
    .group_segment_fixed_size: 0
    .kernarg_segment_align: 8
    .kernarg_segment_size: 68
    .language:       OpenCL C
    .language_version:
      - 2
      - 0
    .max_flat_workgroup_size: 64
    .name:           _ZN5aiter37dynamic_per_group_scaled_quant_kernelItDB8_Li32ELi32ELb0ELi64ELb1EEEvPT0_PfPKT_PKfliilPKii
    .private_segment_fixed_size: 0
    .sgpr_count:     18
    .sgpr_spill_count: 0
    .symbol:         _ZN5aiter37dynamic_per_group_scaled_quant_kernelItDB8_Li32ELi32ELb0ELi64ELb1EEEvPT0_PfPKT_PKfliilPKii.kd
    .uniform_work_group_size: 1
    .uses_dynamic_stack: false
    .vgpr_count:     42
    .vgpr_spill_count: 0
    .wavefront_size: 32
    .workgroup_processor_mode: 1
  - .args:
      - .actual_access:  write_only
        .address_space:  global
        .offset:         0
        .size:           8
        .value_kind:     global_buffer
      - .actual_access:  write_only
        .address_space:  global
        .offset:         8
        .size:           8
        .value_kind:     global_buffer
      - .actual_access:  read_only
        .address_space:  global
        .offset:         16
        .size:           8
        .value_kind:     global_buffer
      - .actual_access:  read_only
        .address_space:  global
        .offset:         24
        .size:           8
        .value_kind:     global_buffer
      - .offset:         32
        .size:           8
        .value_kind:     by_value
      - .offset:         40
        .size:           4
        .value_kind:     by_value
      - .offset:         44
        .size:           4
        .value_kind:     by_value
      - .offset:         48
        .size:           8
        .value_kind:     by_value
      - .actual_access:  read_only
        .address_space:  global
        .offset:         56
        .size:           8
        .value_kind:     global_buffer
      - .offset:         64
        .size:           4
        .value_kind:     by_value
    .group_segment_fixed_size: 0
    .kernarg_segment_align: 8
    .kernarg_segment_size: 68
    .language:       OpenCL C
    .language_version:
      - 2
      - 0
    .max_flat_workgroup_size: 64
    .name:           _ZN5aiter37dynamic_per_group_scaled_quant_kernelIDF16_DB8_Li32ELi64ELb1ELi64ELb1EEEvPT0_PfPKT_PKfliilPKii
    .private_segment_fixed_size: 0
    .sgpr_count:     18
    .sgpr_spill_count: 0
    .symbol:         _ZN5aiter37dynamic_per_group_scaled_quant_kernelIDF16_DB8_Li32ELi64ELb1ELi64ELb1EEEvPT0_PfPKT_PKfliilPKii.kd
    .uniform_work_group_size: 1
    .uses_dynamic_stack: false
    .vgpr_count:     43
    .vgpr_spill_count: 0
    .wavefront_size: 32
    .workgroup_processor_mode: 1
  - .args:
      - .actual_access:  write_only
        .address_space:  global
        .offset:         0
        .size:           8
        .value_kind:     global_buffer
      - .actual_access:  write_only
        .address_space:  global
        .offset:         8
        .size:           8
        .value_kind:     global_buffer
      - .actual_access:  read_only
        .address_space:  global
        .offset:         16
        .size:           8
        .value_kind:     global_buffer
      - .actual_access:  read_only
        .address_space:  global
        .offset:         24
        .size:           8
        .value_kind:     global_buffer
      - .offset:         32
        .size:           8
        .value_kind:     by_value
      - .offset:         40
        .size:           4
        .value_kind:     by_value
      - .offset:         44
        .size:           4
        .value_kind:     by_value
      - .offset:         48
        .size:           8
        .value_kind:     by_value
      - .actual_access:  read_only
        .address_space:  global
        .offset:         56
        .size:           8
        .value_kind:     global_buffer
      - .offset:         64
        .size:           4
        .value_kind:     by_value
    .group_segment_fixed_size: 0
    .kernarg_segment_align: 8
    .kernarg_segment_size: 68
    .language:       OpenCL C
    .language_version:
      - 2
      - 0
    .max_flat_workgroup_size: 64
    .name:           _ZN5aiter37dynamic_per_group_scaled_quant_kernelItDB8_Li32ELi64ELb1ELi64ELb1EEEvPT0_PfPKT_PKfliilPKii
    .private_segment_fixed_size: 0
    .sgpr_count:     18
    .sgpr_spill_count: 0
    .symbol:         _ZN5aiter37dynamic_per_group_scaled_quant_kernelItDB8_Li32ELi64ELb1ELi64ELb1EEEvPT0_PfPKT_PKfliilPKii.kd
    .uniform_work_group_size: 1
    .uses_dynamic_stack: false
    .vgpr_count:     42
    .vgpr_spill_count: 0
    .wavefront_size: 32
    .workgroup_processor_mode: 1
  - .args:
      - .actual_access:  write_only
        .address_space:  global
        .offset:         0
        .size:           8
        .value_kind:     global_buffer
      - .actual_access:  write_only
        .address_space:  global
        .offset:         8
        .size:           8
        .value_kind:     global_buffer
      - .actual_access:  read_only
        .address_space:  global
        .offset:         16
        .size:           8
        .value_kind:     global_buffer
      - .actual_access:  read_only
        .address_space:  global
        .offset:         24
        .size:           8
        .value_kind:     global_buffer
      - .offset:         32
        .size:           8
        .value_kind:     by_value
      - .offset:         40
        .size:           4
        .value_kind:     by_value
      - .offset:         44
        .size:           4
        .value_kind:     by_value
      - .offset:         48
        .size:           8
        .value_kind:     by_value
      - .actual_access:  read_only
        .address_space:  global
        .offset:         56
        .size:           8
        .value_kind:     global_buffer
      - .offset:         64
        .size:           4
        .value_kind:     by_value
    .group_segment_fixed_size: 0
    .kernarg_segment_align: 8
    .kernarg_segment_size: 68
    .language:       OpenCL C
    .language_version:
      - 2
      - 0
    .max_flat_workgroup_size: 64
    .name:           _ZN5aiter37dynamic_per_group_scaled_quant_kernelIDF16_DB8_Li32ELi64ELb0ELi64ELb1EEEvPT0_PfPKT_PKfliilPKii
    .private_segment_fixed_size: 0
    .sgpr_count:     18
    .sgpr_spill_count: 0
    .symbol:         _ZN5aiter37dynamic_per_group_scaled_quant_kernelIDF16_DB8_Li32ELi64ELb0ELi64ELb1EEEvPT0_PfPKT_PKfliilPKii.kd
    .uniform_work_group_size: 1
    .uses_dynamic_stack: false
    .vgpr_count:     41
    .vgpr_spill_count: 0
    .wavefront_size: 32
    .workgroup_processor_mode: 1
  - .args:
      - .actual_access:  write_only
        .address_space:  global
        .offset:         0
        .size:           8
        .value_kind:     global_buffer
      - .actual_access:  write_only
        .address_space:  global
        .offset:         8
        .size:           8
        .value_kind:     global_buffer
      - .actual_access:  read_only
        .address_space:  global
        .offset:         16
        .size:           8
        .value_kind:     global_buffer
      - .actual_access:  read_only
        .address_space:  global
        .offset:         24
        .size:           8
        .value_kind:     global_buffer
      - .offset:         32
        .size:           8
        .value_kind:     by_value
      - .offset:         40
        .size:           4
        .value_kind:     by_value
      - .offset:         44
        .size:           4
        .value_kind:     by_value
      - .offset:         48
        .size:           8
        .value_kind:     by_value
      - .actual_access:  read_only
        .address_space:  global
        .offset:         56
        .size:           8
        .value_kind:     global_buffer
      - .offset:         64
        .size:           4
        .value_kind:     by_value
    .group_segment_fixed_size: 0
    .kernarg_segment_align: 8
    .kernarg_segment_size: 68
    .language:       OpenCL C
    .language_version:
      - 2
      - 0
    .max_flat_workgroup_size: 64
    .name:           _ZN5aiter37dynamic_per_group_scaled_quant_kernelItDB8_Li32ELi64ELb0ELi64ELb1EEEvPT0_PfPKT_PKfliilPKii
    .private_segment_fixed_size: 0
    .sgpr_count:     18
    .sgpr_spill_count: 0
    .symbol:         _ZN5aiter37dynamic_per_group_scaled_quant_kernelItDB8_Li32ELi64ELb0ELi64ELb1EEEvPT0_PfPKT_PKfliilPKii.kd
    .uniform_work_group_size: 1
    .uses_dynamic_stack: false
    .vgpr_count:     40
    .vgpr_spill_count: 0
    .wavefront_size: 32
    .workgroup_processor_mode: 1
  - .args:
      - .actual_access:  write_only
        .address_space:  global
        .offset:         0
        .size:           8
        .value_kind:     global_buffer
      - .actual_access:  write_only
        .address_space:  global
        .offset:         8
        .size:           8
        .value_kind:     global_buffer
      - .actual_access:  read_only
        .address_space:  global
        .offset:         16
        .size:           8
        .value_kind:     global_buffer
      - .actual_access:  read_only
        .address_space:  global
        .offset:         24
        .size:           8
        .value_kind:     global_buffer
      - .offset:         32
        .size:           8
        .value_kind:     by_value
      - .offset:         40
        .size:           4
        .value_kind:     by_value
      - .offset:         44
        .size:           4
        .value_kind:     by_value
      - .offset:         48
        .size:           8
        .value_kind:     by_value
      - .actual_access:  read_only
        .address_space:  global
        .offset:         56
        .size:           8
        .value_kind:     global_buffer
      - .offset:         64
        .size:           4
        .value_kind:     by_value
    .group_segment_fixed_size: 0
    .kernarg_segment_align: 8
    .kernarg_segment_size: 68
    .language:       OpenCL C
    .language_version:
      - 2
      - 0
    .max_flat_workgroup_size: 64
    .name:           _ZN5aiter37dynamic_per_group_scaled_quant_kernelIDF16_DB8_Li32ELi128ELb1ELi64ELb1EEEvPT0_PfPKT_PKfliilPKii
    .private_segment_fixed_size: 0
    .sgpr_count:     18
    .sgpr_spill_count: 0
    .symbol:         _ZN5aiter37dynamic_per_group_scaled_quant_kernelIDF16_DB8_Li32ELi128ELb1ELi64ELb1EEEvPT0_PfPKT_PKfliilPKii.kd
    .uniform_work_group_size: 1
    .uses_dynamic_stack: false
    .vgpr_count:     42
    .vgpr_spill_count: 0
    .wavefront_size: 32
    .workgroup_processor_mode: 1
  - .args:
      - .actual_access:  write_only
        .address_space:  global
        .offset:         0
        .size:           8
        .value_kind:     global_buffer
      - .actual_access:  write_only
        .address_space:  global
        .offset:         8
        .size:           8
        .value_kind:     global_buffer
      - .actual_access:  read_only
        .address_space:  global
        .offset:         16
        .size:           8
        .value_kind:     global_buffer
      - .actual_access:  read_only
        .address_space:  global
        .offset:         24
        .size:           8
        .value_kind:     global_buffer
      - .offset:         32
        .size:           8
        .value_kind:     by_value
      - .offset:         40
        .size:           4
        .value_kind:     by_value
      - .offset:         44
        .size:           4
        .value_kind:     by_value
      - .offset:         48
        .size:           8
        .value_kind:     by_value
      - .actual_access:  read_only
        .address_space:  global
        .offset:         56
        .size:           8
        .value_kind:     global_buffer
      - .offset:         64
        .size:           4
        .value_kind:     by_value
    .group_segment_fixed_size: 0
    .kernarg_segment_align: 8
    .kernarg_segment_size: 68
    .language:       OpenCL C
    .language_version:
      - 2
      - 0
    .max_flat_workgroup_size: 64
    .name:           _ZN5aiter37dynamic_per_group_scaled_quant_kernelItDB8_Li32ELi128ELb1ELi64ELb1EEEvPT0_PfPKT_PKfliilPKii
    .private_segment_fixed_size: 0
    .sgpr_count:     18
    .sgpr_spill_count: 0
    .symbol:         _ZN5aiter37dynamic_per_group_scaled_quant_kernelItDB8_Li32ELi128ELb1ELi64ELb1EEEvPT0_PfPKT_PKfliilPKii.kd
    .uniform_work_group_size: 1
    .uses_dynamic_stack: false
    .vgpr_count:     41
    .vgpr_spill_count: 0
    .wavefront_size: 32
    .workgroup_processor_mode: 1
  - .args:
      - .actual_access:  write_only
        .address_space:  global
        .offset:         0
        .size:           8
        .value_kind:     global_buffer
      - .actual_access:  write_only
        .address_space:  global
        .offset:         8
        .size:           8
        .value_kind:     global_buffer
      - .actual_access:  read_only
        .address_space:  global
        .offset:         16
        .size:           8
        .value_kind:     global_buffer
      - .actual_access:  read_only
        .address_space:  global
        .offset:         24
        .size:           8
        .value_kind:     global_buffer
      - .offset:         32
        .size:           8
        .value_kind:     by_value
      - .offset:         40
        .size:           4
        .value_kind:     by_value
      - .offset:         44
        .size:           4
        .value_kind:     by_value
      - .offset:         48
        .size:           8
        .value_kind:     by_value
      - .actual_access:  read_only
        .address_space:  global
        .offset:         56
        .size:           8
        .value_kind:     global_buffer
      - .offset:         64
        .size:           4
        .value_kind:     by_value
    .group_segment_fixed_size: 0
    .kernarg_segment_align: 8
    .kernarg_segment_size: 68
    .language:       OpenCL C
    .language_version:
      - 2
      - 0
    .max_flat_workgroup_size: 64
    .name:           _ZN5aiter37dynamic_per_group_scaled_quant_kernelIDF16_DB8_Li32ELi128ELb0ELi64ELb1EEEvPT0_PfPKT_PKfliilPKii
    .private_segment_fixed_size: 0
    .sgpr_count:     18
    .sgpr_spill_count: 0
    .symbol:         _ZN5aiter37dynamic_per_group_scaled_quant_kernelIDF16_DB8_Li32ELi128ELb0ELi64ELb1EEEvPT0_PfPKT_PKfliilPKii.kd
    .uniform_work_group_size: 1
    .uses_dynamic_stack: false
    .vgpr_count:     41
    .vgpr_spill_count: 0
    .wavefront_size: 32
    .workgroup_processor_mode: 1
  - .args:
      - .actual_access:  write_only
        .address_space:  global
        .offset:         0
        .size:           8
        .value_kind:     global_buffer
      - .actual_access:  write_only
        .address_space:  global
        .offset:         8
        .size:           8
        .value_kind:     global_buffer
      - .actual_access:  read_only
        .address_space:  global
        .offset:         16
        .size:           8
        .value_kind:     global_buffer
      - .actual_access:  read_only
        .address_space:  global
        .offset:         24
        .size:           8
        .value_kind:     global_buffer
      - .offset:         32
        .size:           8
        .value_kind:     by_value
      - .offset:         40
        .size:           4
        .value_kind:     by_value
      - .offset:         44
        .size:           4
        .value_kind:     by_value
      - .offset:         48
        .size:           8
        .value_kind:     by_value
      - .actual_access:  read_only
        .address_space:  global
        .offset:         56
        .size:           8
        .value_kind:     global_buffer
      - .offset:         64
        .size:           4
        .value_kind:     by_value
    .group_segment_fixed_size: 0
    .kernarg_segment_align: 8
    .kernarg_segment_size: 68
    .language:       OpenCL C
    .language_version:
      - 2
      - 0
    .max_flat_workgroup_size: 64
    .name:           _ZN5aiter37dynamic_per_group_scaled_quant_kernelItDB8_Li32ELi128ELb0ELi64ELb1EEEvPT0_PfPKT_PKfliilPKii
    .private_segment_fixed_size: 0
    .sgpr_count:     18
    .sgpr_spill_count: 0
    .symbol:         _ZN5aiter37dynamic_per_group_scaled_quant_kernelItDB8_Li32ELi128ELb0ELi64ELb1EEEvPT0_PfPKT_PKfliilPKii.kd
    .uniform_work_group_size: 1
    .uses_dynamic_stack: false
    .vgpr_count:     40
    .vgpr_spill_count: 0
    .wavefront_size: 32
    .workgroup_processor_mode: 1
  - .args:
      - .actual_access:  write_only
        .address_space:  global
        .offset:         0
        .size:           8
        .value_kind:     global_buffer
      - .actual_access:  write_only
        .address_space:  global
        .offset:         8
        .size:           8
        .value_kind:     global_buffer
      - .actual_access:  read_only
        .address_space:  global
        .offset:         16
        .size:           8
        .value_kind:     global_buffer
      - .actual_access:  read_only
        .address_space:  global
        .offset:         24
        .size:           8
        .value_kind:     global_buffer
      - .actual_access:  read_only
        .address_space:  global
        .offset:         32
        .size:           8
        .value_kind:     global_buffer
      - .actual_access:  read_only
        .address_space:  global
        .offset:         40
        .size:           8
        .value_kind:     global_buffer
      - .offset:         48
        .size:           4
        .value_kind:     by_value
      - .offset:         52
        .size:           4
        .value_kind:     by_value
      - .actual_access:  read_only
        .address_space:  global
        .offset:         56
        .size:           8
        .value_kind:     global_buffer
      - .offset:         64
        .size:           4
        .value_kind:     by_value
      - .offset:         68
        .size:           4
        .value_kind:     by_value
      - .offset:         72
        .size:           4
        .value_kind:     by_value
      - .offset:         76
        .size:           4
        .value_kind:     by_value
      - .offset:         80
        .size:           4
        .value_kind:     by_value
      - .offset:         84
        .size:           4
        .value_kind:     by_value
      - .offset:         88
        .size:           4
        .value_kind:     by_value
      - .offset:         92
        .size:           4
        .value_kind:     by_value
    .group_segment_fixed_size: 4128
    .kernarg_segment_align: 8
    .kernarg_segment_size: 96
    .language:       OpenCL C
    .language_version:
      - 2
      - 0
    .max_flat_workgroup_size: 1024
    .name:           _ZN5aiter36smooth_per_token_scaled_quant_kernelIDF16_DB8_Li256ELi8ELb1ELb1ELb1ELi1024EEEvPT0_PfPT_S4_PiS7_iiPKiiiiiiiii
    .private_segment_fixed_size: 0
    .sgpr_count:     49
    .sgpr_spill_count: 0
    .symbol:         _ZN5aiter36smooth_per_token_scaled_quant_kernelIDF16_DB8_Li256ELi8ELb1ELb1ELb1ELi1024EEEvPT0_PfPT_S4_PiS7_iiPKiiiiiiiii.kd
    .uniform_work_group_size: 1
    .uses_dynamic_stack: false
    .vgpr_count:     30
    .vgpr_spill_count: 0
    .wavefront_size: 32
    .workgroup_processor_mode: 1
  - .args:
      - .actual_access:  write_only
        .address_space:  global
        .offset:         0
        .size:           8
        .value_kind:     global_buffer
      - .actual_access:  write_only
        .address_space:  global
        .offset:         8
        .size:           8
        .value_kind:     global_buffer
      - .actual_access:  read_only
        .address_space:  global
        .offset:         16
        .size:           8
        .value_kind:     global_buffer
      - .actual_access:  read_only
        .address_space:  global
        .offset:         24
        .size:           8
        .value_kind:     global_buffer
      - .actual_access:  read_only
        .address_space:  global
        .offset:         32
        .size:           8
        .value_kind:     global_buffer
      - .actual_access:  read_only
        .address_space:  global
        .offset:         40
        .size:           8
        .value_kind:     global_buffer
      - .offset:         48
        .size:           4
        .value_kind:     by_value
      - .offset:         52
        .size:           4
        .value_kind:     by_value
      - .actual_access:  read_only
        .address_space:  global
        .offset:         56
        .size:           8
        .value_kind:     global_buffer
      - .offset:         64
        .size:           4
        .value_kind:     by_value
      - .offset:         68
        .size:           4
        .value_kind:     by_value
      - .offset:         72
        .size:           4
        .value_kind:     by_value
      - .offset:         76
        .size:           4
        .value_kind:     by_value
      - .offset:         80
        .size:           4
        .value_kind:     by_value
      - .offset:         84
        .size:           4
        .value_kind:     by_value
      - .offset:         88
        .size:           4
        .value_kind:     by_value
      - .offset:         92
        .size:           4
        .value_kind:     by_value
    .group_segment_fixed_size: 4128
    .kernarg_segment_align: 8
    .kernarg_segment_size: 96
    .language:       OpenCL C
    .language_version:
      - 2
      - 0
    .max_flat_workgroup_size: 1024
    .name:           _ZN5aiter36smooth_per_token_scaled_quant_kernelItDB8_Li256ELi8ELb1ELb1ELb1ELi1024EEEvPT0_PfPT_S4_PiS7_iiPKiiiiiiiii
    .private_segment_fixed_size: 0
    .sgpr_count:     49
    .sgpr_spill_count: 0
    .symbol:         _ZN5aiter36smooth_per_token_scaled_quant_kernelItDB8_Li256ELi8ELb1ELb1ELb1ELi1024EEEvPT0_PfPT_S4_PiS7_iiPKiiiiiiiii.kd
    .uniform_work_group_size: 1
    .uses_dynamic_stack: false
    .vgpr_count:     30
    .vgpr_spill_count: 0
    .wavefront_size: 32
    .workgroup_processor_mode: 1
  - .args:
      - .actual_access:  write_only
        .address_space:  global
        .offset:         0
        .size:           8
        .value_kind:     global_buffer
      - .actual_access:  write_only
        .address_space:  global
        .offset:         8
        .size:           8
        .value_kind:     global_buffer
      - .actual_access:  read_only
        .address_space:  global
        .offset:         16
        .size:           8
        .value_kind:     global_buffer
      - .actual_access:  read_only
        .address_space:  global
        .offset:         24
        .size:           8
        .value_kind:     global_buffer
      - .actual_access:  read_only
        .address_space:  global
        .offset:         32
        .size:           8
        .value_kind:     global_buffer
      - .actual_access:  read_only
        .address_space:  global
        .offset:         40
        .size:           8
        .value_kind:     global_buffer
      - .offset:         48
        .size:           4
        .value_kind:     by_value
      - .offset:         52
        .size:           4
        .value_kind:     by_value
      - .actual_access:  read_only
        .address_space:  global
        .offset:         56
        .size:           8
        .value_kind:     global_buffer
      - .offset:         64
        .size:           4
        .value_kind:     by_value
      - .offset:         68
        .size:           4
        .value_kind:     by_value
      - .offset:         72
        .size:           4
        .value_kind:     by_value
      - .offset:         76
        .size:           4
        .value_kind:     by_value
      - .offset:         80
        .size:           4
        .value_kind:     by_value
      - .offset:         84
        .size:           4
        .value_kind:     by_value
      - .offset:         88
        .size:           4
        .value_kind:     by_value
      - .offset:         92
        .size:           4
        .value_kind:     by_value
    .group_segment_fixed_size: 32
    .kernarg_segment_align: 8
    .kernarg_segment_size: 96
    .language:       OpenCL C
    .language_version:
      - 2
      - 0
    .max_flat_workgroup_size: 1024
    .name:           _ZN5aiter36smooth_per_token_scaled_quant_kernelIDF16_DB8_Li256ELi8ELb1ELb1ELb0ELi1024EEEvPT0_PfPT_S4_PiS7_iiPKiiiiiiiii
    .private_segment_fixed_size: 0
    .sgpr_count:     49
    .sgpr_spill_count: 0
    .symbol:         _ZN5aiter36smooth_per_token_scaled_quant_kernelIDF16_DB8_Li256ELi8ELb1ELb1ELb0ELi1024EEEvPT0_PfPT_S4_PiS7_iiPKiiiiiiiii.kd
    .uniform_work_group_size: 1
    .uses_dynamic_stack: false
    .vgpr_count:     30
    .vgpr_spill_count: 0
    .wavefront_size: 32
    .workgroup_processor_mode: 1
  - .args:
      - .actual_access:  write_only
        .address_space:  global
        .offset:         0
        .size:           8
        .value_kind:     global_buffer
      - .actual_access:  write_only
        .address_space:  global
        .offset:         8
        .size:           8
        .value_kind:     global_buffer
      - .actual_access:  read_only
        .address_space:  global
        .offset:         16
        .size:           8
        .value_kind:     global_buffer
      - .actual_access:  read_only
        .address_space:  global
        .offset:         24
        .size:           8
        .value_kind:     global_buffer
      - .actual_access:  read_only
        .address_space:  global
        .offset:         32
        .size:           8
        .value_kind:     global_buffer
      - .actual_access:  read_only
        .address_space:  global
        .offset:         40
        .size:           8
        .value_kind:     global_buffer
      - .offset:         48
        .size:           4
        .value_kind:     by_value
      - .offset:         52
        .size:           4
        .value_kind:     by_value
      - .actual_access:  read_only
        .address_space:  global
        .offset:         56
        .size:           8
        .value_kind:     global_buffer
      - .offset:         64
        .size:           4
        .value_kind:     by_value
      - .offset:         68
        .size:           4
        .value_kind:     by_value
      - .offset:         72
        .size:           4
        .value_kind:     by_value
      - .offset:         76
        .size:           4
        .value_kind:     by_value
      - .offset:         80
        .size:           4
        .value_kind:     by_value
      - .offset:         84
        .size:           4
        .value_kind:     by_value
      - .offset:         88
        .size:           4
        .value_kind:     by_value
      - .offset:         92
        .size:           4
        .value_kind:     by_value
    .group_segment_fixed_size: 32
    .kernarg_segment_align: 8
    .kernarg_segment_size: 96
    .language:       OpenCL C
    .language_version:
      - 2
      - 0
    .max_flat_workgroup_size: 1024
    .name:           _ZN5aiter36smooth_per_token_scaled_quant_kernelItDB8_Li256ELi8ELb1ELb1ELb0ELi1024EEEvPT0_PfPT_S4_PiS7_iiPKiiiiiiiii
    .private_segment_fixed_size: 0
    .sgpr_count:     49
    .sgpr_spill_count: 0
    .symbol:         _ZN5aiter36smooth_per_token_scaled_quant_kernelItDB8_Li256ELi8ELb1ELb1ELb0ELi1024EEEvPT0_PfPT_S4_PiS7_iiPKiiiiiiiii.kd
    .uniform_work_group_size: 1
    .uses_dynamic_stack: false
    .vgpr_count:     30
    .vgpr_spill_count: 0
    .wavefront_size: 32
    .workgroup_processor_mode: 1
  - .args:
      - .actual_access:  write_only
        .address_space:  global
        .offset:         0
        .size:           8
        .value_kind:     global_buffer
      - .actual_access:  write_only
        .address_space:  global
        .offset:         8
        .size:           8
        .value_kind:     global_buffer
      - .actual_access:  read_only
        .address_space:  global
        .offset:         16
        .size:           8
        .value_kind:     global_buffer
      - .actual_access:  read_only
        .address_space:  global
        .offset:         24
        .size:           8
        .value_kind:     global_buffer
      - .actual_access:  read_only
        .address_space:  global
        .offset:         32
        .size:           8
        .value_kind:     global_buffer
      - .actual_access:  read_only
        .address_space:  global
        .offset:         40
        .size:           8
        .value_kind:     global_buffer
      - .offset:         48
        .size:           4
        .value_kind:     by_value
      - .offset:         52
        .size:           4
        .value_kind:     by_value
      - .actual_access:  read_only
        .address_space:  global
        .offset:         56
        .size:           8
        .value_kind:     global_buffer
      - .offset:         64
        .size:           4
        .value_kind:     by_value
      - .offset:         68
        .size:           4
        .value_kind:     by_value
      - .offset:         72
        .size:           4
        .value_kind:     by_value
      - .offset:         76
        .size:           4
        .value_kind:     by_value
      - .offset:         80
        .size:           4
        .value_kind:     by_value
      - .offset:         84
        .size:           4
        .value_kind:     by_value
      - .offset:         88
        .size:           4
        .value_kind:     by_value
      - .offset:         92
        .size:           4
        .value_kind:     by_value
    .group_segment_fixed_size: 32
    .kernarg_segment_align: 8
    .kernarg_segment_size: 96
    .language:       OpenCL C
    .language_version:
      - 2
      - 0
    .max_flat_workgroup_size: 1024
    .name:           _ZN5aiter36smooth_per_token_scaled_quant_kernelIDF16_DB8_Li256ELi8ELb1ELb0ELb0ELi1024EEEvPT0_PfPT_S4_PiS7_iiPKiiiiiiiii
    .private_segment_fixed_size: 0
    .sgpr_count:     42
    .sgpr_spill_count: 0
    .symbol:         _ZN5aiter36smooth_per_token_scaled_quant_kernelIDF16_DB8_Li256ELi8ELb1ELb0ELb0ELi1024EEEvPT0_PfPT_S4_PiS7_iiPKiiiiiiiii.kd
    .uniform_work_group_size: 1
    .uses_dynamic_stack: false
    .vgpr_count:     28
    .vgpr_spill_count: 0
    .wavefront_size: 32
    .workgroup_processor_mode: 1
  - .args:
      - .actual_access:  write_only
        .address_space:  global
        .offset:         0
        .size:           8
        .value_kind:     global_buffer
      - .actual_access:  write_only
        .address_space:  global
        .offset:         8
        .size:           8
        .value_kind:     global_buffer
      - .actual_access:  read_only
        .address_space:  global
        .offset:         16
        .size:           8
        .value_kind:     global_buffer
      - .actual_access:  read_only
        .address_space:  global
        .offset:         24
        .size:           8
        .value_kind:     global_buffer
      - .actual_access:  read_only
        .address_space:  global
        .offset:         32
        .size:           8
        .value_kind:     global_buffer
      - .actual_access:  read_only
        .address_space:  global
        .offset:         40
        .size:           8
        .value_kind:     global_buffer
      - .offset:         48
        .size:           4
        .value_kind:     by_value
      - .offset:         52
        .size:           4
        .value_kind:     by_value
      - .actual_access:  read_only
        .address_space:  global
        .offset:         56
        .size:           8
        .value_kind:     global_buffer
      - .offset:         64
        .size:           4
        .value_kind:     by_value
      - .offset:         68
        .size:           4
        .value_kind:     by_value
      - .offset:         72
        .size:           4
        .value_kind:     by_value
      - .offset:         76
        .size:           4
        .value_kind:     by_value
      - .offset:         80
        .size:           4
        .value_kind:     by_value
      - .offset:         84
        .size:           4
        .value_kind:     by_value
      - .offset:         88
        .size:           4
        .value_kind:     by_value
      - .offset:         92
        .size:           4
        .value_kind:     by_value
    .group_segment_fixed_size: 32
    .kernarg_segment_align: 8
    .kernarg_segment_size: 96
    .language:       OpenCL C
    .language_version:
      - 2
      - 0
    .max_flat_workgroup_size: 1024
    .name:           _ZN5aiter36smooth_per_token_scaled_quant_kernelItDB8_Li256ELi8ELb1ELb0ELb0ELi1024EEEvPT0_PfPT_S4_PiS7_iiPKiiiiiiiii
    .private_segment_fixed_size: 0
    .sgpr_count:     42
    .sgpr_spill_count: 0
    .symbol:         _ZN5aiter36smooth_per_token_scaled_quant_kernelItDB8_Li256ELi8ELb1ELb0ELb0ELi1024EEEvPT0_PfPT_S4_PiS7_iiPKiiiiiiiii.kd
    .uniform_work_group_size: 1
    .uses_dynamic_stack: false
    .vgpr_count:     28
    .vgpr_spill_count: 0
    .wavefront_size: 32
    .workgroup_processor_mode: 1
  - .args:
      - .actual_access:  write_only
        .address_space:  global
        .offset:         0
        .size:           8
        .value_kind:     global_buffer
      - .actual_access:  write_only
        .address_space:  global
        .offset:         8
        .size:           8
        .value_kind:     global_buffer
      - .actual_access:  read_only
        .address_space:  global
        .offset:         16
        .size:           8
        .value_kind:     global_buffer
      - .actual_access:  read_only
        .address_space:  global
        .offset:         24
        .size:           8
        .value_kind:     global_buffer
      - .actual_access:  read_only
        .address_space:  global
        .offset:         32
        .size:           8
        .value_kind:     global_buffer
      - .actual_access:  read_only
        .address_space:  global
        .offset:         40
        .size:           8
        .value_kind:     global_buffer
      - .offset:         48
        .size:           4
        .value_kind:     by_value
      - .offset:         52
        .size:           4
        .value_kind:     by_value
      - .actual_access:  read_only
        .address_space:  global
        .offset:         56
        .size:           8
        .value_kind:     global_buffer
      - .offset:         64
        .size:           4
        .value_kind:     by_value
      - .offset:         68
        .size:           4
        .value_kind:     by_value
      - .offset:         72
        .size:           4
        .value_kind:     by_value
      - .offset:         76
        .size:           4
        .value_kind:     by_value
      - .offset:         80
        .size:           4
        .value_kind:     by_value
      - .offset:         84
        .size:           4
        .value_kind:     by_value
      - .offset:         88
        .size:           4
        .value_kind:     by_value
      - .offset:         92
        .size:           4
        .value_kind:     by_value
    .group_segment_fixed_size: 4128
    .kernarg_segment_align: 8
    .kernarg_segment_size: 96
    .language:       OpenCL C
    .language_version:
      - 2
      - 0
    .max_flat_workgroup_size: 1024
    .name:           _ZN5aiter36smooth_per_token_scaled_quant_kernelIDF16_DB8_Li256ELi8ELb0ELb1ELb1ELi1024EEEvPT0_PfPT_S4_PiS7_iiPKiiiiiiiii
    .private_segment_fixed_size: 0
    .sgpr_count:     45
    .sgpr_spill_count: 0
    .symbol:         _ZN5aiter36smooth_per_token_scaled_quant_kernelIDF16_DB8_Li256ELi8ELb0ELb1ELb1ELi1024EEEvPT0_PfPT_S4_PiS7_iiPKiiiiiiiii.kd
    .uniform_work_group_size: 1
    .uses_dynamic_stack: false
    .vgpr_count:     30
    .vgpr_spill_count: 0
    .wavefront_size: 32
    .workgroup_processor_mode: 1
  - .args:
      - .actual_access:  write_only
        .address_space:  global
        .offset:         0
        .size:           8
        .value_kind:     global_buffer
      - .actual_access:  write_only
        .address_space:  global
        .offset:         8
        .size:           8
        .value_kind:     global_buffer
      - .actual_access:  read_only
        .address_space:  global
        .offset:         16
        .size:           8
        .value_kind:     global_buffer
      - .actual_access:  read_only
        .address_space:  global
        .offset:         24
        .size:           8
        .value_kind:     global_buffer
      - .actual_access:  read_only
        .address_space:  global
        .offset:         32
        .size:           8
        .value_kind:     global_buffer
      - .actual_access:  read_only
        .address_space:  global
        .offset:         40
        .size:           8
        .value_kind:     global_buffer
      - .offset:         48
        .size:           4
        .value_kind:     by_value
      - .offset:         52
        .size:           4
        .value_kind:     by_value
      - .actual_access:  read_only
        .address_space:  global
        .offset:         56
        .size:           8
        .value_kind:     global_buffer
      - .offset:         64
        .size:           4
        .value_kind:     by_value
      - .offset:         68
        .size:           4
        .value_kind:     by_value
      - .offset:         72
        .size:           4
        .value_kind:     by_value
      - .offset:         76
        .size:           4
        .value_kind:     by_value
      - .offset:         80
        .size:           4
        .value_kind:     by_value
      - .offset:         84
        .size:           4
        .value_kind:     by_value
      - .offset:         88
        .size:           4
        .value_kind:     by_value
      - .offset:         92
        .size:           4
        .value_kind:     by_value
    .group_segment_fixed_size: 4128
    .kernarg_segment_align: 8
    .kernarg_segment_size: 96
    .language:       OpenCL C
    .language_version:
      - 2
      - 0
    .max_flat_workgroup_size: 1024
    .name:           _ZN5aiter36smooth_per_token_scaled_quant_kernelItDB8_Li256ELi8ELb0ELb1ELb1ELi1024EEEvPT0_PfPT_S4_PiS7_iiPKiiiiiiiii
    .private_segment_fixed_size: 0
    .sgpr_count:     45
    .sgpr_spill_count: 0
    .symbol:         _ZN5aiter36smooth_per_token_scaled_quant_kernelItDB8_Li256ELi8ELb0ELb1ELb1ELi1024EEEvPT0_PfPT_S4_PiS7_iiPKiiiiiiiii.kd
    .uniform_work_group_size: 1
    .uses_dynamic_stack: false
    .vgpr_count:     30
    .vgpr_spill_count: 0
    .wavefront_size: 32
    .workgroup_processor_mode: 1
  - .args:
      - .actual_access:  write_only
        .address_space:  global
        .offset:         0
        .size:           8
        .value_kind:     global_buffer
      - .actual_access:  write_only
        .address_space:  global
        .offset:         8
        .size:           8
        .value_kind:     global_buffer
      - .actual_access:  read_only
        .address_space:  global
        .offset:         16
        .size:           8
        .value_kind:     global_buffer
      - .actual_access:  read_only
        .address_space:  global
        .offset:         24
        .size:           8
        .value_kind:     global_buffer
      - .actual_access:  read_only
        .address_space:  global
        .offset:         32
        .size:           8
        .value_kind:     global_buffer
      - .actual_access:  read_only
        .address_space:  global
        .offset:         40
        .size:           8
        .value_kind:     global_buffer
      - .offset:         48
        .size:           4
        .value_kind:     by_value
      - .offset:         52
        .size:           4
        .value_kind:     by_value
      - .actual_access:  read_only
        .address_space:  global
        .offset:         56
        .size:           8
        .value_kind:     global_buffer
      - .offset:         64
        .size:           4
        .value_kind:     by_value
      - .offset:         68
        .size:           4
        .value_kind:     by_value
      - .offset:         72
        .size:           4
        .value_kind:     by_value
      - .offset:         76
        .size:           4
        .value_kind:     by_value
      - .offset:         80
        .size:           4
        .value_kind:     by_value
      - .offset:         84
        .size:           4
        .value_kind:     by_value
      - .offset:         88
        .size:           4
        .value_kind:     by_value
      - .offset:         92
        .size:           4
        .value_kind:     by_value
    .group_segment_fixed_size: 32
    .kernarg_segment_align: 8
    .kernarg_segment_size: 96
    .language:       OpenCL C
    .language_version:
      - 2
      - 0
    .max_flat_workgroup_size: 1024
    .name:           _ZN5aiter36smooth_per_token_scaled_quant_kernelIDF16_DB8_Li256ELi8ELb0ELb1ELb0ELi1024EEEvPT0_PfPT_S4_PiS7_iiPKiiiiiiiii
    .private_segment_fixed_size: 0
    .sgpr_count:     45
    .sgpr_spill_count: 0
    .symbol:         _ZN5aiter36smooth_per_token_scaled_quant_kernelIDF16_DB8_Li256ELi8ELb0ELb1ELb0ELi1024EEEvPT0_PfPT_S4_PiS7_iiPKiiiiiiiii.kd
    .uniform_work_group_size: 1
    .uses_dynamic_stack: false
    .vgpr_count:     30
    .vgpr_spill_count: 0
    .wavefront_size: 32
    .workgroup_processor_mode: 1
  - .args:
      - .actual_access:  write_only
        .address_space:  global
        .offset:         0
        .size:           8
        .value_kind:     global_buffer
      - .actual_access:  write_only
        .address_space:  global
        .offset:         8
        .size:           8
        .value_kind:     global_buffer
      - .actual_access:  read_only
        .address_space:  global
        .offset:         16
        .size:           8
        .value_kind:     global_buffer
      - .actual_access:  read_only
        .address_space:  global
        .offset:         24
        .size:           8
        .value_kind:     global_buffer
      - .actual_access:  read_only
        .address_space:  global
        .offset:         32
        .size:           8
        .value_kind:     global_buffer
      - .actual_access:  read_only
        .address_space:  global
        .offset:         40
        .size:           8
        .value_kind:     global_buffer
      - .offset:         48
        .size:           4
        .value_kind:     by_value
      - .offset:         52
        .size:           4
        .value_kind:     by_value
      - .actual_access:  read_only
        .address_space:  global
        .offset:         56
        .size:           8
        .value_kind:     global_buffer
      - .offset:         64
        .size:           4
        .value_kind:     by_value
      - .offset:         68
        .size:           4
        .value_kind:     by_value
      - .offset:         72
        .size:           4
        .value_kind:     by_value
      - .offset:         76
        .size:           4
        .value_kind:     by_value
      - .offset:         80
        .size:           4
        .value_kind:     by_value
      - .offset:         84
        .size:           4
        .value_kind:     by_value
      - .offset:         88
        .size:           4
        .value_kind:     by_value
      - .offset:         92
        .size:           4
        .value_kind:     by_value
    .group_segment_fixed_size: 32
    .kernarg_segment_align: 8
    .kernarg_segment_size: 96
    .language:       OpenCL C
    .language_version:
      - 2
      - 0
    .max_flat_workgroup_size: 1024
    .name:           _ZN5aiter36smooth_per_token_scaled_quant_kernelItDB8_Li256ELi8ELb0ELb1ELb0ELi1024EEEvPT0_PfPT_S4_PiS7_iiPKiiiiiiiii
    .private_segment_fixed_size: 0
    .sgpr_count:     45
    .sgpr_spill_count: 0
    .symbol:         _ZN5aiter36smooth_per_token_scaled_quant_kernelItDB8_Li256ELi8ELb0ELb1ELb0ELi1024EEEvPT0_PfPT_S4_PiS7_iiPKiiiiiiiii.kd
    .uniform_work_group_size: 1
    .uses_dynamic_stack: false
    .vgpr_count:     30
    .vgpr_spill_count: 0
    .wavefront_size: 32
    .workgroup_processor_mode: 1
  - .args:
      - .actual_access:  write_only
        .address_space:  global
        .offset:         0
        .size:           8
        .value_kind:     global_buffer
      - .actual_access:  write_only
        .address_space:  global
        .offset:         8
        .size:           8
        .value_kind:     global_buffer
      - .actual_access:  read_only
        .address_space:  global
        .offset:         16
        .size:           8
        .value_kind:     global_buffer
      - .actual_access:  read_only
        .address_space:  global
        .offset:         24
        .size:           8
        .value_kind:     global_buffer
      - .actual_access:  read_only
        .address_space:  global
        .offset:         32
        .size:           8
        .value_kind:     global_buffer
      - .actual_access:  read_only
        .address_space:  global
        .offset:         40
        .size:           8
        .value_kind:     global_buffer
      - .offset:         48
        .size:           4
        .value_kind:     by_value
      - .offset:         52
        .size:           4
        .value_kind:     by_value
      - .actual_access:  read_only
        .address_space:  global
        .offset:         56
        .size:           8
        .value_kind:     global_buffer
      - .offset:         64
        .size:           4
        .value_kind:     by_value
      - .offset:         68
        .size:           4
        .value_kind:     by_value
      - .offset:         72
        .size:           4
        .value_kind:     by_value
      - .offset:         76
        .size:           4
        .value_kind:     by_value
      - .offset:         80
        .size:           4
        .value_kind:     by_value
      - .offset:         84
        .size:           4
        .value_kind:     by_value
      - .offset:         88
        .size:           4
        .value_kind:     by_value
      - .offset:         92
        .size:           4
        .value_kind:     by_value
    .group_segment_fixed_size: 32
    .kernarg_segment_align: 8
    .kernarg_segment_size: 96
    .language:       OpenCL C
    .language_version:
      - 2
      - 0
    .max_flat_workgroup_size: 1024
    .name:           _ZN5aiter36smooth_per_token_scaled_quant_kernelIDF16_DB8_Li256ELi8ELb0ELb0ELb0ELi1024EEEvPT0_PfPT_S4_PiS7_iiPKiiiiiiiii
    .private_segment_fixed_size: 0
    .sgpr_count:     38
    .sgpr_spill_count: 0
    .symbol:         _ZN5aiter36smooth_per_token_scaled_quant_kernelIDF16_DB8_Li256ELi8ELb0ELb0ELb0ELi1024EEEvPT0_PfPT_S4_PiS7_iiPKiiiiiiiii.kd
    .uniform_work_group_size: 1
    .uses_dynamic_stack: false
    .vgpr_count:     28
    .vgpr_spill_count: 0
    .wavefront_size: 32
    .workgroup_processor_mode: 1
  - .args:
      - .actual_access:  write_only
        .address_space:  global
        .offset:         0
        .size:           8
        .value_kind:     global_buffer
      - .actual_access:  write_only
        .address_space:  global
        .offset:         8
        .size:           8
        .value_kind:     global_buffer
      - .actual_access:  read_only
        .address_space:  global
        .offset:         16
        .size:           8
        .value_kind:     global_buffer
      - .actual_access:  read_only
        .address_space:  global
        .offset:         24
        .size:           8
        .value_kind:     global_buffer
      - .actual_access:  read_only
        .address_space:  global
        .offset:         32
        .size:           8
        .value_kind:     global_buffer
      - .actual_access:  read_only
        .address_space:  global
        .offset:         40
        .size:           8
        .value_kind:     global_buffer
      - .offset:         48
        .size:           4
        .value_kind:     by_value
      - .offset:         52
        .size:           4
        .value_kind:     by_value
      - .actual_access:  read_only
        .address_space:  global
        .offset:         56
        .size:           8
        .value_kind:     global_buffer
      - .offset:         64
        .size:           4
        .value_kind:     by_value
      - .offset:         68
        .size:           4
        .value_kind:     by_value
      - .offset:         72
        .size:           4
        .value_kind:     by_value
      - .offset:         76
        .size:           4
        .value_kind:     by_value
      - .offset:         80
        .size:           4
        .value_kind:     by_value
      - .offset:         84
        .size:           4
        .value_kind:     by_value
      - .offset:         88
        .size:           4
        .value_kind:     by_value
      - .offset:         92
        .size:           4
        .value_kind:     by_value
    .group_segment_fixed_size: 32
    .kernarg_segment_align: 8
    .kernarg_segment_size: 96
    .language:       OpenCL C
    .language_version:
      - 2
      - 0
    .max_flat_workgroup_size: 1024
    .name:           _ZN5aiter36smooth_per_token_scaled_quant_kernelItDB8_Li256ELi8ELb0ELb0ELb0ELi1024EEEvPT0_PfPT_S4_PiS7_iiPKiiiiiiiii
    .private_segment_fixed_size: 0
    .sgpr_count:     38
    .sgpr_spill_count: 0
    .symbol:         _ZN5aiter36smooth_per_token_scaled_quant_kernelItDB8_Li256ELi8ELb0ELb0ELb0ELi1024EEEvPT0_PfPT_S4_PiS7_iiPKiiiiiiiii.kd
    .uniform_work_group_size: 1
    .uses_dynamic_stack: false
    .vgpr_count:     28
    .vgpr_spill_count: 0
    .wavefront_size: 32
    .workgroup_processor_mode: 1
  - .args:
      - .actual_access:  write_only
        .address_space:  global
        .offset:         0
        .size:           8
        .value_kind:     global_buffer
      - .actual_access:  write_only
        .address_space:  global
        .offset:         8
        .size:           8
        .value_kind:     global_buffer
      - .actual_access:  read_only
        .address_space:  global
        .offset:         16
        .size:           8
        .value_kind:     global_buffer
      - .actual_access:  read_only
        .address_space:  global
        .offset:         24
        .size:           8
        .value_kind:     global_buffer
      - .actual_access:  read_only
        .address_space:  global
        .offset:         32
        .size:           8
        .value_kind:     global_buffer
      - .actual_access:  read_only
        .address_space:  global
        .offset:         40
        .size:           8
        .value_kind:     global_buffer
      - .offset:         48
        .size:           4
        .value_kind:     by_value
      - .offset:         52
        .size:           4
        .value_kind:     by_value
      - .actual_access:  read_only
        .address_space:  global
        .offset:         56
        .size:           8
        .value_kind:     global_buffer
      - .offset:         64
        .size:           4
        .value_kind:     by_value
      - .offset:         68
        .size:           4
        .value_kind:     by_value
      - .offset:         72
        .size:           4
        .value_kind:     by_value
      - .offset:         76
        .size:           4
        .value_kind:     by_value
      - .offset:         80
        .size:           4
        .value_kind:     by_value
      - .offset:         84
        .size:           4
        .value_kind:     by_value
      - .offset:         88
        .size:           4
        .value_kind:     by_value
      - .offset:         92
        .size:           4
        .value_kind:     by_value
    .group_segment_fixed_size: 4128
    .kernarg_segment_align: 8
    .kernarg_segment_size: 96
    .language:       OpenCL C
    .language_version:
      - 2
      - 0
    .max_flat_workgroup_size: 1024
    .name:           _ZN5aiter36smooth_per_token_scaled_quant_kernelIDF16_DB8_Li256ELi16ELb1ELb1ELb1ELi1024EEEvPT0_PfPT_S4_PiS7_iiPKiiiiiiiii
    .private_segment_fixed_size: 0
    .sgpr_count:     49
    .sgpr_spill_count: 0
    .symbol:         _ZN5aiter36smooth_per_token_scaled_quant_kernelIDF16_DB8_Li256ELi16ELb1ELb1ELb1ELi1024EEEvPT0_PfPT_S4_PiS7_iiPKiiiiiiiii.kd
    .uniform_work_group_size: 1
    .uses_dynamic_stack: false
    .vgpr_count:     50
    .vgpr_spill_count: 0
    .wavefront_size: 32
    .workgroup_processor_mode: 1
  - .args:
      - .actual_access:  write_only
        .address_space:  global
        .offset:         0
        .size:           8
        .value_kind:     global_buffer
      - .actual_access:  write_only
        .address_space:  global
        .offset:         8
        .size:           8
        .value_kind:     global_buffer
      - .actual_access:  read_only
        .address_space:  global
        .offset:         16
        .size:           8
        .value_kind:     global_buffer
      - .actual_access:  read_only
        .address_space:  global
        .offset:         24
        .size:           8
        .value_kind:     global_buffer
      - .actual_access:  read_only
        .address_space:  global
        .offset:         32
        .size:           8
        .value_kind:     global_buffer
      - .actual_access:  read_only
        .address_space:  global
        .offset:         40
        .size:           8
        .value_kind:     global_buffer
      - .offset:         48
        .size:           4
        .value_kind:     by_value
      - .offset:         52
        .size:           4
        .value_kind:     by_value
      - .actual_access:  read_only
        .address_space:  global
        .offset:         56
        .size:           8
        .value_kind:     global_buffer
      - .offset:         64
        .size:           4
        .value_kind:     by_value
      - .offset:         68
        .size:           4
        .value_kind:     by_value
      - .offset:         72
        .size:           4
        .value_kind:     by_value
      - .offset:         76
        .size:           4
        .value_kind:     by_value
      - .offset:         80
        .size:           4
        .value_kind:     by_value
      - .offset:         84
        .size:           4
        .value_kind:     by_value
      - .offset:         88
        .size:           4
        .value_kind:     by_value
      - .offset:         92
        .size:           4
        .value_kind:     by_value
    .group_segment_fixed_size: 4128
    .kernarg_segment_align: 8
    .kernarg_segment_size: 96
    .language:       OpenCL C
    .language_version:
      - 2
      - 0
    .max_flat_workgroup_size: 1024
    .name:           _ZN5aiter36smooth_per_token_scaled_quant_kernelItDB8_Li256ELi16ELb1ELb1ELb1ELi1024EEEvPT0_PfPT_S4_PiS7_iiPKiiiiiiiii
    .private_segment_fixed_size: 0
    .sgpr_count:     49
    .sgpr_spill_count: 0
    .symbol:         _ZN5aiter36smooth_per_token_scaled_quant_kernelItDB8_Li256ELi16ELb1ELb1ELb1ELi1024EEEvPT0_PfPT_S4_PiS7_iiPKiiiiiiiii.kd
    .uniform_work_group_size: 1
    .uses_dynamic_stack: false
    .vgpr_count:     50
    .vgpr_spill_count: 0
    .wavefront_size: 32
    .workgroup_processor_mode: 1
  - .args:
      - .actual_access:  write_only
        .address_space:  global
        .offset:         0
        .size:           8
        .value_kind:     global_buffer
      - .actual_access:  write_only
        .address_space:  global
        .offset:         8
        .size:           8
        .value_kind:     global_buffer
      - .actual_access:  read_only
        .address_space:  global
        .offset:         16
        .size:           8
        .value_kind:     global_buffer
      - .actual_access:  read_only
        .address_space:  global
        .offset:         24
        .size:           8
        .value_kind:     global_buffer
      - .actual_access:  read_only
        .address_space:  global
        .offset:         32
        .size:           8
        .value_kind:     global_buffer
      - .actual_access:  read_only
        .address_space:  global
        .offset:         40
        .size:           8
        .value_kind:     global_buffer
      - .offset:         48
        .size:           4
        .value_kind:     by_value
      - .offset:         52
        .size:           4
        .value_kind:     by_value
      - .actual_access:  read_only
        .address_space:  global
        .offset:         56
        .size:           8
        .value_kind:     global_buffer
      - .offset:         64
        .size:           4
        .value_kind:     by_value
      - .offset:         68
        .size:           4
        .value_kind:     by_value
      - .offset:         72
        .size:           4
        .value_kind:     by_value
      - .offset:         76
        .size:           4
        .value_kind:     by_value
      - .offset:         80
        .size:           4
        .value_kind:     by_value
      - .offset:         84
        .size:           4
        .value_kind:     by_value
      - .offset:         88
        .size:           4
        .value_kind:     by_value
      - .offset:         92
        .size:           4
        .value_kind:     by_value
    .group_segment_fixed_size: 32
    .kernarg_segment_align: 8
    .kernarg_segment_size: 96
    .language:       OpenCL C
    .language_version:
      - 2
      - 0
    .max_flat_workgroup_size: 1024
    .name:           _ZN5aiter36smooth_per_token_scaled_quant_kernelIDF16_DB8_Li256ELi16ELb1ELb1ELb0ELi1024EEEvPT0_PfPT_S4_PiS7_iiPKiiiiiiiii
    .private_segment_fixed_size: 0
    .sgpr_count:     49
    .sgpr_spill_count: 0
    .symbol:         _ZN5aiter36smooth_per_token_scaled_quant_kernelIDF16_DB8_Li256ELi16ELb1ELb1ELb0ELi1024EEEvPT0_PfPT_S4_PiS7_iiPKiiiiiiiii.kd
    .uniform_work_group_size: 1
    .uses_dynamic_stack: false
    .vgpr_count:     50
    .vgpr_spill_count: 0
    .wavefront_size: 32
    .workgroup_processor_mode: 1
  - .args:
      - .actual_access:  write_only
        .address_space:  global
        .offset:         0
        .size:           8
        .value_kind:     global_buffer
      - .actual_access:  write_only
        .address_space:  global
        .offset:         8
        .size:           8
        .value_kind:     global_buffer
      - .actual_access:  read_only
        .address_space:  global
        .offset:         16
        .size:           8
        .value_kind:     global_buffer
      - .actual_access:  read_only
        .address_space:  global
        .offset:         24
        .size:           8
        .value_kind:     global_buffer
      - .actual_access:  read_only
        .address_space:  global
        .offset:         32
        .size:           8
        .value_kind:     global_buffer
      - .actual_access:  read_only
        .address_space:  global
        .offset:         40
        .size:           8
        .value_kind:     global_buffer
      - .offset:         48
        .size:           4
        .value_kind:     by_value
      - .offset:         52
        .size:           4
        .value_kind:     by_value
      - .actual_access:  read_only
        .address_space:  global
        .offset:         56
        .size:           8
        .value_kind:     global_buffer
      - .offset:         64
        .size:           4
        .value_kind:     by_value
      - .offset:         68
        .size:           4
        .value_kind:     by_value
      - .offset:         72
        .size:           4
        .value_kind:     by_value
      - .offset:         76
        .size:           4
        .value_kind:     by_value
      - .offset:         80
        .size:           4
        .value_kind:     by_value
      - .offset:         84
        .size:           4
        .value_kind:     by_value
      - .offset:         88
        .size:           4
        .value_kind:     by_value
      - .offset:         92
        .size:           4
        .value_kind:     by_value
    .group_segment_fixed_size: 32
    .kernarg_segment_align: 8
    .kernarg_segment_size: 96
    .language:       OpenCL C
    .language_version:
      - 2
      - 0
    .max_flat_workgroup_size: 1024
    .name:           _ZN5aiter36smooth_per_token_scaled_quant_kernelItDB8_Li256ELi16ELb1ELb1ELb0ELi1024EEEvPT0_PfPT_S4_PiS7_iiPKiiiiiiiii
    .private_segment_fixed_size: 0
    .sgpr_count:     49
    .sgpr_spill_count: 0
    .symbol:         _ZN5aiter36smooth_per_token_scaled_quant_kernelItDB8_Li256ELi16ELb1ELb1ELb0ELi1024EEEvPT0_PfPT_S4_PiS7_iiPKiiiiiiiii.kd
    .uniform_work_group_size: 1
    .uses_dynamic_stack: false
    .vgpr_count:     50
    .vgpr_spill_count: 0
    .wavefront_size: 32
    .workgroup_processor_mode: 1
  - .args:
      - .actual_access:  write_only
        .address_space:  global
        .offset:         0
        .size:           8
        .value_kind:     global_buffer
      - .actual_access:  write_only
        .address_space:  global
        .offset:         8
        .size:           8
        .value_kind:     global_buffer
      - .actual_access:  read_only
        .address_space:  global
        .offset:         16
        .size:           8
        .value_kind:     global_buffer
      - .actual_access:  read_only
        .address_space:  global
        .offset:         24
        .size:           8
        .value_kind:     global_buffer
      - .actual_access:  read_only
        .address_space:  global
        .offset:         32
        .size:           8
        .value_kind:     global_buffer
      - .actual_access:  read_only
        .address_space:  global
        .offset:         40
        .size:           8
        .value_kind:     global_buffer
      - .offset:         48
        .size:           4
        .value_kind:     by_value
      - .offset:         52
        .size:           4
        .value_kind:     by_value
      - .actual_access:  read_only
        .address_space:  global
        .offset:         56
        .size:           8
        .value_kind:     global_buffer
      - .offset:         64
        .size:           4
        .value_kind:     by_value
      - .offset:         68
        .size:           4
        .value_kind:     by_value
      - .offset:         72
        .size:           4
        .value_kind:     by_value
      - .offset:         76
        .size:           4
        .value_kind:     by_value
      - .offset:         80
        .size:           4
        .value_kind:     by_value
      - .offset:         84
        .size:           4
        .value_kind:     by_value
      - .offset:         88
        .size:           4
        .value_kind:     by_value
      - .offset:         92
        .size:           4
        .value_kind:     by_value
    .group_segment_fixed_size: 32
    .kernarg_segment_align: 8
    .kernarg_segment_size: 96
    .language:       OpenCL C
    .language_version:
      - 2
      - 0
    .max_flat_workgroup_size: 1024
    .name:           _ZN5aiter36smooth_per_token_scaled_quant_kernelIDF16_DB8_Li256ELi16ELb1ELb0ELb0ELi1024EEEvPT0_PfPT_S4_PiS7_iiPKiiiiiiiii
    .private_segment_fixed_size: 0
    .sgpr_count:     42
    .sgpr_spill_count: 0
    .symbol:         _ZN5aiter36smooth_per_token_scaled_quant_kernelIDF16_DB8_Li256ELi16ELb1ELb0ELb0ELi1024EEEvPT0_PfPT_S4_PiS7_iiPKiiiiiiiii.kd
    .uniform_work_group_size: 1
    .uses_dynamic_stack: false
    .vgpr_count:     48
    .vgpr_spill_count: 0
    .wavefront_size: 32
    .workgroup_processor_mode: 1
  - .args:
      - .actual_access:  write_only
        .address_space:  global
        .offset:         0
        .size:           8
        .value_kind:     global_buffer
      - .actual_access:  write_only
        .address_space:  global
        .offset:         8
        .size:           8
        .value_kind:     global_buffer
      - .actual_access:  read_only
        .address_space:  global
        .offset:         16
        .size:           8
        .value_kind:     global_buffer
      - .actual_access:  read_only
        .address_space:  global
        .offset:         24
        .size:           8
        .value_kind:     global_buffer
      - .actual_access:  read_only
        .address_space:  global
        .offset:         32
        .size:           8
        .value_kind:     global_buffer
      - .actual_access:  read_only
        .address_space:  global
        .offset:         40
        .size:           8
        .value_kind:     global_buffer
      - .offset:         48
        .size:           4
        .value_kind:     by_value
      - .offset:         52
        .size:           4
        .value_kind:     by_value
      - .actual_access:  read_only
        .address_space:  global
        .offset:         56
        .size:           8
        .value_kind:     global_buffer
      - .offset:         64
        .size:           4
        .value_kind:     by_value
      - .offset:         68
        .size:           4
        .value_kind:     by_value
      - .offset:         72
        .size:           4
        .value_kind:     by_value
      - .offset:         76
        .size:           4
        .value_kind:     by_value
      - .offset:         80
        .size:           4
        .value_kind:     by_value
      - .offset:         84
        .size:           4
        .value_kind:     by_value
      - .offset:         88
        .size:           4
        .value_kind:     by_value
      - .offset:         92
        .size:           4
        .value_kind:     by_value
    .group_segment_fixed_size: 32
    .kernarg_segment_align: 8
    .kernarg_segment_size: 96
    .language:       OpenCL C
    .language_version:
      - 2
      - 0
    .max_flat_workgroup_size: 1024
    .name:           _ZN5aiter36smooth_per_token_scaled_quant_kernelItDB8_Li256ELi16ELb1ELb0ELb0ELi1024EEEvPT0_PfPT_S4_PiS7_iiPKiiiiiiiii
    .private_segment_fixed_size: 0
    .sgpr_count:     42
    .sgpr_spill_count: 0
    .symbol:         _ZN5aiter36smooth_per_token_scaled_quant_kernelItDB8_Li256ELi16ELb1ELb0ELb0ELi1024EEEvPT0_PfPT_S4_PiS7_iiPKiiiiiiiii.kd
    .uniform_work_group_size: 1
    .uses_dynamic_stack: false
    .vgpr_count:     48
    .vgpr_spill_count: 0
    .wavefront_size: 32
    .workgroup_processor_mode: 1
  - .args:
      - .actual_access:  write_only
        .address_space:  global
        .offset:         0
        .size:           8
        .value_kind:     global_buffer
      - .actual_access:  write_only
        .address_space:  global
        .offset:         8
        .size:           8
        .value_kind:     global_buffer
      - .actual_access:  read_only
        .address_space:  global
        .offset:         16
        .size:           8
        .value_kind:     global_buffer
      - .actual_access:  read_only
        .address_space:  global
        .offset:         24
        .size:           8
        .value_kind:     global_buffer
      - .actual_access:  read_only
        .address_space:  global
        .offset:         32
        .size:           8
        .value_kind:     global_buffer
      - .actual_access:  read_only
        .address_space:  global
        .offset:         40
        .size:           8
        .value_kind:     global_buffer
      - .offset:         48
        .size:           4
        .value_kind:     by_value
      - .offset:         52
        .size:           4
        .value_kind:     by_value
      - .actual_access:  read_only
        .address_space:  global
        .offset:         56
        .size:           8
        .value_kind:     global_buffer
      - .offset:         64
        .size:           4
        .value_kind:     by_value
      - .offset:         68
        .size:           4
        .value_kind:     by_value
      - .offset:         72
        .size:           4
        .value_kind:     by_value
      - .offset:         76
        .size:           4
        .value_kind:     by_value
      - .offset:         80
        .size:           4
        .value_kind:     by_value
      - .offset:         84
        .size:           4
        .value_kind:     by_value
      - .offset:         88
        .size:           4
        .value_kind:     by_value
      - .offset:         92
        .size:           4
        .value_kind:     by_value
    .group_segment_fixed_size: 4128
    .kernarg_segment_align: 8
    .kernarg_segment_size: 96
    .language:       OpenCL C
    .language_version:
      - 2
      - 0
    .max_flat_workgroup_size: 1024
    .name:           _ZN5aiter36smooth_per_token_scaled_quant_kernelIDF16_DB8_Li256ELi16ELb0ELb1ELb1ELi1024EEEvPT0_PfPT_S4_PiS7_iiPKiiiiiiiii
    .private_segment_fixed_size: 0
    .sgpr_count:     45
    .sgpr_spill_count: 0
    .symbol:         _ZN5aiter36smooth_per_token_scaled_quant_kernelIDF16_DB8_Li256ELi16ELb0ELb1ELb1ELi1024EEEvPT0_PfPT_S4_PiS7_iiPKiiiiiiiii.kd
    .uniform_work_group_size: 1
    .uses_dynamic_stack: false
    .vgpr_count:     50
    .vgpr_spill_count: 0
    .wavefront_size: 32
    .workgroup_processor_mode: 1
  - .args:
      - .actual_access:  write_only
        .address_space:  global
        .offset:         0
        .size:           8
        .value_kind:     global_buffer
      - .actual_access:  write_only
        .address_space:  global
        .offset:         8
        .size:           8
        .value_kind:     global_buffer
      - .actual_access:  read_only
        .address_space:  global
        .offset:         16
        .size:           8
        .value_kind:     global_buffer
      - .actual_access:  read_only
        .address_space:  global
        .offset:         24
        .size:           8
        .value_kind:     global_buffer
      - .actual_access:  read_only
        .address_space:  global
        .offset:         32
        .size:           8
        .value_kind:     global_buffer
      - .actual_access:  read_only
        .address_space:  global
        .offset:         40
        .size:           8
        .value_kind:     global_buffer
      - .offset:         48
        .size:           4
        .value_kind:     by_value
      - .offset:         52
        .size:           4
        .value_kind:     by_value
      - .actual_access:  read_only
        .address_space:  global
        .offset:         56
        .size:           8
        .value_kind:     global_buffer
      - .offset:         64
        .size:           4
        .value_kind:     by_value
      - .offset:         68
        .size:           4
        .value_kind:     by_value
      - .offset:         72
        .size:           4
        .value_kind:     by_value
      - .offset:         76
        .size:           4
        .value_kind:     by_value
      - .offset:         80
        .size:           4
        .value_kind:     by_value
      - .offset:         84
        .size:           4
        .value_kind:     by_value
      - .offset:         88
        .size:           4
        .value_kind:     by_value
      - .offset:         92
        .size:           4
        .value_kind:     by_value
    .group_segment_fixed_size: 4128
    .kernarg_segment_align: 8
    .kernarg_segment_size: 96
    .language:       OpenCL C
    .language_version:
      - 2
      - 0
    .max_flat_workgroup_size: 1024
    .name:           _ZN5aiter36smooth_per_token_scaled_quant_kernelItDB8_Li256ELi16ELb0ELb1ELb1ELi1024EEEvPT0_PfPT_S4_PiS7_iiPKiiiiiiiii
    .private_segment_fixed_size: 0
    .sgpr_count:     45
    .sgpr_spill_count: 0
    .symbol:         _ZN5aiter36smooth_per_token_scaled_quant_kernelItDB8_Li256ELi16ELb0ELb1ELb1ELi1024EEEvPT0_PfPT_S4_PiS7_iiPKiiiiiiiii.kd
    .uniform_work_group_size: 1
    .uses_dynamic_stack: false
    .vgpr_count:     50
    .vgpr_spill_count: 0
    .wavefront_size: 32
    .workgroup_processor_mode: 1
  - .args:
      - .actual_access:  write_only
        .address_space:  global
        .offset:         0
        .size:           8
        .value_kind:     global_buffer
      - .actual_access:  write_only
        .address_space:  global
        .offset:         8
        .size:           8
        .value_kind:     global_buffer
      - .actual_access:  read_only
        .address_space:  global
        .offset:         16
        .size:           8
        .value_kind:     global_buffer
      - .actual_access:  read_only
        .address_space:  global
        .offset:         24
        .size:           8
        .value_kind:     global_buffer
      - .actual_access:  read_only
        .address_space:  global
        .offset:         32
        .size:           8
        .value_kind:     global_buffer
      - .actual_access:  read_only
        .address_space:  global
        .offset:         40
        .size:           8
        .value_kind:     global_buffer
      - .offset:         48
        .size:           4
        .value_kind:     by_value
      - .offset:         52
        .size:           4
        .value_kind:     by_value
      - .actual_access:  read_only
        .address_space:  global
        .offset:         56
        .size:           8
        .value_kind:     global_buffer
      - .offset:         64
        .size:           4
        .value_kind:     by_value
      - .offset:         68
        .size:           4
        .value_kind:     by_value
      - .offset:         72
        .size:           4
        .value_kind:     by_value
      - .offset:         76
        .size:           4
        .value_kind:     by_value
      - .offset:         80
        .size:           4
        .value_kind:     by_value
      - .offset:         84
        .size:           4
        .value_kind:     by_value
      - .offset:         88
        .size:           4
        .value_kind:     by_value
      - .offset:         92
        .size:           4
        .value_kind:     by_value
    .group_segment_fixed_size: 32
    .kernarg_segment_align: 8
    .kernarg_segment_size: 96
    .language:       OpenCL C
    .language_version:
      - 2
      - 0
    .max_flat_workgroup_size: 1024
    .name:           _ZN5aiter36smooth_per_token_scaled_quant_kernelIDF16_DB8_Li256ELi16ELb0ELb1ELb0ELi1024EEEvPT0_PfPT_S4_PiS7_iiPKiiiiiiiii
    .private_segment_fixed_size: 0
    .sgpr_count:     44
    .sgpr_spill_count: 0
    .symbol:         _ZN5aiter36smooth_per_token_scaled_quant_kernelIDF16_DB8_Li256ELi16ELb0ELb1ELb0ELi1024EEEvPT0_PfPT_S4_PiS7_iiPKiiiiiiiii.kd
    .uniform_work_group_size: 1
    .uses_dynamic_stack: false
    .vgpr_count:     50
    .vgpr_spill_count: 0
    .wavefront_size: 32
    .workgroup_processor_mode: 1
  - .args:
      - .actual_access:  write_only
        .address_space:  global
        .offset:         0
        .size:           8
        .value_kind:     global_buffer
      - .actual_access:  write_only
        .address_space:  global
        .offset:         8
        .size:           8
        .value_kind:     global_buffer
      - .actual_access:  read_only
        .address_space:  global
        .offset:         16
        .size:           8
        .value_kind:     global_buffer
      - .actual_access:  read_only
        .address_space:  global
        .offset:         24
        .size:           8
        .value_kind:     global_buffer
      - .actual_access:  read_only
        .address_space:  global
        .offset:         32
        .size:           8
        .value_kind:     global_buffer
      - .actual_access:  read_only
        .address_space:  global
        .offset:         40
        .size:           8
        .value_kind:     global_buffer
      - .offset:         48
        .size:           4
        .value_kind:     by_value
      - .offset:         52
        .size:           4
        .value_kind:     by_value
      - .actual_access:  read_only
        .address_space:  global
        .offset:         56
        .size:           8
        .value_kind:     global_buffer
      - .offset:         64
        .size:           4
        .value_kind:     by_value
      - .offset:         68
        .size:           4
        .value_kind:     by_value
      - .offset:         72
        .size:           4
        .value_kind:     by_value
      - .offset:         76
        .size:           4
        .value_kind:     by_value
      - .offset:         80
        .size:           4
        .value_kind:     by_value
      - .offset:         84
        .size:           4
        .value_kind:     by_value
      - .offset:         88
        .size:           4
        .value_kind:     by_value
      - .offset:         92
        .size:           4
        .value_kind:     by_value
    .group_segment_fixed_size: 32
    .kernarg_segment_align: 8
    .kernarg_segment_size: 96
    .language:       OpenCL C
    .language_version:
      - 2
      - 0
    .max_flat_workgroup_size: 1024
    .name:           _ZN5aiter36smooth_per_token_scaled_quant_kernelItDB8_Li256ELi16ELb0ELb1ELb0ELi1024EEEvPT0_PfPT_S4_PiS7_iiPKiiiiiiiii
    .private_segment_fixed_size: 0
    .sgpr_count:     45
    .sgpr_spill_count: 0
    .symbol:         _ZN5aiter36smooth_per_token_scaled_quant_kernelItDB8_Li256ELi16ELb0ELb1ELb0ELi1024EEEvPT0_PfPT_S4_PiS7_iiPKiiiiiiiii.kd
    .uniform_work_group_size: 1
    .uses_dynamic_stack: false
    .vgpr_count:     50
    .vgpr_spill_count: 0
    .wavefront_size: 32
    .workgroup_processor_mode: 1
  - .args:
      - .actual_access:  write_only
        .address_space:  global
        .offset:         0
        .size:           8
        .value_kind:     global_buffer
      - .actual_access:  write_only
        .address_space:  global
        .offset:         8
        .size:           8
        .value_kind:     global_buffer
      - .actual_access:  read_only
        .address_space:  global
        .offset:         16
        .size:           8
        .value_kind:     global_buffer
      - .actual_access:  read_only
        .address_space:  global
        .offset:         24
        .size:           8
        .value_kind:     global_buffer
      - .actual_access:  read_only
        .address_space:  global
        .offset:         32
        .size:           8
        .value_kind:     global_buffer
      - .actual_access:  read_only
        .address_space:  global
        .offset:         40
        .size:           8
        .value_kind:     global_buffer
      - .offset:         48
        .size:           4
        .value_kind:     by_value
      - .offset:         52
        .size:           4
        .value_kind:     by_value
      - .actual_access:  read_only
        .address_space:  global
        .offset:         56
        .size:           8
        .value_kind:     global_buffer
      - .offset:         64
        .size:           4
        .value_kind:     by_value
      - .offset:         68
        .size:           4
        .value_kind:     by_value
      - .offset:         72
        .size:           4
        .value_kind:     by_value
      - .offset:         76
        .size:           4
        .value_kind:     by_value
      - .offset:         80
        .size:           4
        .value_kind:     by_value
      - .offset:         84
        .size:           4
        .value_kind:     by_value
      - .offset:         88
        .size:           4
        .value_kind:     by_value
      - .offset:         92
        .size:           4
        .value_kind:     by_value
    .group_segment_fixed_size: 32
    .kernarg_segment_align: 8
    .kernarg_segment_size: 96
    .language:       OpenCL C
    .language_version:
      - 2
      - 0
    .max_flat_workgroup_size: 1024
    .name:           _ZN5aiter36smooth_per_token_scaled_quant_kernelIDF16_DB8_Li256ELi16ELb0ELb0ELb0ELi1024EEEvPT0_PfPT_S4_PiS7_iiPKiiiiiiiii
    .private_segment_fixed_size: 0
    .sgpr_count:     38
    .sgpr_spill_count: 0
    .symbol:         _ZN5aiter36smooth_per_token_scaled_quant_kernelIDF16_DB8_Li256ELi16ELb0ELb0ELb0ELi1024EEEvPT0_PfPT_S4_PiS7_iiPKiiiiiiiii.kd
    .uniform_work_group_size: 1
    .uses_dynamic_stack: false
    .vgpr_count:     48
    .vgpr_spill_count: 0
    .wavefront_size: 32
    .workgroup_processor_mode: 1
  - .args:
      - .actual_access:  write_only
        .address_space:  global
        .offset:         0
        .size:           8
        .value_kind:     global_buffer
      - .actual_access:  write_only
        .address_space:  global
        .offset:         8
        .size:           8
        .value_kind:     global_buffer
      - .actual_access:  read_only
        .address_space:  global
        .offset:         16
        .size:           8
        .value_kind:     global_buffer
      - .actual_access:  read_only
        .address_space:  global
        .offset:         24
        .size:           8
        .value_kind:     global_buffer
      - .actual_access:  read_only
        .address_space:  global
        .offset:         32
        .size:           8
        .value_kind:     global_buffer
      - .actual_access:  read_only
        .address_space:  global
        .offset:         40
        .size:           8
        .value_kind:     global_buffer
      - .offset:         48
        .size:           4
        .value_kind:     by_value
      - .offset:         52
        .size:           4
        .value_kind:     by_value
      - .actual_access:  read_only
        .address_space:  global
        .offset:         56
        .size:           8
        .value_kind:     global_buffer
      - .offset:         64
        .size:           4
        .value_kind:     by_value
      - .offset:         68
        .size:           4
        .value_kind:     by_value
      - .offset:         72
        .size:           4
        .value_kind:     by_value
      - .offset:         76
        .size:           4
        .value_kind:     by_value
      - .offset:         80
        .size:           4
        .value_kind:     by_value
      - .offset:         84
        .size:           4
        .value_kind:     by_value
      - .offset:         88
        .size:           4
        .value_kind:     by_value
      - .offset:         92
        .size:           4
        .value_kind:     by_value
    .group_segment_fixed_size: 32
    .kernarg_segment_align: 8
    .kernarg_segment_size: 96
    .language:       OpenCL C
    .language_version:
      - 2
      - 0
    .max_flat_workgroup_size: 1024
    .name:           _ZN5aiter36smooth_per_token_scaled_quant_kernelItDB8_Li256ELi16ELb0ELb0ELb0ELi1024EEEvPT0_PfPT_S4_PiS7_iiPKiiiiiiiii
    .private_segment_fixed_size: 0
    .sgpr_count:     38
    .sgpr_spill_count: 0
    .symbol:         _ZN5aiter36smooth_per_token_scaled_quant_kernelItDB8_Li256ELi16ELb0ELb0ELb0ELi1024EEEvPT0_PfPT_S4_PiS7_iiPKiiiiiiiii.kd
    .uniform_work_group_size: 1
    .uses_dynamic_stack: false
    .vgpr_count:     48
    .vgpr_spill_count: 0
    .wavefront_size: 32
    .workgroup_processor_mode: 1
  - .args:
      - .actual_access:  write_only
        .address_space:  global
        .offset:         0
        .size:           8
        .value_kind:     global_buffer
      - .actual_access:  write_only
        .address_space:  global
        .offset:         8
        .size:           8
        .value_kind:     global_buffer
      - .actual_access:  read_only
        .address_space:  global
        .offset:         16
        .size:           8
        .value_kind:     global_buffer
      - .actual_access:  read_only
        .address_space:  global
        .offset:         24
        .size:           8
        .value_kind:     global_buffer
      - .actual_access:  read_only
        .address_space:  global
        .offset:         32
        .size:           8
        .value_kind:     global_buffer
      - .actual_access:  read_only
        .address_space:  global
        .offset:         40
        .size:           8
        .value_kind:     global_buffer
      - .offset:         48
        .size:           4
        .value_kind:     by_value
      - .offset:         52
        .size:           4
        .value_kind:     by_value
      - .actual_access:  read_only
        .address_space:  global
        .offset:         56
        .size:           8
        .value_kind:     global_buffer
      - .offset:         64
        .size:           4
        .value_kind:     by_value
      - .offset:         68
        .size:           4
        .value_kind:     by_value
      - .offset:         72
        .size:           4
        .value_kind:     by_value
      - .offset:         76
        .size:           4
        .value_kind:     by_value
      - .offset:         80
        .size:           4
        .value_kind:     by_value
      - .offset:         84
        .size:           4
        .value_kind:     by_value
      - .offset:         88
        .size:           4
        .value_kind:     by_value
      - .offset:         92
        .size:           4
        .value_kind:     by_value
    .group_segment_fixed_size: 4160
    .kernarg_segment_align: 8
    .kernarg_segment_size: 96
    .language:       OpenCL C
    .language_version:
      - 2
      - 0
    .max_flat_workgroup_size: 1024
    .name:           _ZN5aiter36smooth_per_token_scaled_quant_kernelIDF16_DB8_Li512ELi16ELb1ELb1ELb1ELi1024EEEvPT0_PfPT_S4_PiS7_iiPKiiiiiiiii
    .private_segment_fixed_size: 0
    .sgpr_count:     49
    .sgpr_spill_count: 0
    .symbol:         _ZN5aiter36smooth_per_token_scaled_quant_kernelIDF16_DB8_Li512ELi16ELb1ELb1ELb1ELi1024EEEvPT0_PfPT_S4_PiS7_iiPKiiiiiiiii.kd
    .uniform_work_group_size: 1
    .uses_dynamic_stack: false
    .vgpr_count:     50
    .vgpr_spill_count: 0
    .wavefront_size: 32
    .workgroup_processor_mode: 1
  - .args:
      - .actual_access:  write_only
        .address_space:  global
        .offset:         0
        .size:           8
        .value_kind:     global_buffer
      - .actual_access:  write_only
        .address_space:  global
        .offset:         8
        .size:           8
        .value_kind:     global_buffer
      - .actual_access:  read_only
        .address_space:  global
        .offset:         16
        .size:           8
        .value_kind:     global_buffer
      - .actual_access:  read_only
        .address_space:  global
        .offset:         24
        .size:           8
        .value_kind:     global_buffer
      - .actual_access:  read_only
        .address_space:  global
        .offset:         32
        .size:           8
        .value_kind:     global_buffer
      - .actual_access:  read_only
        .address_space:  global
        .offset:         40
        .size:           8
        .value_kind:     global_buffer
      - .offset:         48
        .size:           4
        .value_kind:     by_value
      - .offset:         52
        .size:           4
        .value_kind:     by_value
      - .actual_access:  read_only
        .address_space:  global
        .offset:         56
        .size:           8
        .value_kind:     global_buffer
      - .offset:         64
        .size:           4
        .value_kind:     by_value
      - .offset:         68
        .size:           4
        .value_kind:     by_value
      - .offset:         72
        .size:           4
        .value_kind:     by_value
      - .offset:         76
        .size:           4
        .value_kind:     by_value
      - .offset:         80
        .size:           4
        .value_kind:     by_value
      - .offset:         84
        .size:           4
        .value_kind:     by_value
      - .offset:         88
        .size:           4
        .value_kind:     by_value
      - .offset:         92
        .size:           4
        .value_kind:     by_value
    .group_segment_fixed_size: 4160
    .kernarg_segment_align: 8
    .kernarg_segment_size: 96
    .language:       OpenCL C
    .language_version:
      - 2
      - 0
    .max_flat_workgroup_size: 1024
    .name:           _ZN5aiter36smooth_per_token_scaled_quant_kernelItDB8_Li512ELi16ELb1ELb1ELb1ELi1024EEEvPT0_PfPT_S4_PiS7_iiPKiiiiiiiii
    .private_segment_fixed_size: 0
    .sgpr_count:     49
    .sgpr_spill_count: 0
    .symbol:         _ZN5aiter36smooth_per_token_scaled_quant_kernelItDB8_Li512ELi16ELb1ELb1ELb1ELi1024EEEvPT0_PfPT_S4_PiS7_iiPKiiiiiiiii.kd
    .uniform_work_group_size: 1
    .uses_dynamic_stack: false
    .vgpr_count:     50
    .vgpr_spill_count: 0
    .wavefront_size: 32
    .workgroup_processor_mode: 1
  - .args:
      - .actual_access:  write_only
        .address_space:  global
        .offset:         0
        .size:           8
        .value_kind:     global_buffer
      - .actual_access:  write_only
        .address_space:  global
        .offset:         8
        .size:           8
        .value_kind:     global_buffer
      - .actual_access:  read_only
        .address_space:  global
        .offset:         16
        .size:           8
        .value_kind:     global_buffer
      - .actual_access:  read_only
        .address_space:  global
        .offset:         24
        .size:           8
        .value_kind:     global_buffer
      - .actual_access:  read_only
        .address_space:  global
        .offset:         32
        .size:           8
        .value_kind:     global_buffer
      - .actual_access:  read_only
        .address_space:  global
        .offset:         40
        .size:           8
        .value_kind:     global_buffer
      - .offset:         48
        .size:           4
        .value_kind:     by_value
      - .offset:         52
        .size:           4
        .value_kind:     by_value
      - .actual_access:  read_only
        .address_space:  global
        .offset:         56
        .size:           8
        .value_kind:     global_buffer
      - .offset:         64
        .size:           4
        .value_kind:     by_value
      - .offset:         68
        .size:           4
        .value_kind:     by_value
      - .offset:         72
        .size:           4
        .value_kind:     by_value
      - .offset:         76
        .size:           4
        .value_kind:     by_value
      - .offset:         80
        .size:           4
        .value_kind:     by_value
      - .offset:         84
        .size:           4
        .value_kind:     by_value
      - .offset:         88
        .size:           4
        .value_kind:     by_value
      - .offset:         92
        .size:           4
        .value_kind:     by_value
    .group_segment_fixed_size: 64
    .kernarg_segment_align: 8
    .kernarg_segment_size: 96
    .language:       OpenCL C
    .language_version:
      - 2
      - 0
    .max_flat_workgroup_size: 1024
    .name:           _ZN5aiter36smooth_per_token_scaled_quant_kernelIDF16_DB8_Li512ELi16ELb1ELb1ELb0ELi1024EEEvPT0_PfPT_S4_PiS7_iiPKiiiiiiiii
    .private_segment_fixed_size: 0
    .sgpr_count:     49
    .sgpr_spill_count: 0
    .symbol:         _ZN5aiter36smooth_per_token_scaled_quant_kernelIDF16_DB8_Li512ELi16ELb1ELb1ELb0ELi1024EEEvPT0_PfPT_S4_PiS7_iiPKiiiiiiiii.kd
    .uniform_work_group_size: 1
    .uses_dynamic_stack: false
    .vgpr_count:     50
    .vgpr_spill_count: 0
    .wavefront_size: 32
    .workgroup_processor_mode: 1
  - .args:
      - .actual_access:  write_only
        .address_space:  global
        .offset:         0
        .size:           8
        .value_kind:     global_buffer
      - .actual_access:  write_only
        .address_space:  global
        .offset:         8
        .size:           8
        .value_kind:     global_buffer
      - .actual_access:  read_only
        .address_space:  global
        .offset:         16
        .size:           8
        .value_kind:     global_buffer
      - .actual_access:  read_only
        .address_space:  global
        .offset:         24
        .size:           8
        .value_kind:     global_buffer
      - .actual_access:  read_only
        .address_space:  global
        .offset:         32
        .size:           8
        .value_kind:     global_buffer
      - .actual_access:  read_only
        .address_space:  global
        .offset:         40
        .size:           8
        .value_kind:     global_buffer
      - .offset:         48
        .size:           4
        .value_kind:     by_value
      - .offset:         52
        .size:           4
        .value_kind:     by_value
      - .actual_access:  read_only
        .address_space:  global
        .offset:         56
        .size:           8
        .value_kind:     global_buffer
      - .offset:         64
        .size:           4
        .value_kind:     by_value
      - .offset:         68
        .size:           4
        .value_kind:     by_value
      - .offset:         72
        .size:           4
        .value_kind:     by_value
      - .offset:         76
        .size:           4
        .value_kind:     by_value
      - .offset:         80
        .size:           4
        .value_kind:     by_value
      - .offset:         84
        .size:           4
        .value_kind:     by_value
      - .offset:         88
        .size:           4
        .value_kind:     by_value
      - .offset:         92
        .size:           4
        .value_kind:     by_value
    .group_segment_fixed_size: 64
    .kernarg_segment_align: 8
    .kernarg_segment_size: 96
    .language:       OpenCL C
    .language_version:
      - 2
      - 0
    .max_flat_workgroup_size: 1024
    .name:           _ZN5aiter36smooth_per_token_scaled_quant_kernelItDB8_Li512ELi16ELb1ELb1ELb0ELi1024EEEvPT0_PfPT_S4_PiS7_iiPKiiiiiiiii
    .private_segment_fixed_size: 0
    .sgpr_count:     49
    .sgpr_spill_count: 0
    .symbol:         _ZN5aiter36smooth_per_token_scaled_quant_kernelItDB8_Li512ELi16ELb1ELb1ELb0ELi1024EEEvPT0_PfPT_S4_PiS7_iiPKiiiiiiiii.kd
    .uniform_work_group_size: 1
    .uses_dynamic_stack: false
    .vgpr_count:     50
    .vgpr_spill_count: 0
    .wavefront_size: 32
    .workgroup_processor_mode: 1
  - .args:
      - .actual_access:  write_only
        .address_space:  global
        .offset:         0
        .size:           8
        .value_kind:     global_buffer
      - .actual_access:  write_only
        .address_space:  global
        .offset:         8
        .size:           8
        .value_kind:     global_buffer
      - .actual_access:  read_only
        .address_space:  global
        .offset:         16
        .size:           8
        .value_kind:     global_buffer
      - .actual_access:  read_only
        .address_space:  global
        .offset:         24
        .size:           8
        .value_kind:     global_buffer
      - .actual_access:  read_only
        .address_space:  global
        .offset:         32
        .size:           8
        .value_kind:     global_buffer
      - .actual_access:  read_only
        .address_space:  global
        .offset:         40
        .size:           8
        .value_kind:     global_buffer
      - .offset:         48
        .size:           4
        .value_kind:     by_value
      - .offset:         52
        .size:           4
        .value_kind:     by_value
      - .actual_access:  read_only
        .address_space:  global
        .offset:         56
        .size:           8
        .value_kind:     global_buffer
      - .offset:         64
        .size:           4
        .value_kind:     by_value
      - .offset:         68
        .size:           4
        .value_kind:     by_value
      - .offset:         72
        .size:           4
        .value_kind:     by_value
      - .offset:         76
        .size:           4
        .value_kind:     by_value
      - .offset:         80
        .size:           4
        .value_kind:     by_value
      - .offset:         84
        .size:           4
        .value_kind:     by_value
      - .offset:         88
        .size:           4
        .value_kind:     by_value
      - .offset:         92
        .size:           4
        .value_kind:     by_value
    .group_segment_fixed_size: 64
    .kernarg_segment_align: 8
    .kernarg_segment_size: 96
    .language:       OpenCL C
    .language_version:
      - 2
      - 0
    .max_flat_workgroup_size: 1024
    .name:           _ZN5aiter36smooth_per_token_scaled_quant_kernelIDF16_DB8_Li512ELi16ELb1ELb0ELb0ELi1024EEEvPT0_PfPT_S4_PiS7_iiPKiiiiiiiii
    .private_segment_fixed_size: 0
    .sgpr_count:     42
    .sgpr_spill_count: 0
    .symbol:         _ZN5aiter36smooth_per_token_scaled_quant_kernelIDF16_DB8_Li512ELi16ELb1ELb0ELb0ELi1024EEEvPT0_PfPT_S4_PiS7_iiPKiiiiiiiii.kd
    .uniform_work_group_size: 1
    .uses_dynamic_stack: false
    .vgpr_count:     48
    .vgpr_spill_count: 0
    .wavefront_size: 32
    .workgroup_processor_mode: 1
  - .args:
      - .actual_access:  write_only
        .address_space:  global
        .offset:         0
        .size:           8
        .value_kind:     global_buffer
      - .actual_access:  write_only
        .address_space:  global
        .offset:         8
        .size:           8
        .value_kind:     global_buffer
      - .actual_access:  read_only
        .address_space:  global
        .offset:         16
        .size:           8
        .value_kind:     global_buffer
      - .actual_access:  read_only
        .address_space:  global
        .offset:         24
        .size:           8
        .value_kind:     global_buffer
      - .actual_access:  read_only
        .address_space:  global
        .offset:         32
        .size:           8
        .value_kind:     global_buffer
      - .actual_access:  read_only
        .address_space:  global
        .offset:         40
        .size:           8
        .value_kind:     global_buffer
      - .offset:         48
        .size:           4
        .value_kind:     by_value
      - .offset:         52
        .size:           4
        .value_kind:     by_value
      - .actual_access:  read_only
        .address_space:  global
        .offset:         56
        .size:           8
        .value_kind:     global_buffer
      - .offset:         64
        .size:           4
        .value_kind:     by_value
      - .offset:         68
        .size:           4
        .value_kind:     by_value
      - .offset:         72
        .size:           4
        .value_kind:     by_value
      - .offset:         76
        .size:           4
        .value_kind:     by_value
      - .offset:         80
        .size:           4
        .value_kind:     by_value
      - .offset:         84
        .size:           4
        .value_kind:     by_value
      - .offset:         88
        .size:           4
        .value_kind:     by_value
      - .offset:         92
        .size:           4
        .value_kind:     by_value
    .group_segment_fixed_size: 64
    .kernarg_segment_align: 8
    .kernarg_segment_size: 96
    .language:       OpenCL C
    .language_version:
      - 2
      - 0
    .max_flat_workgroup_size: 1024
    .name:           _ZN5aiter36smooth_per_token_scaled_quant_kernelItDB8_Li512ELi16ELb1ELb0ELb0ELi1024EEEvPT0_PfPT_S4_PiS7_iiPKiiiiiiiii
    .private_segment_fixed_size: 0
    .sgpr_count:     42
    .sgpr_spill_count: 0
    .symbol:         _ZN5aiter36smooth_per_token_scaled_quant_kernelItDB8_Li512ELi16ELb1ELb0ELb0ELi1024EEEvPT0_PfPT_S4_PiS7_iiPKiiiiiiiii.kd
    .uniform_work_group_size: 1
    .uses_dynamic_stack: false
    .vgpr_count:     48
    .vgpr_spill_count: 0
    .wavefront_size: 32
    .workgroup_processor_mode: 1
  - .args:
      - .actual_access:  write_only
        .address_space:  global
        .offset:         0
        .size:           8
        .value_kind:     global_buffer
      - .actual_access:  write_only
        .address_space:  global
        .offset:         8
        .size:           8
        .value_kind:     global_buffer
      - .actual_access:  read_only
        .address_space:  global
        .offset:         16
        .size:           8
        .value_kind:     global_buffer
      - .actual_access:  read_only
        .address_space:  global
        .offset:         24
        .size:           8
        .value_kind:     global_buffer
      - .actual_access:  read_only
        .address_space:  global
        .offset:         32
        .size:           8
        .value_kind:     global_buffer
      - .actual_access:  read_only
        .address_space:  global
        .offset:         40
        .size:           8
        .value_kind:     global_buffer
      - .offset:         48
        .size:           4
        .value_kind:     by_value
      - .offset:         52
        .size:           4
        .value_kind:     by_value
      - .actual_access:  read_only
        .address_space:  global
        .offset:         56
        .size:           8
        .value_kind:     global_buffer
      - .offset:         64
        .size:           4
        .value_kind:     by_value
      - .offset:         68
        .size:           4
        .value_kind:     by_value
      - .offset:         72
        .size:           4
        .value_kind:     by_value
      - .offset:         76
        .size:           4
        .value_kind:     by_value
      - .offset:         80
        .size:           4
        .value_kind:     by_value
      - .offset:         84
        .size:           4
        .value_kind:     by_value
      - .offset:         88
        .size:           4
        .value_kind:     by_value
      - .offset:         92
        .size:           4
        .value_kind:     by_value
    .group_segment_fixed_size: 4160
    .kernarg_segment_align: 8
    .kernarg_segment_size: 96
    .language:       OpenCL C
    .language_version:
      - 2
      - 0
    .max_flat_workgroup_size: 1024
    .name:           _ZN5aiter36smooth_per_token_scaled_quant_kernelIDF16_DB8_Li512ELi16ELb0ELb1ELb1ELi1024EEEvPT0_PfPT_S4_PiS7_iiPKiiiiiiiii
    .private_segment_fixed_size: 0
    .sgpr_count:     45
    .sgpr_spill_count: 0
    .symbol:         _ZN5aiter36smooth_per_token_scaled_quant_kernelIDF16_DB8_Li512ELi16ELb0ELb1ELb1ELi1024EEEvPT0_PfPT_S4_PiS7_iiPKiiiiiiiii.kd
    .uniform_work_group_size: 1
    .uses_dynamic_stack: false
    .vgpr_count:     50
    .vgpr_spill_count: 0
    .wavefront_size: 32
    .workgroup_processor_mode: 1
  - .args:
      - .actual_access:  write_only
        .address_space:  global
        .offset:         0
        .size:           8
        .value_kind:     global_buffer
      - .actual_access:  write_only
        .address_space:  global
        .offset:         8
        .size:           8
        .value_kind:     global_buffer
      - .actual_access:  read_only
        .address_space:  global
        .offset:         16
        .size:           8
        .value_kind:     global_buffer
      - .actual_access:  read_only
        .address_space:  global
        .offset:         24
        .size:           8
        .value_kind:     global_buffer
      - .actual_access:  read_only
        .address_space:  global
        .offset:         32
        .size:           8
        .value_kind:     global_buffer
      - .actual_access:  read_only
        .address_space:  global
        .offset:         40
        .size:           8
        .value_kind:     global_buffer
      - .offset:         48
        .size:           4
        .value_kind:     by_value
      - .offset:         52
        .size:           4
        .value_kind:     by_value
      - .actual_access:  read_only
        .address_space:  global
        .offset:         56
        .size:           8
        .value_kind:     global_buffer
      - .offset:         64
        .size:           4
        .value_kind:     by_value
      - .offset:         68
        .size:           4
        .value_kind:     by_value
      - .offset:         72
        .size:           4
        .value_kind:     by_value
      - .offset:         76
        .size:           4
        .value_kind:     by_value
      - .offset:         80
        .size:           4
        .value_kind:     by_value
      - .offset:         84
        .size:           4
        .value_kind:     by_value
      - .offset:         88
        .size:           4
        .value_kind:     by_value
      - .offset:         92
        .size:           4
        .value_kind:     by_value
    .group_segment_fixed_size: 4160
    .kernarg_segment_align: 8
    .kernarg_segment_size: 96
    .language:       OpenCL C
    .language_version:
      - 2
      - 0
    .max_flat_workgroup_size: 1024
    .name:           _ZN5aiter36smooth_per_token_scaled_quant_kernelItDB8_Li512ELi16ELb0ELb1ELb1ELi1024EEEvPT0_PfPT_S4_PiS7_iiPKiiiiiiiii
    .private_segment_fixed_size: 0
    .sgpr_count:     45
    .sgpr_spill_count: 0
    .symbol:         _ZN5aiter36smooth_per_token_scaled_quant_kernelItDB8_Li512ELi16ELb0ELb1ELb1ELi1024EEEvPT0_PfPT_S4_PiS7_iiPKiiiiiiiii.kd
    .uniform_work_group_size: 1
    .uses_dynamic_stack: false
    .vgpr_count:     50
    .vgpr_spill_count: 0
    .wavefront_size: 32
    .workgroup_processor_mode: 1
  - .args:
      - .actual_access:  write_only
        .address_space:  global
        .offset:         0
        .size:           8
        .value_kind:     global_buffer
      - .actual_access:  write_only
        .address_space:  global
        .offset:         8
        .size:           8
        .value_kind:     global_buffer
      - .actual_access:  read_only
        .address_space:  global
        .offset:         16
        .size:           8
        .value_kind:     global_buffer
      - .actual_access:  read_only
        .address_space:  global
        .offset:         24
        .size:           8
        .value_kind:     global_buffer
      - .actual_access:  read_only
        .address_space:  global
        .offset:         32
        .size:           8
        .value_kind:     global_buffer
      - .actual_access:  read_only
        .address_space:  global
        .offset:         40
        .size:           8
        .value_kind:     global_buffer
      - .offset:         48
        .size:           4
        .value_kind:     by_value
      - .offset:         52
        .size:           4
        .value_kind:     by_value
      - .actual_access:  read_only
        .address_space:  global
        .offset:         56
        .size:           8
        .value_kind:     global_buffer
      - .offset:         64
        .size:           4
        .value_kind:     by_value
      - .offset:         68
        .size:           4
        .value_kind:     by_value
      - .offset:         72
        .size:           4
        .value_kind:     by_value
      - .offset:         76
        .size:           4
        .value_kind:     by_value
      - .offset:         80
        .size:           4
        .value_kind:     by_value
      - .offset:         84
        .size:           4
        .value_kind:     by_value
      - .offset:         88
        .size:           4
        .value_kind:     by_value
      - .offset:         92
        .size:           4
        .value_kind:     by_value
    .group_segment_fixed_size: 64
    .kernarg_segment_align: 8
    .kernarg_segment_size: 96
    .language:       OpenCL C
    .language_version:
      - 2
      - 0
    .max_flat_workgroup_size: 1024
    .name:           _ZN5aiter36smooth_per_token_scaled_quant_kernelIDF16_DB8_Li512ELi16ELb0ELb1ELb0ELi1024EEEvPT0_PfPT_S4_PiS7_iiPKiiiiiiiii
    .private_segment_fixed_size: 0
    .sgpr_count:     44
    .sgpr_spill_count: 0
    .symbol:         _ZN5aiter36smooth_per_token_scaled_quant_kernelIDF16_DB8_Li512ELi16ELb0ELb1ELb0ELi1024EEEvPT0_PfPT_S4_PiS7_iiPKiiiiiiiii.kd
    .uniform_work_group_size: 1
    .uses_dynamic_stack: false
    .vgpr_count:     50
    .vgpr_spill_count: 0
    .wavefront_size: 32
    .workgroup_processor_mode: 1
  - .args:
      - .actual_access:  write_only
        .address_space:  global
        .offset:         0
        .size:           8
        .value_kind:     global_buffer
      - .actual_access:  write_only
        .address_space:  global
        .offset:         8
        .size:           8
        .value_kind:     global_buffer
      - .actual_access:  read_only
        .address_space:  global
        .offset:         16
        .size:           8
        .value_kind:     global_buffer
      - .actual_access:  read_only
        .address_space:  global
        .offset:         24
        .size:           8
        .value_kind:     global_buffer
      - .actual_access:  read_only
        .address_space:  global
        .offset:         32
        .size:           8
        .value_kind:     global_buffer
      - .actual_access:  read_only
        .address_space:  global
        .offset:         40
        .size:           8
        .value_kind:     global_buffer
      - .offset:         48
        .size:           4
        .value_kind:     by_value
      - .offset:         52
        .size:           4
        .value_kind:     by_value
      - .actual_access:  read_only
        .address_space:  global
        .offset:         56
        .size:           8
        .value_kind:     global_buffer
      - .offset:         64
        .size:           4
        .value_kind:     by_value
      - .offset:         68
        .size:           4
        .value_kind:     by_value
      - .offset:         72
        .size:           4
        .value_kind:     by_value
      - .offset:         76
        .size:           4
        .value_kind:     by_value
      - .offset:         80
        .size:           4
        .value_kind:     by_value
      - .offset:         84
        .size:           4
        .value_kind:     by_value
      - .offset:         88
        .size:           4
        .value_kind:     by_value
      - .offset:         92
        .size:           4
        .value_kind:     by_value
    .group_segment_fixed_size: 64
    .kernarg_segment_align: 8
    .kernarg_segment_size: 96
    .language:       OpenCL C
    .language_version:
      - 2
      - 0
    .max_flat_workgroup_size: 1024
    .name:           _ZN5aiter36smooth_per_token_scaled_quant_kernelItDB8_Li512ELi16ELb0ELb1ELb0ELi1024EEEvPT0_PfPT_S4_PiS7_iiPKiiiiiiiii
    .private_segment_fixed_size: 0
    .sgpr_count:     44
    .sgpr_spill_count: 0
    .symbol:         _ZN5aiter36smooth_per_token_scaled_quant_kernelItDB8_Li512ELi16ELb0ELb1ELb0ELi1024EEEvPT0_PfPT_S4_PiS7_iiPKiiiiiiiii.kd
    .uniform_work_group_size: 1
    .uses_dynamic_stack: false
    .vgpr_count:     50
    .vgpr_spill_count: 0
    .wavefront_size: 32
    .workgroup_processor_mode: 1
  - .args:
      - .actual_access:  write_only
        .address_space:  global
        .offset:         0
        .size:           8
        .value_kind:     global_buffer
      - .actual_access:  write_only
        .address_space:  global
        .offset:         8
        .size:           8
        .value_kind:     global_buffer
      - .actual_access:  read_only
        .address_space:  global
        .offset:         16
        .size:           8
        .value_kind:     global_buffer
      - .actual_access:  read_only
        .address_space:  global
        .offset:         24
        .size:           8
        .value_kind:     global_buffer
      - .actual_access:  read_only
        .address_space:  global
        .offset:         32
        .size:           8
        .value_kind:     global_buffer
      - .actual_access:  read_only
        .address_space:  global
        .offset:         40
        .size:           8
        .value_kind:     global_buffer
      - .offset:         48
        .size:           4
        .value_kind:     by_value
      - .offset:         52
        .size:           4
        .value_kind:     by_value
      - .actual_access:  read_only
        .address_space:  global
        .offset:         56
        .size:           8
        .value_kind:     global_buffer
      - .offset:         64
        .size:           4
        .value_kind:     by_value
      - .offset:         68
        .size:           4
        .value_kind:     by_value
      - .offset:         72
        .size:           4
        .value_kind:     by_value
      - .offset:         76
        .size:           4
        .value_kind:     by_value
      - .offset:         80
        .size:           4
        .value_kind:     by_value
      - .offset:         84
        .size:           4
        .value_kind:     by_value
      - .offset:         88
        .size:           4
        .value_kind:     by_value
      - .offset:         92
        .size:           4
        .value_kind:     by_value
    .group_segment_fixed_size: 64
    .kernarg_segment_align: 8
    .kernarg_segment_size: 96
    .language:       OpenCL C
    .language_version:
      - 2
      - 0
    .max_flat_workgroup_size: 1024
    .name:           _ZN5aiter36smooth_per_token_scaled_quant_kernelIDF16_DB8_Li512ELi16ELb0ELb0ELb0ELi1024EEEvPT0_PfPT_S4_PiS7_iiPKiiiiiiiii
    .private_segment_fixed_size: 0
    .sgpr_count:     38
    .sgpr_spill_count: 0
    .symbol:         _ZN5aiter36smooth_per_token_scaled_quant_kernelIDF16_DB8_Li512ELi16ELb0ELb0ELb0ELi1024EEEvPT0_PfPT_S4_PiS7_iiPKiiiiiiiii.kd
    .uniform_work_group_size: 1
    .uses_dynamic_stack: false
    .vgpr_count:     48
    .vgpr_spill_count: 0
    .wavefront_size: 32
    .workgroup_processor_mode: 1
  - .args:
      - .actual_access:  write_only
        .address_space:  global
        .offset:         0
        .size:           8
        .value_kind:     global_buffer
      - .actual_access:  write_only
        .address_space:  global
        .offset:         8
        .size:           8
        .value_kind:     global_buffer
      - .actual_access:  read_only
        .address_space:  global
        .offset:         16
        .size:           8
        .value_kind:     global_buffer
      - .actual_access:  read_only
        .address_space:  global
        .offset:         24
        .size:           8
        .value_kind:     global_buffer
      - .actual_access:  read_only
        .address_space:  global
        .offset:         32
        .size:           8
        .value_kind:     global_buffer
      - .actual_access:  read_only
        .address_space:  global
        .offset:         40
        .size:           8
        .value_kind:     global_buffer
      - .offset:         48
        .size:           4
        .value_kind:     by_value
      - .offset:         52
        .size:           4
        .value_kind:     by_value
      - .actual_access:  read_only
        .address_space:  global
        .offset:         56
        .size:           8
        .value_kind:     global_buffer
      - .offset:         64
        .size:           4
        .value_kind:     by_value
      - .offset:         68
        .size:           4
        .value_kind:     by_value
      - .offset:         72
        .size:           4
        .value_kind:     by_value
      - .offset:         76
        .size:           4
        .value_kind:     by_value
      - .offset:         80
        .size:           4
        .value_kind:     by_value
      - .offset:         84
        .size:           4
        .value_kind:     by_value
      - .offset:         88
        .size:           4
        .value_kind:     by_value
      - .offset:         92
        .size:           4
        .value_kind:     by_value
    .group_segment_fixed_size: 64
    .kernarg_segment_align: 8
    .kernarg_segment_size: 96
    .language:       OpenCL C
    .language_version:
      - 2
      - 0
    .max_flat_workgroup_size: 1024
    .name:           _ZN5aiter36smooth_per_token_scaled_quant_kernelItDB8_Li512ELi16ELb0ELb0ELb0ELi1024EEEvPT0_PfPT_S4_PiS7_iiPKiiiiiiiii
    .private_segment_fixed_size: 0
    .sgpr_count:     38
    .sgpr_spill_count: 0
    .symbol:         _ZN5aiter36smooth_per_token_scaled_quant_kernelItDB8_Li512ELi16ELb0ELb0ELb0ELi1024EEEvPT0_PfPT_S4_PiS7_iiPKiiiiiiiii.kd
    .uniform_work_group_size: 1
    .uses_dynamic_stack: false
    .vgpr_count:     48
    .vgpr_spill_count: 0
    .wavefront_size: 32
    .workgroup_processor_mode: 1
  - .args:
      - .actual_access:  write_only
        .address_space:  global
        .offset:         0
        .size:           8
        .value_kind:     global_buffer
      - .actual_access:  write_only
        .address_space:  global
        .offset:         8
        .size:           8
        .value_kind:     global_buffer
      - .actual_access:  read_only
        .address_space:  global
        .offset:         16
        .size:           8
        .value_kind:     global_buffer
      - .actual_access:  read_only
        .address_space:  global
        .offset:         24
        .size:           8
        .value_kind:     global_buffer
      - .actual_access:  read_only
        .address_space:  global
        .offset:         32
        .size:           8
        .value_kind:     global_buffer
      - .actual_access:  read_only
        .address_space:  global
        .offset:         40
        .size:           8
        .value_kind:     global_buffer
      - .offset:         48
        .size:           4
        .value_kind:     by_value
      - .offset:         52
        .size:           4
        .value_kind:     by_value
      - .actual_access:  read_only
        .address_space:  global
        .offset:         56
        .size:           8
        .value_kind:     global_buffer
      - .offset:         64
        .size:           4
        .value_kind:     by_value
      - .offset:         68
        .size:           4
        .value_kind:     by_value
      - .offset:         72
        .size:           4
        .value_kind:     by_value
      - .offset:         76
        .size:           4
        .value_kind:     by_value
      - .offset:         80
        .size:           4
        .value_kind:     by_value
      - .offset:         84
        .size:           4
        .value_kind:     by_value
      - .offset:         88
        .size:           4
        .value_kind:     by_value
      - .offset:         92
        .size:           4
        .value_kind:     by_value
    .group_segment_fixed_size: 4128
    .kernarg_segment_align: 8
    .kernarg_segment_size: 96
    .language:       OpenCL C
    .language_version:
      - 2
      - 0
    .max_flat_workgroup_size: 1024
    .name:           _ZN5aiter36smooth_per_token_scaled_quant_kernelIDF16_aLi256ELi8ELb1ELb1ELb1ELi1024EEEvPT0_PfPT_S3_PiS6_iiPKiiiiiiiii
    .private_segment_fixed_size: 0
    .sgpr_count:     49
    .sgpr_spill_count: 0
    .symbol:         _ZN5aiter36smooth_per_token_scaled_quant_kernelIDF16_aLi256ELi8ELb1ELb1ELb1ELi1024EEEvPT0_PfPT_S3_PiS6_iiPKiiiiiiiii.kd
    .uniform_work_group_size: 1
    .uses_dynamic_stack: false
    .vgpr_count:     28
    .vgpr_spill_count: 0
    .wavefront_size: 32
    .workgroup_processor_mode: 1
  - .args:
      - .actual_access:  write_only
        .address_space:  global
        .offset:         0
        .size:           8
        .value_kind:     global_buffer
      - .actual_access:  write_only
        .address_space:  global
        .offset:         8
        .size:           8
        .value_kind:     global_buffer
      - .actual_access:  read_only
        .address_space:  global
        .offset:         16
        .size:           8
        .value_kind:     global_buffer
      - .actual_access:  read_only
        .address_space:  global
        .offset:         24
        .size:           8
        .value_kind:     global_buffer
      - .actual_access:  read_only
        .address_space:  global
        .offset:         32
        .size:           8
        .value_kind:     global_buffer
      - .actual_access:  read_only
        .address_space:  global
        .offset:         40
        .size:           8
        .value_kind:     global_buffer
      - .offset:         48
        .size:           4
        .value_kind:     by_value
      - .offset:         52
        .size:           4
        .value_kind:     by_value
      - .actual_access:  read_only
        .address_space:  global
        .offset:         56
        .size:           8
        .value_kind:     global_buffer
      - .offset:         64
        .size:           4
        .value_kind:     by_value
      - .offset:         68
        .size:           4
        .value_kind:     by_value
      - .offset:         72
        .size:           4
        .value_kind:     by_value
      - .offset:         76
        .size:           4
        .value_kind:     by_value
      - .offset:         80
        .size:           4
        .value_kind:     by_value
      - .offset:         84
        .size:           4
        .value_kind:     by_value
      - .offset:         88
        .size:           4
        .value_kind:     by_value
      - .offset:         92
        .size:           4
        .value_kind:     by_value
    .group_segment_fixed_size: 4128
    .kernarg_segment_align: 8
    .kernarg_segment_size: 96
    .language:       OpenCL C
    .language_version:
      - 2
      - 0
    .max_flat_workgroup_size: 1024
    .name:           _ZN5aiter36smooth_per_token_scaled_quant_kernelItaLi256ELi8ELb1ELb1ELb1ELi1024EEEvPT0_PfPT_S3_PiS6_iiPKiiiiiiiii
    .private_segment_fixed_size: 0
    .sgpr_count:     49
    .sgpr_spill_count: 0
    .symbol:         _ZN5aiter36smooth_per_token_scaled_quant_kernelItaLi256ELi8ELb1ELb1ELb1ELi1024EEEvPT0_PfPT_S3_PiS6_iiPKiiiiiiiii.kd
    .uniform_work_group_size: 1
    .uses_dynamic_stack: false
    .vgpr_count:     28
    .vgpr_spill_count: 0
    .wavefront_size: 32
    .workgroup_processor_mode: 1
  - .args:
      - .actual_access:  write_only
        .address_space:  global
        .offset:         0
        .size:           8
        .value_kind:     global_buffer
      - .actual_access:  write_only
        .address_space:  global
        .offset:         8
        .size:           8
        .value_kind:     global_buffer
      - .actual_access:  read_only
        .address_space:  global
        .offset:         16
        .size:           8
        .value_kind:     global_buffer
      - .actual_access:  read_only
        .address_space:  global
        .offset:         24
        .size:           8
        .value_kind:     global_buffer
      - .actual_access:  read_only
        .address_space:  global
        .offset:         32
        .size:           8
        .value_kind:     global_buffer
      - .actual_access:  read_only
        .address_space:  global
        .offset:         40
        .size:           8
        .value_kind:     global_buffer
      - .offset:         48
        .size:           4
        .value_kind:     by_value
      - .offset:         52
        .size:           4
        .value_kind:     by_value
      - .actual_access:  read_only
        .address_space:  global
        .offset:         56
        .size:           8
        .value_kind:     global_buffer
      - .offset:         64
        .size:           4
        .value_kind:     by_value
      - .offset:         68
        .size:           4
        .value_kind:     by_value
      - .offset:         72
        .size:           4
        .value_kind:     by_value
      - .offset:         76
        .size:           4
        .value_kind:     by_value
      - .offset:         80
        .size:           4
        .value_kind:     by_value
      - .offset:         84
        .size:           4
        .value_kind:     by_value
      - .offset:         88
        .size:           4
        .value_kind:     by_value
      - .offset:         92
        .size:           4
        .value_kind:     by_value
    .group_segment_fixed_size: 32
    .kernarg_segment_align: 8
    .kernarg_segment_size: 96
    .language:       OpenCL C
    .language_version:
      - 2
      - 0
    .max_flat_workgroup_size: 1024
    .name:           _ZN5aiter36smooth_per_token_scaled_quant_kernelIDF16_aLi256ELi8ELb1ELb1ELb0ELi1024EEEvPT0_PfPT_S3_PiS6_iiPKiiiiiiiii
    .private_segment_fixed_size: 0
    .sgpr_count:     49
    .sgpr_spill_count: 0
    .symbol:         _ZN5aiter36smooth_per_token_scaled_quant_kernelIDF16_aLi256ELi8ELb1ELb1ELb0ELi1024EEEvPT0_PfPT_S3_PiS6_iiPKiiiiiiiii.kd
    .uniform_work_group_size: 1
    .uses_dynamic_stack: false
    .vgpr_count:     28
    .vgpr_spill_count: 0
    .wavefront_size: 32
    .workgroup_processor_mode: 1
  - .args:
      - .actual_access:  write_only
        .address_space:  global
        .offset:         0
        .size:           8
        .value_kind:     global_buffer
      - .actual_access:  write_only
        .address_space:  global
        .offset:         8
        .size:           8
        .value_kind:     global_buffer
      - .actual_access:  read_only
        .address_space:  global
        .offset:         16
        .size:           8
        .value_kind:     global_buffer
      - .actual_access:  read_only
        .address_space:  global
        .offset:         24
        .size:           8
        .value_kind:     global_buffer
      - .actual_access:  read_only
        .address_space:  global
        .offset:         32
        .size:           8
        .value_kind:     global_buffer
      - .actual_access:  read_only
        .address_space:  global
        .offset:         40
        .size:           8
        .value_kind:     global_buffer
      - .offset:         48
        .size:           4
        .value_kind:     by_value
      - .offset:         52
        .size:           4
        .value_kind:     by_value
      - .actual_access:  read_only
        .address_space:  global
        .offset:         56
        .size:           8
        .value_kind:     global_buffer
      - .offset:         64
        .size:           4
        .value_kind:     by_value
      - .offset:         68
        .size:           4
        .value_kind:     by_value
      - .offset:         72
        .size:           4
        .value_kind:     by_value
      - .offset:         76
        .size:           4
        .value_kind:     by_value
      - .offset:         80
        .size:           4
        .value_kind:     by_value
      - .offset:         84
        .size:           4
        .value_kind:     by_value
      - .offset:         88
        .size:           4
        .value_kind:     by_value
      - .offset:         92
        .size:           4
        .value_kind:     by_value
    .group_segment_fixed_size: 32
    .kernarg_segment_align: 8
    .kernarg_segment_size: 96
    .language:       OpenCL C
    .language_version:
      - 2
      - 0
    .max_flat_workgroup_size: 1024
    .name:           _ZN5aiter36smooth_per_token_scaled_quant_kernelItaLi256ELi8ELb1ELb1ELb0ELi1024EEEvPT0_PfPT_S3_PiS6_iiPKiiiiiiiii
    .private_segment_fixed_size: 0
    .sgpr_count:     49
    .sgpr_spill_count: 0
    .symbol:         _ZN5aiter36smooth_per_token_scaled_quant_kernelItaLi256ELi8ELb1ELb1ELb0ELi1024EEEvPT0_PfPT_S3_PiS6_iiPKiiiiiiiii.kd
    .uniform_work_group_size: 1
    .uses_dynamic_stack: false
    .vgpr_count:     28
    .vgpr_spill_count: 0
    .wavefront_size: 32
    .workgroup_processor_mode: 1
  - .args:
      - .actual_access:  write_only
        .address_space:  global
        .offset:         0
        .size:           8
        .value_kind:     global_buffer
      - .actual_access:  write_only
        .address_space:  global
        .offset:         8
        .size:           8
        .value_kind:     global_buffer
      - .actual_access:  read_only
        .address_space:  global
        .offset:         16
        .size:           8
        .value_kind:     global_buffer
      - .actual_access:  read_only
        .address_space:  global
        .offset:         24
        .size:           8
        .value_kind:     global_buffer
      - .actual_access:  read_only
        .address_space:  global
        .offset:         32
        .size:           8
        .value_kind:     global_buffer
      - .actual_access:  read_only
        .address_space:  global
        .offset:         40
        .size:           8
        .value_kind:     global_buffer
      - .offset:         48
        .size:           4
        .value_kind:     by_value
      - .offset:         52
        .size:           4
        .value_kind:     by_value
      - .actual_access:  read_only
        .address_space:  global
        .offset:         56
        .size:           8
        .value_kind:     global_buffer
      - .offset:         64
        .size:           4
        .value_kind:     by_value
      - .offset:         68
        .size:           4
        .value_kind:     by_value
      - .offset:         72
        .size:           4
        .value_kind:     by_value
      - .offset:         76
        .size:           4
        .value_kind:     by_value
      - .offset:         80
        .size:           4
        .value_kind:     by_value
      - .offset:         84
        .size:           4
        .value_kind:     by_value
      - .offset:         88
        .size:           4
        .value_kind:     by_value
      - .offset:         92
        .size:           4
        .value_kind:     by_value
    .group_segment_fixed_size: 32
    .kernarg_segment_align: 8
    .kernarg_segment_size: 96
    .language:       OpenCL C
    .language_version:
      - 2
      - 0
    .max_flat_workgroup_size: 1024
    .name:           _ZN5aiter36smooth_per_token_scaled_quant_kernelIDF16_aLi256ELi8ELb1ELb0ELb0ELi1024EEEvPT0_PfPT_S3_PiS6_iiPKiiiiiiiii
    .private_segment_fixed_size: 0
    .sgpr_count:     42
    .sgpr_spill_count: 0
    .symbol:         _ZN5aiter36smooth_per_token_scaled_quant_kernelIDF16_aLi256ELi8ELb1ELb0ELb0ELi1024EEEvPT0_PfPT_S3_PiS6_iiPKiiiiiiiii.kd
    .uniform_work_group_size: 1
    .uses_dynamic_stack: false
    .vgpr_count:     25
    .vgpr_spill_count: 0
    .wavefront_size: 32
    .workgroup_processor_mode: 1
  - .args:
      - .actual_access:  write_only
        .address_space:  global
        .offset:         0
        .size:           8
        .value_kind:     global_buffer
      - .actual_access:  write_only
        .address_space:  global
        .offset:         8
        .size:           8
        .value_kind:     global_buffer
      - .actual_access:  read_only
        .address_space:  global
        .offset:         16
        .size:           8
        .value_kind:     global_buffer
      - .actual_access:  read_only
        .address_space:  global
        .offset:         24
        .size:           8
        .value_kind:     global_buffer
      - .actual_access:  read_only
        .address_space:  global
        .offset:         32
        .size:           8
        .value_kind:     global_buffer
      - .actual_access:  read_only
        .address_space:  global
        .offset:         40
        .size:           8
        .value_kind:     global_buffer
      - .offset:         48
        .size:           4
        .value_kind:     by_value
      - .offset:         52
        .size:           4
        .value_kind:     by_value
      - .actual_access:  read_only
        .address_space:  global
        .offset:         56
        .size:           8
        .value_kind:     global_buffer
      - .offset:         64
        .size:           4
        .value_kind:     by_value
      - .offset:         68
        .size:           4
        .value_kind:     by_value
      - .offset:         72
        .size:           4
        .value_kind:     by_value
      - .offset:         76
        .size:           4
        .value_kind:     by_value
      - .offset:         80
        .size:           4
        .value_kind:     by_value
      - .offset:         84
        .size:           4
        .value_kind:     by_value
      - .offset:         88
        .size:           4
        .value_kind:     by_value
      - .offset:         92
        .size:           4
        .value_kind:     by_value
    .group_segment_fixed_size: 32
    .kernarg_segment_align: 8
    .kernarg_segment_size: 96
    .language:       OpenCL C
    .language_version:
      - 2
      - 0
    .max_flat_workgroup_size: 1024
    .name:           _ZN5aiter36smooth_per_token_scaled_quant_kernelItaLi256ELi8ELb1ELb0ELb0ELi1024EEEvPT0_PfPT_S3_PiS6_iiPKiiiiiiiii
    .private_segment_fixed_size: 0
    .sgpr_count:     42
    .sgpr_spill_count: 0
    .symbol:         _ZN5aiter36smooth_per_token_scaled_quant_kernelItaLi256ELi8ELb1ELb0ELb0ELi1024EEEvPT0_PfPT_S3_PiS6_iiPKiiiiiiiii.kd
    .uniform_work_group_size: 1
    .uses_dynamic_stack: false
    .vgpr_count:     25
    .vgpr_spill_count: 0
    .wavefront_size: 32
    .workgroup_processor_mode: 1
  - .args:
      - .actual_access:  write_only
        .address_space:  global
        .offset:         0
        .size:           8
        .value_kind:     global_buffer
      - .actual_access:  write_only
        .address_space:  global
        .offset:         8
        .size:           8
        .value_kind:     global_buffer
      - .actual_access:  read_only
        .address_space:  global
        .offset:         16
        .size:           8
        .value_kind:     global_buffer
      - .actual_access:  read_only
        .address_space:  global
        .offset:         24
        .size:           8
        .value_kind:     global_buffer
      - .actual_access:  read_only
        .address_space:  global
        .offset:         32
        .size:           8
        .value_kind:     global_buffer
      - .actual_access:  read_only
        .address_space:  global
        .offset:         40
        .size:           8
        .value_kind:     global_buffer
      - .offset:         48
        .size:           4
        .value_kind:     by_value
      - .offset:         52
        .size:           4
        .value_kind:     by_value
      - .actual_access:  read_only
        .address_space:  global
        .offset:         56
        .size:           8
        .value_kind:     global_buffer
      - .offset:         64
        .size:           4
        .value_kind:     by_value
      - .offset:         68
        .size:           4
        .value_kind:     by_value
      - .offset:         72
        .size:           4
        .value_kind:     by_value
      - .offset:         76
        .size:           4
        .value_kind:     by_value
      - .offset:         80
        .size:           4
        .value_kind:     by_value
      - .offset:         84
        .size:           4
        .value_kind:     by_value
      - .offset:         88
        .size:           4
        .value_kind:     by_value
      - .offset:         92
        .size:           4
        .value_kind:     by_value
    .group_segment_fixed_size: 4128
    .kernarg_segment_align: 8
    .kernarg_segment_size: 96
    .language:       OpenCL C
    .language_version:
      - 2
      - 0
    .max_flat_workgroup_size: 1024
    .name:           _ZN5aiter36smooth_per_token_scaled_quant_kernelIDF16_aLi256ELi8ELb0ELb1ELb1ELi1024EEEvPT0_PfPT_S3_PiS6_iiPKiiiiiiiii
    .private_segment_fixed_size: 0
    .sgpr_count:     45
    .sgpr_spill_count: 0
    .symbol:         _ZN5aiter36smooth_per_token_scaled_quant_kernelIDF16_aLi256ELi8ELb0ELb1ELb1ELi1024EEEvPT0_PfPT_S3_PiS6_iiPKiiiiiiiii.kd
    .uniform_work_group_size: 1
    .uses_dynamic_stack: false
    .vgpr_count:     28
    .vgpr_spill_count: 0
    .wavefront_size: 32
    .workgroup_processor_mode: 1
  - .args:
      - .actual_access:  write_only
        .address_space:  global
        .offset:         0
        .size:           8
        .value_kind:     global_buffer
      - .actual_access:  write_only
        .address_space:  global
        .offset:         8
        .size:           8
        .value_kind:     global_buffer
      - .actual_access:  read_only
        .address_space:  global
        .offset:         16
        .size:           8
        .value_kind:     global_buffer
      - .actual_access:  read_only
        .address_space:  global
        .offset:         24
        .size:           8
        .value_kind:     global_buffer
      - .actual_access:  read_only
        .address_space:  global
        .offset:         32
        .size:           8
        .value_kind:     global_buffer
      - .actual_access:  read_only
        .address_space:  global
        .offset:         40
        .size:           8
        .value_kind:     global_buffer
      - .offset:         48
        .size:           4
        .value_kind:     by_value
      - .offset:         52
        .size:           4
        .value_kind:     by_value
      - .actual_access:  read_only
        .address_space:  global
        .offset:         56
        .size:           8
        .value_kind:     global_buffer
      - .offset:         64
        .size:           4
        .value_kind:     by_value
      - .offset:         68
        .size:           4
        .value_kind:     by_value
      - .offset:         72
        .size:           4
        .value_kind:     by_value
      - .offset:         76
        .size:           4
        .value_kind:     by_value
      - .offset:         80
        .size:           4
        .value_kind:     by_value
      - .offset:         84
        .size:           4
        .value_kind:     by_value
      - .offset:         88
        .size:           4
        .value_kind:     by_value
      - .offset:         92
        .size:           4
        .value_kind:     by_value
    .group_segment_fixed_size: 4128
    .kernarg_segment_align: 8
    .kernarg_segment_size: 96
    .language:       OpenCL C
    .language_version:
      - 2
      - 0
    .max_flat_workgroup_size: 1024
    .name:           _ZN5aiter36smooth_per_token_scaled_quant_kernelItaLi256ELi8ELb0ELb1ELb1ELi1024EEEvPT0_PfPT_S3_PiS6_iiPKiiiiiiiii
    .private_segment_fixed_size: 0
    .sgpr_count:     45
    .sgpr_spill_count: 0
    .symbol:         _ZN5aiter36smooth_per_token_scaled_quant_kernelItaLi256ELi8ELb0ELb1ELb1ELi1024EEEvPT0_PfPT_S3_PiS6_iiPKiiiiiiiii.kd
    .uniform_work_group_size: 1
    .uses_dynamic_stack: false
    .vgpr_count:     28
    .vgpr_spill_count: 0
    .wavefront_size: 32
    .workgroup_processor_mode: 1
  - .args:
      - .actual_access:  write_only
        .address_space:  global
        .offset:         0
        .size:           8
        .value_kind:     global_buffer
      - .actual_access:  write_only
        .address_space:  global
        .offset:         8
        .size:           8
        .value_kind:     global_buffer
      - .actual_access:  read_only
        .address_space:  global
        .offset:         16
        .size:           8
        .value_kind:     global_buffer
      - .actual_access:  read_only
        .address_space:  global
        .offset:         24
        .size:           8
        .value_kind:     global_buffer
      - .actual_access:  read_only
        .address_space:  global
        .offset:         32
        .size:           8
        .value_kind:     global_buffer
      - .actual_access:  read_only
        .address_space:  global
        .offset:         40
        .size:           8
        .value_kind:     global_buffer
      - .offset:         48
        .size:           4
        .value_kind:     by_value
      - .offset:         52
        .size:           4
        .value_kind:     by_value
      - .actual_access:  read_only
        .address_space:  global
        .offset:         56
        .size:           8
        .value_kind:     global_buffer
      - .offset:         64
        .size:           4
        .value_kind:     by_value
      - .offset:         68
        .size:           4
        .value_kind:     by_value
      - .offset:         72
        .size:           4
        .value_kind:     by_value
      - .offset:         76
        .size:           4
        .value_kind:     by_value
      - .offset:         80
        .size:           4
        .value_kind:     by_value
      - .offset:         84
        .size:           4
        .value_kind:     by_value
      - .offset:         88
        .size:           4
        .value_kind:     by_value
      - .offset:         92
        .size:           4
        .value_kind:     by_value
    .group_segment_fixed_size: 32
    .kernarg_segment_align: 8
    .kernarg_segment_size: 96
    .language:       OpenCL C
    .language_version:
      - 2
      - 0
    .max_flat_workgroup_size: 1024
    .name:           _ZN5aiter36smooth_per_token_scaled_quant_kernelIDF16_aLi256ELi8ELb0ELb1ELb0ELi1024EEEvPT0_PfPT_S3_PiS6_iiPKiiiiiiiii
    .private_segment_fixed_size: 0
    .sgpr_count:     45
    .sgpr_spill_count: 0
    .symbol:         _ZN5aiter36smooth_per_token_scaled_quant_kernelIDF16_aLi256ELi8ELb0ELb1ELb0ELi1024EEEvPT0_PfPT_S3_PiS6_iiPKiiiiiiiii.kd
    .uniform_work_group_size: 1
    .uses_dynamic_stack: false
    .vgpr_count:     28
    .vgpr_spill_count: 0
    .wavefront_size: 32
    .workgroup_processor_mode: 1
  - .args:
      - .actual_access:  write_only
        .address_space:  global
        .offset:         0
        .size:           8
        .value_kind:     global_buffer
      - .actual_access:  write_only
        .address_space:  global
        .offset:         8
        .size:           8
        .value_kind:     global_buffer
      - .actual_access:  read_only
        .address_space:  global
        .offset:         16
        .size:           8
        .value_kind:     global_buffer
      - .actual_access:  read_only
        .address_space:  global
        .offset:         24
        .size:           8
        .value_kind:     global_buffer
      - .actual_access:  read_only
        .address_space:  global
        .offset:         32
        .size:           8
        .value_kind:     global_buffer
      - .actual_access:  read_only
        .address_space:  global
        .offset:         40
        .size:           8
        .value_kind:     global_buffer
      - .offset:         48
        .size:           4
        .value_kind:     by_value
      - .offset:         52
        .size:           4
        .value_kind:     by_value
      - .actual_access:  read_only
        .address_space:  global
        .offset:         56
        .size:           8
        .value_kind:     global_buffer
      - .offset:         64
        .size:           4
        .value_kind:     by_value
      - .offset:         68
        .size:           4
        .value_kind:     by_value
      - .offset:         72
        .size:           4
        .value_kind:     by_value
      - .offset:         76
        .size:           4
        .value_kind:     by_value
      - .offset:         80
        .size:           4
        .value_kind:     by_value
      - .offset:         84
        .size:           4
        .value_kind:     by_value
      - .offset:         88
        .size:           4
        .value_kind:     by_value
      - .offset:         92
        .size:           4
        .value_kind:     by_value
    .group_segment_fixed_size: 32
    .kernarg_segment_align: 8
    .kernarg_segment_size: 96
    .language:       OpenCL C
    .language_version:
      - 2
      - 0
    .max_flat_workgroup_size: 1024
    .name:           _ZN5aiter36smooth_per_token_scaled_quant_kernelItaLi256ELi8ELb0ELb1ELb0ELi1024EEEvPT0_PfPT_S3_PiS6_iiPKiiiiiiiii
    .private_segment_fixed_size: 0
    .sgpr_count:     45
    .sgpr_spill_count: 0
    .symbol:         _ZN5aiter36smooth_per_token_scaled_quant_kernelItaLi256ELi8ELb0ELb1ELb0ELi1024EEEvPT0_PfPT_S3_PiS6_iiPKiiiiiiiii.kd
    .uniform_work_group_size: 1
    .uses_dynamic_stack: false
    .vgpr_count:     28
    .vgpr_spill_count: 0
    .wavefront_size: 32
    .workgroup_processor_mode: 1
  - .args:
      - .actual_access:  write_only
        .address_space:  global
        .offset:         0
        .size:           8
        .value_kind:     global_buffer
      - .actual_access:  write_only
        .address_space:  global
        .offset:         8
        .size:           8
        .value_kind:     global_buffer
      - .actual_access:  read_only
        .address_space:  global
        .offset:         16
        .size:           8
        .value_kind:     global_buffer
      - .actual_access:  read_only
        .address_space:  global
        .offset:         24
        .size:           8
        .value_kind:     global_buffer
      - .actual_access:  read_only
        .address_space:  global
        .offset:         32
        .size:           8
        .value_kind:     global_buffer
      - .actual_access:  read_only
        .address_space:  global
        .offset:         40
        .size:           8
        .value_kind:     global_buffer
      - .offset:         48
        .size:           4
        .value_kind:     by_value
      - .offset:         52
        .size:           4
        .value_kind:     by_value
      - .actual_access:  read_only
        .address_space:  global
        .offset:         56
        .size:           8
        .value_kind:     global_buffer
      - .offset:         64
        .size:           4
        .value_kind:     by_value
      - .offset:         68
        .size:           4
        .value_kind:     by_value
      - .offset:         72
        .size:           4
        .value_kind:     by_value
      - .offset:         76
        .size:           4
        .value_kind:     by_value
      - .offset:         80
        .size:           4
        .value_kind:     by_value
      - .offset:         84
        .size:           4
        .value_kind:     by_value
      - .offset:         88
        .size:           4
        .value_kind:     by_value
      - .offset:         92
        .size:           4
        .value_kind:     by_value
    .group_segment_fixed_size: 32
    .kernarg_segment_align: 8
    .kernarg_segment_size: 96
    .language:       OpenCL C
    .language_version:
      - 2
      - 0
    .max_flat_workgroup_size: 1024
    .name:           _ZN5aiter36smooth_per_token_scaled_quant_kernelIDF16_aLi256ELi8ELb0ELb0ELb0ELi1024EEEvPT0_PfPT_S3_PiS6_iiPKiiiiiiiii
    .private_segment_fixed_size: 0
    .sgpr_count:     38
    .sgpr_spill_count: 0
    .symbol:         _ZN5aiter36smooth_per_token_scaled_quant_kernelIDF16_aLi256ELi8ELb0ELb0ELb0ELi1024EEEvPT0_PfPT_S3_PiS6_iiPKiiiiiiiii.kd
    .uniform_work_group_size: 1
    .uses_dynamic_stack: false
    .vgpr_count:     25
    .vgpr_spill_count: 0
    .wavefront_size: 32
    .workgroup_processor_mode: 1
  - .args:
      - .actual_access:  write_only
        .address_space:  global
        .offset:         0
        .size:           8
        .value_kind:     global_buffer
      - .actual_access:  write_only
        .address_space:  global
        .offset:         8
        .size:           8
        .value_kind:     global_buffer
      - .actual_access:  read_only
        .address_space:  global
        .offset:         16
        .size:           8
        .value_kind:     global_buffer
      - .actual_access:  read_only
        .address_space:  global
        .offset:         24
        .size:           8
        .value_kind:     global_buffer
      - .actual_access:  read_only
        .address_space:  global
        .offset:         32
        .size:           8
        .value_kind:     global_buffer
      - .actual_access:  read_only
        .address_space:  global
        .offset:         40
        .size:           8
        .value_kind:     global_buffer
      - .offset:         48
        .size:           4
        .value_kind:     by_value
      - .offset:         52
        .size:           4
        .value_kind:     by_value
      - .actual_access:  read_only
        .address_space:  global
        .offset:         56
        .size:           8
        .value_kind:     global_buffer
      - .offset:         64
        .size:           4
        .value_kind:     by_value
      - .offset:         68
        .size:           4
        .value_kind:     by_value
      - .offset:         72
        .size:           4
        .value_kind:     by_value
      - .offset:         76
        .size:           4
        .value_kind:     by_value
      - .offset:         80
        .size:           4
        .value_kind:     by_value
      - .offset:         84
        .size:           4
        .value_kind:     by_value
      - .offset:         88
        .size:           4
        .value_kind:     by_value
      - .offset:         92
        .size:           4
        .value_kind:     by_value
    .group_segment_fixed_size: 32
    .kernarg_segment_align: 8
    .kernarg_segment_size: 96
    .language:       OpenCL C
    .language_version:
      - 2
      - 0
    .max_flat_workgroup_size: 1024
    .name:           _ZN5aiter36smooth_per_token_scaled_quant_kernelItaLi256ELi8ELb0ELb0ELb0ELi1024EEEvPT0_PfPT_S3_PiS6_iiPKiiiiiiiii
    .private_segment_fixed_size: 0
    .sgpr_count:     38
    .sgpr_spill_count: 0
    .symbol:         _ZN5aiter36smooth_per_token_scaled_quant_kernelItaLi256ELi8ELb0ELb0ELb0ELi1024EEEvPT0_PfPT_S3_PiS6_iiPKiiiiiiiii.kd
    .uniform_work_group_size: 1
    .uses_dynamic_stack: false
    .vgpr_count:     25
    .vgpr_spill_count: 0
    .wavefront_size: 32
    .workgroup_processor_mode: 1
  - .args:
      - .actual_access:  write_only
        .address_space:  global
        .offset:         0
        .size:           8
        .value_kind:     global_buffer
      - .actual_access:  write_only
        .address_space:  global
        .offset:         8
        .size:           8
        .value_kind:     global_buffer
      - .actual_access:  read_only
        .address_space:  global
        .offset:         16
        .size:           8
        .value_kind:     global_buffer
      - .actual_access:  read_only
        .address_space:  global
        .offset:         24
        .size:           8
        .value_kind:     global_buffer
      - .actual_access:  read_only
        .address_space:  global
        .offset:         32
        .size:           8
        .value_kind:     global_buffer
      - .actual_access:  read_only
        .address_space:  global
        .offset:         40
        .size:           8
        .value_kind:     global_buffer
      - .offset:         48
        .size:           4
        .value_kind:     by_value
      - .offset:         52
        .size:           4
        .value_kind:     by_value
      - .actual_access:  read_only
        .address_space:  global
        .offset:         56
        .size:           8
        .value_kind:     global_buffer
      - .offset:         64
        .size:           4
        .value_kind:     by_value
      - .offset:         68
        .size:           4
        .value_kind:     by_value
      - .offset:         72
        .size:           4
        .value_kind:     by_value
      - .offset:         76
        .size:           4
        .value_kind:     by_value
      - .offset:         80
        .size:           4
        .value_kind:     by_value
      - .offset:         84
        .size:           4
        .value_kind:     by_value
      - .offset:         88
        .size:           4
        .value_kind:     by_value
      - .offset:         92
        .size:           4
        .value_kind:     by_value
    .group_segment_fixed_size: 4128
    .kernarg_segment_align: 8
    .kernarg_segment_size: 96
    .language:       OpenCL C
    .language_version:
      - 2
      - 0
    .max_flat_workgroup_size: 1024
    .name:           _ZN5aiter36smooth_per_token_scaled_quant_kernelIDF16_aLi256ELi16ELb1ELb1ELb1ELi1024EEEvPT0_PfPT_S3_PiS6_iiPKiiiiiiiii
    .private_segment_fixed_size: 0
    .sgpr_count:     49
    .sgpr_spill_count: 0
    .symbol:         _ZN5aiter36smooth_per_token_scaled_quant_kernelIDF16_aLi256ELi16ELb1ELb1ELb1ELi1024EEEvPT0_PfPT_S3_PiS6_iiPKiiiiiiiii.kd
    .uniform_work_group_size: 1
    .uses_dynamic_stack: false
    .vgpr_count:     48
    .vgpr_spill_count: 0
    .wavefront_size: 32
    .workgroup_processor_mode: 1
  - .args:
      - .actual_access:  write_only
        .address_space:  global
        .offset:         0
        .size:           8
        .value_kind:     global_buffer
      - .actual_access:  write_only
        .address_space:  global
        .offset:         8
        .size:           8
        .value_kind:     global_buffer
      - .actual_access:  read_only
        .address_space:  global
        .offset:         16
        .size:           8
        .value_kind:     global_buffer
      - .actual_access:  read_only
        .address_space:  global
        .offset:         24
        .size:           8
        .value_kind:     global_buffer
      - .actual_access:  read_only
        .address_space:  global
        .offset:         32
        .size:           8
        .value_kind:     global_buffer
      - .actual_access:  read_only
        .address_space:  global
        .offset:         40
        .size:           8
        .value_kind:     global_buffer
      - .offset:         48
        .size:           4
        .value_kind:     by_value
      - .offset:         52
        .size:           4
        .value_kind:     by_value
      - .actual_access:  read_only
        .address_space:  global
        .offset:         56
        .size:           8
        .value_kind:     global_buffer
      - .offset:         64
        .size:           4
        .value_kind:     by_value
      - .offset:         68
        .size:           4
        .value_kind:     by_value
      - .offset:         72
        .size:           4
        .value_kind:     by_value
      - .offset:         76
        .size:           4
        .value_kind:     by_value
      - .offset:         80
        .size:           4
        .value_kind:     by_value
      - .offset:         84
        .size:           4
        .value_kind:     by_value
      - .offset:         88
        .size:           4
        .value_kind:     by_value
      - .offset:         92
        .size:           4
        .value_kind:     by_value
    .group_segment_fixed_size: 4128
    .kernarg_segment_align: 8
    .kernarg_segment_size: 96
    .language:       OpenCL C
    .language_version:
      - 2
      - 0
    .max_flat_workgroup_size: 1024
    .name:           _ZN5aiter36smooth_per_token_scaled_quant_kernelItaLi256ELi16ELb1ELb1ELb1ELi1024EEEvPT0_PfPT_S3_PiS6_iiPKiiiiiiiii
    .private_segment_fixed_size: 0
    .sgpr_count:     49
    .sgpr_spill_count: 0
    .symbol:         _ZN5aiter36smooth_per_token_scaled_quant_kernelItaLi256ELi16ELb1ELb1ELb1ELi1024EEEvPT0_PfPT_S3_PiS6_iiPKiiiiiiiii.kd
    .uniform_work_group_size: 1
    .uses_dynamic_stack: false
    .vgpr_count:     48
    .vgpr_spill_count: 0
    .wavefront_size: 32
    .workgroup_processor_mode: 1
  - .args:
      - .actual_access:  write_only
        .address_space:  global
        .offset:         0
        .size:           8
        .value_kind:     global_buffer
      - .actual_access:  write_only
        .address_space:  global
        .offset:         8
        .size:           8
        .value_kind:     global_buffer
      - .actual_access:  read_only
        .address_space:  global
        .offset:         16
        .size:           8
        .value_kind:     global_buffer
      - .actual_access:  read_only
        .address_space:  global
        .offset:         24
        .size:           8
        .value_kind:     global_buffer
      - .actual_access:  read_only
        .address_space:  global
        .offset:         32
        .size:           8
        .value_kind:     global_buffer
      - .actual_access:  read_only
        .address_space:  global
        .offset:         40
        .size:           8
        .value_kind:     global_buffer
      - .offset:         48
        .size:           4
        .value_kind:     by_value
      - .offset:         52
        .size:           4
        .value_kind:     by_value
      - .actual_access:  read_only
        .address_space:  global
        .offset:         56
        .size:           8
        .value_kind:     global_buffer
      - .offset:         64
        .size:           4
        .value_kind:     by_value
      - .offset:         68
        .size:           4
        .value_kind:     by_value
      - .offset:         72
        .size:           4
        .value_kind:     by_value
      - .offset:         76
        .size:           4
        .value_kind:     by_value
      - .offset:         80
        .size:           4
        .value_kind:     by_value
      - .offset:         84
        .size:           4
        .value_kind:     by_value
      - .offset:         88
        .size:           4
        .value_kind:     by_value
      - .offset:         92
        .size:           4
        .value_kind:     by_value
    .group_segment_fixed_size: 32
    .kernarg_segment_align: 8
    .kernarg_segment_size: 96
    .language:       OpenCL C
    .language_version:
      - 2
      - 0
    .max_flat_workgroup_size: 1024
    .name:           _ZN5aiter36smooth_per_token_scaled_quant_kernelIDF16_aLi256ELi16ELb1ELb1ELb0ELi1024EEEvPT0_PfPT_S3_PiS6_iiPKiiiiiiiii
    .private_segment_fixed_size: 0
    .sgpr_count:     49
    .sgpr_spill_count: 0
    .symbol:         _ZN5aiter36smooth_per_token_scaled_quant_kernelIDF16_aLi256ELi16ELb1ELb1ELb0ELi1024EEEvPT0_PfPT_S3_PiS6_iiPKiiiiiiiii.kd
    .uniform_work_group_size: 1
    .uses_dynamic_stack: false
    .vgpr_count:     48
    .vgpr_spill_count: 0
    .wavefront_size: 32
    .workgroup_processor_mode: 1
  - .args:
      - .actual_access:  write_only
        .address_space:  global
        .offset:         0
        .size:           8
        .value_kind:     global_buffer
      - .actual_access:  write_only
        .address_space:  global
        .offset:         8
        .size:           8
        .value_kind:     global_buffer
      - .actual_access:  read_only
        .address_space:  global
        .offset:         16
        .size:           8
        .value_kind:     global_buffer
      - .actual_access:  read_only
        .address_space:  global
        .offset:         24
        .size:           8
        .value_kind:     global_buffer
      - .actual_access:  read_only
        .address_space:  global
        .offset:         32
        .size:           8
        .value_kind:     global_buffer
      - .actual_access:  read_only
        .address_space:  global
        .offset:         40
        .size:           8
        .value_kind:     global_buffer
      - .offset:         48
        .size:           4
        .value_kind:     by_value
      - .offset:         52
        .size:           4
        .value_kind:     by_value
      - .actual_access:  read_only
        .address_space:  global
        .offset:         56
        .size:           8
        .value_kind:     global_buffer
      - .offset:         64
        .size:           4
        .value_kind:     by_value
      - .offset:         68
        .size:           4
        .value_kind:     by_value
      - .offset:         72
        .size:           4
        .value_kind:     by_value
      - .offset:         76
        .size:           4
        .value_kind:     by_value
      - .offset:         80
        .size:           4
        .value_kind:     by_value
      - .offset:         84
        .size:           4
        .value_kind:     by_value
      - .offset:         88
        .size:           4
        .value_kind:     by_value
      - .offset:         92
        .size:           4
        .value_kind:     by_value
    .group_segment_fixed_size: 32
    .kernarg_segment_align: 8
    .kernarg_segment_size: 96
    .language:       OpenCL C
    .language_version:
      - 2
      - 0
    .max_flat_workgroup_size: 1024
    .name:           _ZN5aiter36smooth_per_token_scaled_quant_kernelItaLi256ELi16ELb1ELb1ELb0ELi1024EEEvPT0_PfPT_S3_PiS6_iiPKiiiiiiiii
    .private_segment_fixed_size: 0
    .sgpr_count:     49
    .sgpr_spill_count: 0
    .symbol:         _ZN5aiter36smooth_per_token_scaled_quant_kernelItaLi256ELi16ELb1ELb1ELb0ELi1024EEEvPT0_PfPT_S3_PiS6_iiPKiiiiiiiii.kd
    .uniform_work_group_size: 1
    .uses_dynamic_stack: false
    .vgpr_count:     48
    .vgpr_spill_count: 0
    .wavefront_size: 32
    .workgroup_processor_mode: 1
  - .args:
      - .actual_access:  write_only
        .address_space:  global
        .offset:         0
        .size:           8
        .value_kind:     global_buffer
      - .actual_access:  write_only
        .address_space:  global
        .offset:         8
        .size:           8
        .value_kind:     global_buffer
      - .actual_access:  read_only
        .address_space:  global
        .offset:         16
        .size:           8
        .value_kind:     global_buffer
      - .actual_access:  read_only
        .address_space:  global
        .offset:         24
        .size:           8
        .value_kind:     global_buffer
      - .actual_access:  read_only
        .address_space:  global
        .offset:         32
        .size:           8
        .value_kind:     global_buffer
      - .actual_access:  read_only
        .address_space:  global
        .offset:         40
        .size:           8
        .value_kind:     global_buffer
      - .offset:         48
        .size:           4
        .value_kind:     by_value
      - .offset:         52
        .size:           4
        .value_kind:     by_value
      - .actual_access:  read_only
        .address_space:  global
        .offset:         56
        .size:           8
        .value_kind:     global_buffer
      - .offset:         64
        .size:           4
        .value_kind:     by_value
      - .offset:         68
        .size:           4
        .value_kind:     by_value
      - .offset:         72
        .size:           4
        .value_kind:     by_value
      - .offset:         76
        .size:           4
        .value_kind:     by_value
      - .offset:         80
        .size:           4
        .value_kind:     by_value
      - .offset:         84
        .size:           4
        .value_kind:     by_value
      - .offset:         88
        .size:           4
        .value_kind:     by_value
      - .offset:         92
        .size:           4
        .value_kind:     by_value
    .group_segment_fixed_size: 32
    .kernarg_segment_align: 8
    .kernarg_segment_size: 96
    .language:       OpenCL C
    .language_version:
      - 2
      - 0
    .max_flat_workgroup_size: 1024
    .name:           _ZN5aiter36smooth_per_token_scaled_quant_kernelIDF16_aLi256ELi16ELb1ELb0ELb0ELi1024EEEvPT0_PfPT_S3_PiS6_iiPKiiiiiiiii
    .private_segment_fixed_size: 0
    .sgpr_count:     42
    .sgpr_spill_count: 0
    .symbol:         _ZN5aiter36smooth_per_token_scaled_quant_kernelIDF16_aLi256ELi16ELb1ELb0ELb0ELi1024EEEvPT0_PfPT_S3_PiS6_iiPKiiiiiiiii.kd
    .uniform_work_group_size: 1
    .uses_dynamic_stack: false
    .vgpr_count:     46
    .vgpr_spill_count: 0
    .wavefront_size: 32
    .workgroup_processor_mode: 1
  - .args:
      - .actual_access:  write_only
        .address_space:  global
        .offset:         0
        .size:           8
        .value_kind:     global_buffer
      - .actual_access:  write_only
        .address_space:  global
        .offset:         8
        .size:           8
        .value_kind:     global_buffer
      - .actual_access:  read_only
        .address_space:  global
        .offset:         16
        .size:           8
        .value_kind:     global_buffer
      - .actual_access:  read_only
        .address_space:  global
        .offset:         24
        .size:           8
        .value_kind:     global_buffer
      - .actual_access:  read_only
        .address_space:  global
        .offset:         32
        .size:           8
        .value_kind:     global_buffer
      - .actual_access:  read_only
        .address_space:  global
        .offset:         40
        .size:           8
        .value_kind:     global_buffer
      - .offset:         48
        .size:           4
        .value_kind:     by_value
      - .offset:         52
        .size:           4
        .value_kind:     by_value
      - .actual_access:  read_only
        .address_space:  global
        .offset:         56
        .size:           8
        .value_kind:     global_buffer
      - .offset:         64
        .size:           4
        .value_kind:     by_value
      - .offset:         68
        .size:           4
        .value_kind:     by_value
      - .offset:         72
        .size:           4
        .value_kind:     by_value
      - .offset:         76
        .size:           4
        .value_kind:     by_value
      - .offset:         80
        .size:           4
        .value_kind:     by_value
      - .offset:         84
        .size:           4
        .value_kind:     by_value
      - .offset:         88
        .size:           4
        .value_kind:     by_value
      - .offset:         92
        .size:           4
        .value_kind:     by_value
    .group_segment_fixed_size: 32
    .kernarg_segment_align: 8
    .kernarg_segment_size: 96
    .language:       OpenCL C
    .language_version:
      - 2
      - 0
    .max_flat_workgroup_size: 1024
    .name:           _ZN5aiter36smooth_per_token_scaled_quant_kernelItaLi256ELi16ELb1ELb0ELb0ELi1024EEEvPT0_PfPT_S3_PiS6_iiPKiiiiiiiii
    .private_segment_fixed_size: 0
    .sgpr_count:     42
    .sgpr_spill_count: 0
    .symbol:         _ZN5aiter36smooth_per_token_scaled_quant_kernelItaLi256ELi16ELb1ELb0ELb0ELi1024EEEvPT0_PfPT_S3_PiS6_iiPKiiiiiiiii.kd
    .uniform_work_group_size: 1
    .uses_dynamic_stack: false
    .vgpr_count:     46
    .vgpr_spill_count: 0
    .wavefront_size: 32
    .workgroup_processor_mode: 1
  - .args:
      - .actual_access:  write_only
        .address_space:  global
        .offset:         0
        .size:           8
        .value_kind:     global_buffer
      - .actual_access:  write_only
        .address_space:  global
        .offset:         8
        .size:           8
        .value_kind:     global_buffer
      - .actual_access:  read_only
        .address_space:  global
        .offset:         16
        .size:           8
        .value_kind:     global_buffer
      - .actual_access:  read_only
        .address_space:  global
        .offset:         24
        .size:           8
        .value_kind:     global_buffer
      - .actual_access:  read_only
        .address_space:  global
        .offset:         32
        .size:           8
        .value_kind:     global_buffer
      - .actual_access:  read_only
        .address_space:  global
        .offset:         40
        .size:           8
        .value_kind:     global_buffer
      - .offset:         48
        .size:           4
        .value_kind:     by_value
      - .offset:         52
        .size:           4
        .value_kind:     by_value
      - .actual_access:  read_only
        .address_space:  global
        .offset:         56
        .size:           8
        .value_kind:     global_buffer
      - .offset:         64
        .size:           4
        .value_kind:     by_value
      - .offset:         68
        .size:           4
        .value_kind:     by_value
      - .offset:         72
        .size:           4
        .value_kind:     by_value
      - .offset:         76
        .size:           4
        .value_kind:     by_value
      - .offset:         80
        .size:           4
        .value_kind:     by_value
      - .offset:         84
        .size:           4
        .value_kind:     by_value
      - .offset:         88
        .size:           4
        .value_kind:     by_value
      - .offset:         92
        .size:           4
        .value_kind:     by_value
    .group_segment_fixed_size: 4128
    .kernarg_segment_align: 8
    .kernarg_segment_size: 96
    .language:       OpenCL C
    .language_version:
      - 2
      - 0
    .max_flat_workgroup_size: 1024
    .name:           _ZN5aiter36smooth_per_token_scaled_quant_kernelIDF16_aLi256ELi16ELb0ELb1ELb1ELi1024EEEvPT0_PfPT_S3_PiS6_iiPKiiiiiiiii
    .private_segment_fixed_size: 0
    .sgpr_count:     45
    .sgpr_spill_count: 0
    .symbol:         _ZN5aiter36smooth_per_token_scaled_quant_kernelIDF16_aLi256ELi16ELb0ELb1ELb1ELi1024EEEvPT0_PfPT_S3_PiS6_iiPKiiiiiiiii.kd
    .uniform_work_group_size: 1
    .uses_dynamic_stack: false
    .vgpr_count:     48
    .vgpr_spill_count: 0
    .wavefront_size: 32
    .workgroup_processor_mode: 1
  - .args:
      - .actual_access:  write_only
        .address_space:  global
        .offset:         0
        .size:           8
        .value_kind:     global_buffer
      - .actual_access:  write_only
        .address_space:  global
        .offset:         8
        .size:           8
        .value_kind:     global_buffer
      - .actual_access:  read_only
        .address_space:  global
        .offset:         16
        .size:           8
        .value_kind:     global_buffer
      - .actual_access:  read_only
        .address_space:  global
        .offset:         24
        .size:           8
        .value_kind:     global_buffer
      - .actual_access:  read_only
        .address_space:  global
        .offset:         32
        .size:           8
        .value_kind:     global_buffer
      - .actual_access:  read_only
        .address_space:  global
        .offset:         40
        .size:           8
        .value_kind:     global_buffer
      - .offset:         48
        .size:           4
        .value_kind:     by_value
      - .offset:         52
        .size:           4
        .value_kind:     by_value
      - .actual_access:  read_only
        .address_space:  global
        .offset:         56
        .size:           8
        .value_kind:     global_buffer
      - .offset:         64
        .size:           4
        .value_kind:     by_value
      - .offset:         68
        .size:           4
        .value_kind:     by_value
      - .offset:         72
        .size:           4
        .value_kind:     by_value
      - .offset:         76
        .size:           4
        .value_kind:     by_value
      - .offset:         80
        .size:           4
        .value_kind:     by_value
      - .offset:         84
        .size:           4
        .value_kind:     by_value
      - .offset:         88
        .size:           4
        .value_kind:     by_value
      - .offset:         92
        .size:           4
        .value_kind:     by_value
    .group_segment_fixed_size: 4128
    .kernarg_segment_align: 8
    .kernarg_segment_size: 96
    .language:       OpenCL C
    .language_version:
      - 2
      - 0
    .max_flat_workgroup_size: 1024
    .name:           _ZN5aiter36smooth_per_token_scaled_quant_kernelItaLi256ELi16ELb0ELb1ELb1ELi1024EEEvPT0_PfPT_S3_PiS6_iiPKiiiiiiiii
    .private_segment_fixed_size: 0
    .sgpr_count:     45
    .sgpr_spill_count: 0
    .symbol:         _ZN5aiter36smooth_per_token_scaled_quant_kernelItaLi256ELi16ELb0ELb1ELb1ELi1024EEEvPT0_PfPT_S3_PiS6_iiPKiiiiiiiii.kd
    .uniform_work_group_size: 1
    .uses_dynamic_stack: false
    .vgpr_count:     48
    .vgpr_spill_count: 0
    .wavefront_size: 32
    .workgroup_processor_mode: 1
  - .args:
      - .actual_access:  write_only
        .address_space:  global
        .offset:         0
        .size:           8
        .value_kind:     global_buffer
      - .actual_access:  write_only
        .address_space:  global
        .offset:         8
        .size:           8
        .value_kind:     global_buffer
      - .actual_access:  read_only
        .address_space:  global
        .offset:         16
        .size:           8
        .value_kind:     global_buffer
      - .actual_access:  read_only
        .address_space:  global
        .offset:         24
        .size:           8
        .value_kind:     global_buffer
      - .actual_access:  read_only
        .address_space:  global
        .offset:         32
        .size:           8
        .value_kind:     global_buffer
      - .actual_access:  read_only
        .address_space:  global
        .offset:         40
        .size:           8
        .value_kind:     global_buffer
      - .offset:         48
        .size:           4
        .value_kind:     by_value
      - .offset:         52
        .size:           4
        .value_kind:     by_value
      - .actual_access:  read_only
        .address_space:  global
        .offset:         56
        .size:           8
        .value_kind:     global_buffer
      - .offset:         64
        .size:           4
        .value_kind:     by_value
      - .offset:         68
        .size:           4
        .value_kind:     by_value
      - .offset:         72
        .size:           4
        .value_kind:     by_value
      - .offset:         76
        .size:           4
        .value_kind:     by_value
      - .offset:         80
        .size:           4
        .value_kind:     by_value
      - .offset:         84
        .size:           4
        .value_kind:     by_value
      - .offset:         88
        .size:           4
        .value_kind:     by_value
      - .offset:         92
        .size:           4
        .value_kind:     by_value
    .group_segment_fixed_size: 32
    .kernarg_segment_align: 8
    .kernarg_segment_size: 96
    .language:       OpenCL C
    .language_version:
      - 2
      - 0
    .max_flat_workgroup_size: 1024
    .name:           _ZN5aiter36smooth_per_token_scaled_quant_kernelIDF16_aLi256ELi16ELb0ELb1ELb0ELi1024EEEvPT0_PfPT_S3_PiS6_iiPKiiiiiiiii
    .private_segment_fixed_size: 0
    .sgpr_count:     45
    .sgpr_spill_count: 0
    .symbol:         _ZN5aiter36smooth_per_token_scaled_quant_kernelIDF16_aLi256ELi16ELb0ELb1ELb0ELi1024EEEvPT0_PfPT_S3_PiS6_iiPKiiiiiiiii.kd
    .uniform_work_group_size: 1
    .uses_dynamic_stack: false
    .vgpr_count:     48
    .vgpr_spill_count: 0
    .wavefront_size: 32
    .workgroup_processor_mode: 1
  - .args:
      - .actual_access:  write_only
        .address_space:  global
        .offset:         0
        .size:           8
        .value_kind:     global_buffer
      - .actual_access:  write_only
        .address_space:  global
        .offset:         8
        .size:           8
        .value_kind:     global_buffer
      - .actual_access:  read_only
        .address_space:  global
        .offset:         16
        .size:           8
        .value_kind:     global_buffer
      - .actual_access:  read_only
        .address_space:  global
        .offset:         24
        .size:           8
        .value_kind:     global_buffer
      - .actual_access:  read_only
        .address_space:  global
        .offset:         32
        .size:           8
        .value_kind:     global_buffer
      - .actual_access:  read_only
        .address_space:  global
        .offset:         40
        .size:           8
        .value_kind:     global_buffer
      - .offset:         48
        .size:           4
        .value_kind:     by_value
      - .offset:         52
        .size:           4
        .value_kind:     by_value
      - .actual_access:  read_only
        .address_space:  global
        .offset:         56
        .size:           8
        .value_kind:     global_buffer
      - .offset:         64
        .size:           4
        .value_kind:     by_value
      - .offset:         68
        .size:           4
        .value_kind:     by_value
      - .offset:         72
        .size:           4
        .value_kind:     by_value
      - .offset:         76
        .size:           4
        .value_kind:     by_value
      - .offset:         80
        .size:           4
        .value_kind:     by_value
      - .offset:         84
        .size:           4
        .value_kind:     by_value
      - .offset:         88
        .size:           4
        .value_kind:     by_value
      - .offset:         92
        .size:           4
        .value_kind:     by_value
    .group_segment_fixed_size: 32
    .kernarg_segment_align: 8
    .kernarg_segment_size: 96
    .language:       OpenCL C
    .language_version:
      - 2
      - 0
    .max_flat_workgroup_size: 1024
    .name:           _ZN5aiter36smooth_per_token_scaled_quant_kernelItaLi256ELi16ELb0ELb1ELb0ELi1024EEEvPT0_PfPT_S3_PiS6_iiPKiiiiiiiii
    .private_segment_fixed_size: 0
    .sgpr_count:     45
    .sgpr_spill_count: 0
    .symbol:         _ZN5aiter36smooth_per_token_scaled_quant_kernelItaLi256ELi16ELb0ELb1ELb0ELi1024EEEvPT0_PfPT_S3_PiS6_iiPKiiiiiiiii.kd
    .uniform_work_group_size: 1
    .uses_dynamic_stack: false
    .vgpr_count:     48
    .vgpr_spill_count: 0
    .wavefront_size: 32
    .workgroup_processor_mode: 1
  - .args:
      - .actual_access:  write_only
        .address_space:  global
        .offset:         0
        .size:           8
        .value_kind:     global_buffer
      - .actual_access:  write_only
        .address_space:  global
        .offset:         8
        .size:           8
        .value_kind:     global_buffer
      - .actual_access:  read_only
        .address_space:  global
        .offset:         16
        .size:           8
        .value_kind:     global_buffer
      - .actual_access:  read_only
        .address_space:  global
        .offset:         24
        .size:           8
        .value_kind:     global_buffer
      - .actual_access:  read_only
        .address_space:  global
        .offset:         32
        .size:           8
        .value_kind:     global_buffer
      - .actual_access:  read_only
        .address_space:  global
        .offset:         40
        .size:           8
        .value_kind:     global_buffer
      - .offset:         48
        .size:           4
        .value_kind:     by_value
      - .offset:         52
        .size:           4
        .value_kind:     by_value
      - .actual_access:  read_only
        .address_space:  global
        .offset:         56
        .size:           8
        .value_kind:     global_buffer
      - .offset:         64
        .size:           4
        .value_kind:     by_value
      - .offset:         68
        .size:           4
        .value_kind:     by_value
      - .offset:         72
        .size:           4
        .value_kind:     by_value
      - .offset:         76
        .size:           4
        .value_kind:     by_value
      - .offset:         80
        .size:           4
        .value_kind:     by_value
      - .offset:         84
        .size:           4
        .value_kind:     by_value
      - .offset:         88
        .size:           4
        .value_kind:     by_value
      - .offset:         92
        .size:           4
        .value_kind:     by_value
    .group_segment_fixed_size: 32
    .kernarg_segment_align: 8
    .kernarg_segment_size: 96
    .language:       OpenCL C
    .language_version:
      - 2
      - 0
    .max_flat_workgroup_size: 1024
    .name:           _ZN5aiter36smooth_per_token_scaled_quant_kernelIDF16_aLi256ELi16ELb0ELb0ELb0ELi1024EEEvPT0_PfPT_S3_PiS6_iiPKiiiiiiiii
    .private_segment_fixed_size: 0
    .sgpr_count:     38
    .sgpr_spill_count: 0
    .symbol:         _ZN5aiter36smooth_per_token_scaled_quant_kernelIDF16_aLi256ELi16ELb0ELb0ELb0ELi1024EEEvPT0_PfPT_S3_PiS6_iiPKiiiiiiiii.kd
    .uniform_work_group_size: 1
    .uses_dynamic_stack: false
    .vgpr_count:     46
    .vgpr_spill_count: 0
    .wavefront_size: 32
    .workgroup_processor_mode: 1
  - .args:
      - .actual_access:  write_only
        .address_space:  global
        .offset:         0
        .size:           8
        .value_kind:     global_buffer
      - .actual_access:  write_only
        .address_space:  global
        .offset:         8
        .size:           8
        .value_kind:     global_buffer
      - .actual_access:  read_only
        .address_space:  global
        .offset:         16
        .size:           8
        .value_kind:     global_buffer
      - .actual_access:  read_only
        .address_space:  global
        .offset:         24
        .size:           8
        .value_kind:     global_buffer
      - .actual_access:  read_only
        .address_space:  global
        .offset:         32
        .size:           8
        .value_kind:     global_buffer
      - .actual_access:  read_only
        .address_space:  global
        .offset:         40
        .size:           8
        .value_kind:     global_buffer
      - .offset:         48
        .size:           4
        .value_kind:     by_value
      - .offset:         52
        .size:           4
        .value_kind:     by_value
      - .actual_access:  read_only
        .address_space:  global
        .offset:         56
        .size:           8
        .value_kind:     global_buffer
      - .offset:         64
        .size:           4
        .value_kind:     by_value
      - .offset:         68
        .size:           4
        .value_kind:     by_value
      - .offset:         72
        .size:           4
        .value_kind:     by_value
      - .offset:         76
        .size:           4
        .value_kind:     by_value
      - .offset:         80
        .size:           4
        .value_kind:     by_value
      - .offset:         84
        .size:           4
        .value_kind:     by_value
      - .offset:         88
        .size:           4
        .value_kind:     by_value
      - .offset:         92
        .size:           4
        .value_kind:     by_value
    .group_segment_fixed_size: 32
    .kernarg_segment_align: 8
    .kernarg_segment_size: 96
    .language:       OpenCL C
    .language_version:
      - 2
      - 0
    .max_flat_workgroup_size: 1024
    .name:           _ZN5aiter36smooth_per_token_scaled_quant_kernelItaLi256ELi16ELb0ELb0ELb0ELi1024EEEvPT0_PfPT_S3_PiS6_iiPKiiiiiiiii
    .private_segment_fixed_size: 0
    .sgpr_count:     38
    .sgpr_spill_count: 0
    .symbol:         _ZN5aiter36smooth_per_token_scaled_quant_kernelItaLi256ELi16ELb0ELb0ELb0ELi1024EEEvPT0_PfPT_S3_PiS6_iiPKiiiiiiiii.kd
    .uniform_work_group_size: 1
    .uses_dynamic_stack: false
    .vgpr_count:     46
    .vgpr_spill_count: 0
    .wavefront_size: 32
    .workgroup_processor_mode: 1
  - .args:
      - .actual_access:  write_only
        .address_space:  global
        .offset:         0
        .size:           8
        .value_kind:     global_buffer
      - .actual_access:  write_only
        .address_space:  global
        .offset:         8
        .size:           8
        .value_kind:     global_buffer
      - .actual_access:  read_only
        .address_space:  global
        .offset:         16
        .size:           8
        .value_kind:     global_buffer
      - .actual_access:  read_only
        .address_space:  global
        .offset:         24
        .size:           8
        .value_kind:     global_buffer
      - .actual_access:  read_only
        .address_space:  global
        .offset:         32
        .size:           8
        .value_kind:     global_buffer
      - .actual_access:  read_only
        .address_space:  global
        .offset:         40
        .size:           8
        .value_kind:     global_buffer
      - .offset:         48
        .size:           4
        .value_kind:     by_value
      - .offset:         52
        .size:           4
        .value_kind:     by_value
      - .actual_access:  read_only
        .address_space:  global
        .offset:         56
        .size:           8
        .value_kind:     global_buffer
      - .offset:         64
        .size:           4
        .value_kind:     by_value
      - .offset:         68
        .size:           4
        .value_kind:     by_value
      - .offset:         72
        .size:           4
        .value_kind:     by_value
      - .offset:         76
        .size:           4
        .value_kind:     by_value
      - .offset:         80
        .size:           4
        .value_kind:     by_value
      - .offset:         84
        .size:           4
        .value_kind:     by_value
      - .offset:         88
        .size:           4
        .value_kind:     by_value
      - .offset:         92
        .size:           4
        .value_kind:     by_value
    .group_segment_fixed_size: 4160
    .kernarg_segment_align: 8
    .kernarg_segment_size: 96
    .language:       OpenCL C
    .language_version:
      - 2
      - 0
    .max_flat_workgroup_size: 1024
    .name:           _ZN5aiter36smooth_per_token_scaled_quant_kernelIDF16_aLi512ELi16ELb1ELb1ELb1ELi1024EEEvPT0_PfPT_S3_PiS6_iiPKiiiiiiiii
    .private_segment_fixed_size: 0
    .sgpr_count:     49
    .sgpr_spill_count: 0
    .symbol:         _ZN5aiter36smooth_per_token_scaled_quant_kernelIDF16_aLi512ELi16ELb1ELb1ELb1ELi1024EEEvPT0_PfPT_S3_PiS6_iiPKiiiiiiiii.kd
    .uniform_work_group_size: 1
    .uses_dynamic_stack: false
    .vgpr_count:     48
    .vgpr_spill_count: 0
    .wavefront_size: 32
    .workgroup_processor_mode: 1
  - .args:
      - .actual_access:  write_only
        .address_space:  global
        .offset:         0
        .size:           8
        .value_kind:     global_buffer
      - .actual_access:  write_only
        .address_space:  global
        .offset:         8
        .size:           8
        .value_kind:     global_buffer
      - .actual_access:  read_only
        .address_space:  global
        .offset:         16
        .size:           8
        .value_kind:     global_buffer
      - .actual_access:  read_only
        .address_space:  global
        .offset:         24
        .size:           8
        .value_kind:     global_buffer
      - .actual_access:  read_only
        .address_space:  global
        .offset:         32
        .size:           8
        .value_kind:     global_buffer
      - .actual_access:  read_only
        .address_space:  global
        .offset:         40
        .size:           8
        .value_kind:     global_buffer
      - .offset:         48
        .size:           4
        .value_kind:     by_value
      - .offset:         52
        .size:           4
        .value_kind:     by_value
      - .actual_access:  read_only
        .address_space:  global
        .offset:         56
        .size:           8
        .value_kind:     global_buffer
      - .offset:         64
        .size:           4
        .value_kind:     by_value
      - .offset:         68
        .size:           4
        .value_kind:     by_value
      - .offset:         72
        .size:           4
        .value_kind:     by_value
      - .offset:         76
        .size:           4
        .value_kind:     by_value
      - .offset:         80
        .size:           4
        .value_kind:     by_value
      - .offset:         84
        .size:           4
        .value_kind:     by_value
      - .offset:         88
        .size:           4
        .value_kind:     by_value
      - .offset:         92
        .size:           4
        .value_kind:     by_value
    .group_segment_fixed_size: 4160
    .kernarg_segment_align: 8
    .kernarg_segment_size: 96
    .language:       OpenCL C
    .language_version:
      - 2
      - 0
    .max_flat_workgroup_size: 1024
    .name:           _ZN5aiter36smooth_per_token_scaled_quant_kernelItaLi512ELi16ELb1ELb1ELb1ELi1024EEEvPT0_PfPT_S3_PiS6_iiPKiiiiiiiii
    .private_segment_fixed_size: 0
    .sgpr_count:     49
    .sgpr_spill_count: 0
    .symbol:         _ZN5aiter36smooth_per_token_scaled_quant_kernelItaLi512ELi16ELb1ELb1ELb1ELi1024EEEvPT0_PfPT_S3_PiS6_iiPKiiiiiiiii.kd
    .uniform_work_group_size: 1
    .uses_dynamic_stack: false
    .vgpr_count:     48
    .vgpr_spill_count: 0
    .wavefront_size: 32
    .workgroup_processor_mode: 1
  - .args:
      - .actual_access:  write_only
        .address_space:  global
        .offset:         0
        .size:           8
        .value_kind:     global_buffer
      - .actual_access:  write_only
        .address_space:  global
        .offset:         8
        .size:           8
        .value_kind:     global_buffer
      - .actual_access:  read_only
        .address_space:  global
        .offset:         16
        .size:           8
        .value_kind:     global_buffer
      - .actual_access:  read_only
        .address_space:  global
        .offset:         24
        .size:           8
        .value_kind:     global_buffer
      - .actual_access:  read_only
        .address_space:  global
        .offset:         32
        .size:           8
        .value_kind:     global_buffer
      - .actual_access:  read_only
        .address_space:  global
        .offset:         40
        .size:           8
        .value_kind:     global_buffer
      - .offset:         48
        .size:           4
        .value_kind:     by_value
      - .offset:         52
        .size:           4
        .value_kind:     by_value
      - .actual_access:  read_only
        .address_space:  global
        .offset:         56
        .size:           8
        .value_kind:     global_buffer
      - .offset:         64
        .size:           4
        .value_kind:     by_value
      - .offset:         68
        .size:           4
        .value_kind:     by_value
      - .offset:         72
        .size:           4
        .value_kind:     by_value
      - .offset:         76
        .size:           4
        .value_kind:     by_value
      - .offset:         80
        .size:           4
        .value_kind:     by_value
      - .offset:         84
        .size:           4
        .value_kind:     by_value
      - .offset:         88
        .size:           4
        .value_kind:     by_value
      - .offset:         92
        .size:           4
        .value_kind:     by_value
    .group_segment_fixed_size: 64
    .kernarg_segment_align: 8
    .kernarg_segment_size: 96
    .language:       OpenCL C
    .language_version:
      - 2
      - 0
    .max_flat_workgroup_size: 1024
    .name:           _ZN5aiter36smooth_per_token_scaled_quant_kernelIDF16_aLi512ELi16ELb1ELb1ELb0ELi1024EEEvPT0_PfPT_S3_PiS6_iiPKiiiiiiiii
    .private_segment_fixed_size: 0
    .sgpr_count:     49
    .sgpr_spill_count: 0
    .symbol:         _ZN5aiter36smooth_per_token_scaled_quant_kernelIDF16_aLi512ELi16ELb1ELb1ELb0ELi1024EEEvPT0_PfPT_S3_PiS6_iiPKiiiiiiiii.kd
    .uniform_work_group_size: 1
    .uses_dynamic_stack: false
    .vgpr_count:     48
    .vgpr_spill_count: 0
    .wavefront_size: 32
    .workgroup_processor_mode: 1
  - .args:
      - .actual_access:  write_only
        .address_space:  global
        .offset:         0
        .size:           8
        .value_kind:     global_buffer
      - .actual_access:  write_only
        .address_space:  global
        .offset:         8
        .size:           8
        .value_kind:     global_buffer
      - .actual_access:  read_only
        .address_space:  global
        .offset:         16
        .size:           8
        .value_kind:     global_buffer
      - .actual_access:  read_only
        .address_space:  global
        .offset:         24
        .size:           8
        .value_kind:     global_buffer
      - .actual_access:  read_only
        .address_space:  global
        .offset:         32
        .size:           8
        .value_kind:     global_buffer
      - .actual_access:  read_only
        .address_space:  global
        .offset:         40
        .size:           8
        .value_kind:     global_buffer
      - .offset:         48
        .size:           4
        .value_kind:     by_value
      - .offset:         52
        .size:           4
        .value_kind:     by_value
      - .actual_access:  read_only
        .address_space:  global
        .offset:         56
        .size:           8
        .value_kind:     global_buffer
      - .offset:         64
        .size:           4
        .value_kind:     by_value
      - .offset:         68
        .size:           4
        .value_kind:     by_value
      - .offset:         72
        .size:           4
        .value_kind:     by_value
      - .offset:         76
        .size:           4
        .value_kind:     by_value
      - .offset:         80
        .size:           4
        .value_kind:     by_value
      - .offset:         84
        .size:           4
        .value_kind:     by_value
      - .offset:         88
        .size:           4
        .value_kind:     by_value
      - .offset:         92
        .size:           4
        .value_kind:     by_value
    .group_segment_fixed_size: 64
    .kernarg_segment_align: 8
    .kernarg_segment_size: 96
    .language:       OpenCL C
    .language_version:
      - 2
      - 0
    .max_flat_workgroup_size: 1024
    .name:           _ZN5aiter36smooth_per_token_scaled_quant_kernelItaLi512ELi16ELb1ELb1ELb0ELi1024EEEvPT0_PfPT_S3_PiS6_iiPKiiiiiiiii
    .private_segment_fixed_size: 0
    .sgpr_count:     49
    .sgpr_spill_count: 0
    .symbol:         _ZN5aiter36smooth_per_token_scaled_quant_kernelItaLi512ELi16ELb1ELb1ELb0ELi1024EEEvPT0_PfPT_S3_PiS6_iiPKiiiiiiiii.kd
    .uniform_work_group_size: 1
    .uses_dynamic_stack: false
    .vgpr_count:     48
    .vgpr_spill_count: 0
    .wavefront_size: 32
    .workgroup_processor_mode: 1
  - .args:
      - .actual_access:  write_only
        .address_space:  global
        .offset:         0
        .size:           8
        .value_kind:     global_buffer
      - .actual_access:  write_only
        .address_space:  global
        .offset:         8
        .size:           8
        .value_kind:     global_buffer
      - .actual_access:  read_only
        .address_space:  global
        .offset:         16
        .size:           8
        .value_kind:     global_buffer
      - .actual_access:  read_only
        .address_space:  global
        .offset:         24
        .size:           8
        .value_kind:     global_buffer
      - .actual_access:  read_only
        .address_space:  global
        .offset:         32
        .size:           8
        .value_kind:     global_buffer
      - .actual_access:  read_only
        .address_space:  global
        .offset:         40
        .size:           8
        .value_kind:     global_buffer
      - .offset:         48
        .size:           4
        .value_kind:     by_value
      - .offset:         52
        .size:           4
        .value_kind:     by_value
      - .actual_access:  read_only
        .address_space:  global
        .offset:         56
        .size:           8
        .value_kind:     global_buffer
      - .offset:         64
        .size:           4
        .value_kind:     by_value
      - .offset:         68
        .size:           4
        .value_kind:     by_value
      - .offset:         72
        .size:           4
        .value_kind:     by_value
      - .offset:         76
        .size:           4
        .value_kind:     by_value
      - .offset:         80
        .size:           4
        .value_kind:     by_value
      - .offset:         84
        .size:           4
        .value_kind:     by_value
      - .offset:         88
        .size:           4
        .value_kind:     by_value
      - .offset:         92
        .size:           4
        .value_kind:     by_value
    .group_segment_fixed_size: 64
    .kernarg_segment_align: 8
    .kernarg_segment_size: 96
    .language:       OpenCL C
    .language_version:
      - 2
      - 0
    .max_flat_workgroup_size: 1024
    .name:           _ZN5aiter36smooth_per_token_scaled_quant_kernelIDF16_aLi512ELi16ELb1ELb0ELb0ELi1024EEEvPT0_PfPT_S3_PiS6_iiPKiiiiiiiii
    .private_segment_fixed_size: 0
    .sgpr_count:     42
    .sgpr_spill_count: 0
    .symbol:         _ZN5aiter36smooth_per_token_scaled_quant_kernelIDF16_aLi512ELi16ELb1ELb0ELb0ELi1024EEEvPT0_PfPT_S3_PiS6_iiPKiiiiiiiii.kd
    .uniform_work_group_size: 1
    .uses_dynamic_stack: false
    .vgpr_count:     46
    .vgpr_spill_count: 0
    .wavefront_size: 32
    .workgroup_processor_mode: 1
  - .args:
      - .actual_access:  write_only
        .address_space:  global
        .offset:         0
        .size:           8
        .value_kind:     global_buffer
      - .actual_access:  write_only
        .address_space:  global
        .offset:         8
        .size:           8
        .value_kind:     global_buffer
      - .actual_access:  read_only
        .address_space:  global
        .offset:         16
        .size:           8
        .value_kind:     global_buffer
      - .actual_access:  read_only
        .address_space:  global
        .offset:         24
        .size:           8
        .value_kind:     global_buffer
      - .actual_access:  read_only
        .address_space:  global
        .offset:         32
        .size:           8
        .value_kind:     global_buffer
      - .actual_access:  read_only
        .address_space:  global
        .offset:         40
        .size:           8
        .value_kind:     global_buffer
      - .offset:         48
        .size:           4
        .value_kind:     by_value
      - .offset:         52
        .size:           4
        .value_kind:     by_value
      - .actual_access:  read_only
        .address_space:  global
        .offset:         56
        .size:           8
        .value_kind:     global_buffer
      - .offset:         64
        .size:           4
        .value_kind:     by_value
      - .offset:         68
        .size:           4
        .value_kind:     by_value
      - .offset:         72
        .size:           4
        .value_kind:     by_value
      - .offset:         76
        .size:           4
        .value_kind:     by_value
      - .offset:         80
        .size:           4
        .value_kind:     by_value
      - .offset:         84
        .size:           4
        .value_kind:     by_value
      - .offset:         88
        .size:           4
        .value_kind:     by_value
      - .offset:         92
        .size:           4
        .value_kind:     by_value
    .group_segment_fixed_size: 64
    .kernarg_segment_align: 8
    .kernarg_segment_size: 96
    .language:       OpenCL C
    .language_version:
      - 2
      - 0
    .max_flat_workgroup_size: 1024
    .name:           _ZN5aiter36smooth_per_token_scaled_quant_kernelItaLi512ELi16ELb1ELb0ELb0ELi1024EEEvPT0_PfPT_S3_PiS6_iiPKiiiiiiiii
    .private_segment_fixed_size: 0
    .sgpr_count:     42
    .sgpr_spill_count: 0
    .symbol:         _ZN5aiter36smooth_per_token_scaled_quant_kernelItaLi512ELi16ELb1ELb0ELb0ELi1024EEEvPT0_PfPT_S3_PiS6_iiPKiiiiiiiii.kd
    .uniform_work_group_size: 1
    .uses_dynamic_stack: false
    .vgpr_count:     46
    .vgpr_spill_count: 0
    .wavefront_size: 32
    .workgroup_processor_mode: 1
  - .args:
      - .actual_access:  write_only
        .address_space:  global
        .offset:         0
        .size:           8
        .value_kind:     global_buffer
      - .actual_access:  write_only
        .address_space:  global
        .offset:         8
        .size:           8
        .value_kind:     global_buffer
      - .actual_access:  read_only
        .address_space:  global
        .offset:         16
        .size:           8
        .value_kind:     global_buffer
      - .actual_access:  read_only
        .address_space:  global
        .offset:         24
        .size:           8
        .value_kind:     global_buffer
      - .actual_access:  read_only
        .address_space:  global
        .offset:         32
        .size:           8
        .value_kind:     global_buffer
      - .actual_access:  read_only
        .address_space:  global
        .offset:         40
        .size:           8
        .value_kind:     global_buffer
      - .offset:         48
        .size:           4
        .value_kind:     by_value
      - .offset:         52
        .size:           4
        .value_kind:     by_value
      - .actual_access:  read_only
        .address_space:  global
        .offset:         56
        .size:           8
        .value_kind:     global_buffer
      - .offset:         64
        .size:           4
        .value_kind:     by_value
      - .offset:         68
        .size:           4
        .value_kind:     by_value
      - .offset:         72
        .size:           4
        .value_kind:     by_value
      - .offset:         76
        .size:           4
        .value_kind:     by_value
      - .offset:         80
        .size:           4
        .value_kind:     by_value
      - .offset:         84
        .size:           4
        .value_kind:     by_value
      - .offset:         88
        .size:           4
        .value_kind:     by_value
      - .offset:         92
        .size:           4
        .value_kind:     by_value
    .group_segment_fixed_size: 4160
    .kernarg_segment_align: 8
    .kernarg_segment_size: 96
    .language:       OpenCL C
    .language_version:
      - 2
      - 0
    .max_flat_workgroup_size: 1024
    .name:           _ZN5aiter36smooth_per_token_scaled_quant_kernelIDF16_aLi512ELi16ELb0ELb1ELb1ELi1024EEEvPT0_PfPT_S3_PiS6_iiPKiiiiiiiii
    .private_segment_fixed_size: 0
    .sgpr_count:     45
    .sgpr_spill_count: 0
    .symbol:         _ZN5aiter36smooth_per_token_scaled_quant_kernelIDF16_aLi512ELi16ELb0ELb1ELb1ELi1024EEEvPT0_PfPT_S3_PiS6_iiPKiiiiiiiii.kd
    .uniform_work_group_size: 1
    .uses_dynamic_stack: false
    .vgpr_count:     48
    .vgpr_spill_count: 0
    .wavefront_size: 32
    .workgroup_processor_mode: 1
  - .args:
      - .actual_access:  write_only
        .address_space:  global
        .offset:         0
        .size:           8
        .value_kind:     global_buffer
      - .actual_access:  write_only
        .address_space:  global
        .offset:         8
        .size:           8
        .value_kind:     global_buffer
      - .actual_access:  read_only
        .address_space:  global
        .offset:         16
        .size:           8
        .value_kind:     global_buffer
      - .actual_access:  read_only
        .address_space:  global
        .offset:         24
        .size:           8
        .value_kind:     global_buffer
      - .actual_access:  read_only
        .address_space:  global
        .offset:         32
        .size:           8
        .value_kind:     global_buffer
      - .actual_access:  read_only
        .address_space:  global
        .offset:         40
        .size:           8
        .value_kind:     global_buffer
      - .offset:         48
        .size:           4
        .value_kind:     by_value
      - .offset:         52
        .size:           4
        .value_kind:     by_value
      - .actual_access:  read_only
        .address_space:  global
        .offset:         56
        .size:           8
        .value_kind:     global_buffer
      - .offset:         64
        .size:           4
        .value_kind:     by_value
      - .offset:         68
        .size:           4
        .value_kind:     by_value
      - .offset:         72
        .size:           4
        .value_kind:     by_value
      - .offset:         76
        .size:           4
        .value_kind:     by_value
      - .offset:         80
        .size:           4
        .value_kind:     by_value
      - .offset:         84
        .size:           4
        .value_kind:     by_value
      - .offset:         88
        .size:           4
        .value_kind:     by_value
      - .offset:         92
        .size:           4
        .value_kind:     by_value
    .group_segment_fixed_size: 4160
    .kernarg_segment_align: 8
    .kernarg_segment_size: 96
    .language:       OpenCL C
    .language_version:
      - 2
      - 0
    .max_flat_workgroup_size: 1024
    .name:           _ZN5aiter36smooth_per_token_scaled_quant_kernelItaLi512ELi16ELb0ELb1ELb1ELi1024EEEvPT0_PfPT_S3_PiS6_iiPKiiiiiiiii
    .private_segment_fixed_size: 0
    .sgpr_count:     45
    .sgpr_spill_count: 0
    .symbol:         _ZN5aiter36smooth_per_token_scaled_quant_kernelItaLi512ELi16ELb0ELb1ELb1ELi1024EEEvPT0_PfPT_S3_PiS6_iiPKiiiiiiiii.kd
    .uniform_work_group_size: 1
    .uses_dynamic_stack: false
    .vgpr_count:     48
    .vgpr_spill_count: 0
    .wavefront_size: 32
    .workgroup_processor_mode: 1
  - .args:
      - .actual_access:  write_only
        .address_space:  global
        .offset:         0
        .size:           8
        .value_kind:     global_buffer
      - .actual_access:  write_only
        .address_space:  global
        .offset:         8
        .size:           8
        .value_kind:     global_buffer
      - .actual_access:  read_only
        .address_space:  global
        .offset:         16
        .size:           8
        .value_kind:     global_buffer
      - .actual_access:  read_only
        .address_space:  global
        .offset:         24
        .size:           8
        .value_kind:     global_buffer
      - .actual_access:  read_only
        .address_space:  global
        .offset:         32
        .size:           8
        .value_kind:     global_buffer
      - .actual_access:  read_only
        .address_space:  global
        .offset:         40
        .size:           8
        .value_kind:     global_buffer
      - .offset:         48
        .size:           4
        .value_kind:     by_value
      - .offset:         52
        .size:           4
        .value_kind:     by_value
      - .actual_access:  read_only
        .address_space:  global
        .offset:         56
        .size:           8
        .value_kind:     global_buffer
      - .offset:         64
        .size:           4
        .value_kind:     by_value
      - .offset:         68
        .size:           4
        .value_kind:     by_value
      - .offset:         72
        .size:           4
        .value_kind:     by_value
      - .offset:         76
        .size:           4
        .value_kind:     by_value
      - .offset:         80
        .size:           4
        .value_kind:     by_value
      - .offset:         84
        .size:           4
        .value_kind:     by_value
      - .offset:         88
        .size:           4
        .value_kind:     by_value
      - .offset:         92
        .size:           4
        .value_kind:     by_value
    .group_segment_fixed_size: 64
    .kernarg_segment_align: 8
    .kernarg_segment_size: 96
    .language:       OpenCL C
    .language_version:
      - 2
      - 0
    .max_flat_workgroup_size: 1024
    .name:           _ZN5aiter36smooth_per_token_scaled_quant_kernelIDF16_aLi512ELi16ELb0ELb1ELb0ELi1024EEEvPT0_PfPT_S3_PiS6_iiPKiiiiiiiii
    .private_segment_fixed_size: 0
    .sgpr_count:     45
    .sgpr_spill_count: 0
    .symbol:         _ZN5aiter36smooth_per_token_scaled_quant_kernelIDF16_aLi512ELi16ELb0ELb1ELb0ELi1024EEEvPT0_PfPT_S3_PiS6_iiPKiiiiiiiii.kd
    .uniform_work_group_size: 1
    .uses_dynamic_stack: false
    .vgpr_count:     48
    .vgpr_spill_count: 0
    .wavefront_size: 32
    .workgroup_processor_mode: 1
  - .args:
      - .actual_access:  write_only
        .address_space:  global
        .offset:         0
        .size:           8
        .value_kind:     global_buffer
      - .actual_access:  write_only
        .address_space:  global
        .offset:         8
        .size:           8
        .value_kind:     global_buffer
      - .actual_access:  read_only
        .address_space:  global
        .offset:         16
        .size:           8
        .value_kind:     global_buffer
      - .actual_access:  read_only
        .address_space:  global
        .offset:         24
        .size:           8
        .value_kind:     global_buffer
      - .actual_access:  read_only
        .address_space:  global
        .offset:         32
        .size:           8
        .value_kind:     global_buffer
      - .actual_access:  read_only
        .address_space:  global
        .offset:         40
        .size:           8
        .value_kind:     global_buffer
      - .offset:         48
        .size:           4
        .value_kind:     by_value
      - .offset:         52
        .size:           4
        .value_kind:     by_value
      - .actual_access:  read_only
        .address_space:  global
        .offset:         56
        .size:           8
        .value_kind:     global_buffer
      - .offset:         64
        .size:           4
        .value_kind:     by_value
      - .offset:         68
        .size:           4
        .value_kind:     by_value
      - .offset:         72
        .size:           4
        .value_kind:     by_value
      - .offset:         76
        .size:           4
        .value_kind:     by_value
      - .offset:         80
        .size:           4
        .value_kind:     by_value
      - .offset:         84
        .size:           4
        .value_kind:     by_value
      - .offset:         88
        .size:           4
        .value_kind:     by_value
      - .offset:         92
        .size:           4
        .value_kind:     by_value
    .group_segment_fixed_size: 64
    .kernarg_segment_align: 8
    .kernarg_segment_size: 96
    .language:       OpenCL C
    .language_version:
      - 2
      - 0
    .max_flat_workgroup_size: 1024
    .name:           _ZN5aiter36smooth_per_token_scaled_quant_kernelItaLi512ELi16ELb0ELb1ELb0ELi1024EEEvPT0_PfPT_S3_PiS6_iiPKiiiiiiiii
    .private_segment_fixed_size: 0
    .sgpr_count:     45
    .sgpr_spill_count: 0
    .symbol:         _ZN5aiter36smooth_per_token_scaled_quant_kernelItaLi512ELi16ELb0ELb1ELb0ELi1024EEEvPT0_PfPT_S3_PiS6_iiPKiiiiiiiii.kd
    .uniform_work_group_size: 1
    .uses_dynamic_stack: false
    .vgpr_count:     48
    .vgpr_spill_count: 0
    .wavefront_size: 32
    .workgroup_processor_mode: 1
  - .args:
      - .actual_access:  write_only
        .address_space:  global
        .offset:         0
        .size:           8
        .value_kind:     global_buffer
      - .actual_access:  write_only
        .address_space:  global
        .offset:         8
        .size:           8
        .value_kind:     global_buffer
      - .actual_access:  read_only
        .address_space:  global
        .offset:         16
        .size:           8
        .value_kind:     global_buffer
      - .actual_access:  read_only
        .address_space:  global
        .offset:         24
        .size:           8
        .value_kind:     global_buffer
      - .actual_access:  read_only
        .address_space:  global
        .offset:         32
        .size:           8
        .value_kind:     global_buffer
      - .actual_access:  read_only
        .address_space:  global
        .offset:         40
        .size:           8
        .value_kind:     global_buffer
      - .offset:         48
        .size:           4
        .value_kind:     by_value
      - .offset:         52
        .size:           4
        .value_kind:     by_value
      - .actual_access:  read_only
        .address_space:  global
        .offset:         56
        .size:           8
        .value_kind:     global_buffer
      - .offset:         64
        .size:           4
        .value_kind:     by_value
      - .offset:         68
        .size:           4
        .value_kind:     by_value
      - .offset:         72
        .size:           4
        .value_kind:     by_value
      - .offset:         76
        .size:           4
        .value_kind:     by_value
      - .offset:         80
        .size:           4
        .value_kind:     by_value
      - .offset:         84
        .size:           4
        .value_kind:     by_value
      - .offset:         88
        .size:           4
        .value_kind:     by_value
      - .offset:         92
        .size:           4
        .value_kind:     by_value
    .group_segment_fixed_size: 64
    .kernarg_segment_align: 8
    .kernarg_segment_size: 96
    .language:       OpenCL C
    .language_version:
      - 2
      - 0
    .max_flat_workgroup_size: 1024
    .name:           _ZN5aiter36smooth_per_token_scaled_quant_kernelIDF16_aLi512ELi16ELb0ELb0ELb0ELi1024EEEvPT0_PfPT_S3_PiS6_iiPKiiiiiiiii
    .private_segment_fixed_size: 0
    .sgpr_count:     38
    .sgpr_spill_count: 0
    .symbol:         _ZN5aiter36smooth_per_token_scaled_quant_kernelIDF16_aLi512ELi16ELb0ELb0ELb0ELi1024EEEvPT0_PfPT_S3_PiS6_iiPKiiiiiiiii.kd
    .uniform_work_group_size: 1
    .uses_dynamic_stack: false
    .vgpr_count:     46
    .vgpr_spill_count: 0
    .wavefront_size: 32
    .workgroup_processor_mode: 1
  - .args:
      - .actual_access:  write_only
        .address_space:  global
        .offset:         0
        .size:           8
        .value_kind:     global_buffer
      - .actual_access:  write_only
        .address_space:  global
        .offset:         8
        .size:           8
        .value_kind:     global_buffer
      - .actual_access:  read_only
        .address_space:  global
        .offset:         16
        .size:           8
        .value_kind:     global_buffer
      - .actual_access:  read_only
        .address_space:  global
        .offset:         24
        .size:           8
        .value_kind:     global_buffer
      - .actual_access:  read_only
        .address_space:  global
        .offset:         32
        .size:           8
        .value_kind:     global_buffer
      - .actual_access:  read_only
        .address_space:  global
        .offset:         40
        .size:           8
        .value_kind:     global_buffer
      - .offset:         48
        .size:           4
        .value_kind:     by_value
      - .offset:         52
        .size:           4
        .value_kind:     by_value
      - .actual_access:  read_only
        .address_space:  global
        .offset:         56
        .size:           8
        .value_kind:     global_buffer
      - .offset:         64
        .size:           4
        .value_kind:     by_value
      - .offset:         68
        .size:           4
        .value_kind:     by_value
      - .offset:         72
        .size:           4
        .value_kind:     by_value
      - .offset:         76
        .size:           4
        .value_kind:     by_value
      - .offset:         80
        .size:           4
        .value_kind:     by_value
      - .offset:         84
        .size:           4
        .value_kind:     by_value
      - .offset:         88
        .size:           4
        .value_kind:     by_value
      - .offset:         92
        .size:           4
        .value_kind:     by_value
    .group_segment_fixed_size: 64
    .kernarg_segment_align: 8
    .kernarg_segment_size: 96
    .language:       OpenCL C
    .language_version:
      - 2
      - 0
    .max_flat_workgroup_size: 1024
    .name:           _ZN5aiter36smooth_per_token_scaled_quant_kernelItaLi512ELi16ELb0ELb0ELb0ELi1024EEEvPT0_PfPT_S3_PiS6_iiPKiiiiiiiii
    .private_segment_fixed_size: 0
    .sgpr_count:     38
    .sgpr_spill_count: 0
    .symbol:         _ZN5aiter36smooth_per_token_scaled_quant_kernelItaLi512ELi16ELb0ELb0ELb0ELi1024EEEvPT0_PfPT_S3_PiS6_iiPKiiiiiiiii.kd
    .uniform_work_group_size: 1
    .uses_dynamic_stack: false
    .vgpr_count:     46
    .vgpr_spill_count: 0
    .wavefront_size: 32
    .workgroup_processor_mode: 1
  - .args:
      - .actual_access:  write_only
        .address_space:  global
        .offset:         0
        .size:           8
        .value_kind:     global_buffer
      - .actual_access:  read_only
        .address_space:  global
        .offset:         8
        .size:           8
        .value_kind:     global_buffer
      - .actual_access:  read_only
        .address_space:  global
        .offset:         16
        .size:           8
        .value_kind:     global_buffer
      - .offset:         24
        .size:           4
        .value_kind:     by_value
      - .offset:         32
        .size:           4
        .value_kind:     hidden_block_count_x
      - .offset:         36
        .size:           4
        .value_kind:     hidden_block_count_y
      - .offset:         40
        .size:           4
        .value_kind:     hidden_block_count_z
      - .offset:         44
        .size:           2
        .value_kind:     hidden_group_size_x
      - .offset:         46
        .size:           2
        .value_kind:     hidden_group_size_y
      - .offset:         48
        .size:           2
        .value_kind:     hidden_group_size_z
      - .offset:         50
        .size:           2
        .value_kind:     hidden_remainder_x
      - .offset:         52
        .size:           2
        .value_kind:     hidden_remainder_y
      - .offset:         54
        .size:           2
        .value_kind:     hidden_remainder_z
      - .offset:         72
        .size:           8
        .value_kind:     hidden_global_offset_x
      - .offset:         80
        .size:           8
        .value_kind:     hidden_global_offset_y
      - .offset:         88
        .size:           8
        .value_kind:     hidden_global_offset_z
      - .offset:         96
        .size:           2
        .value_kind:     hidden_grid_dims
    .group_segment_fixed_size: 0
    .kernarg_segment_align: 8
    .kernarg_segment_size: 288
    .language:       OpenCL C
    .language_version:
      - 2
      - 0
    .max_flat_workgroup_size: 1024
    .name:           _ZN5aiter24partial_transpose_kernelIfLi256ELi4ELi10000EEEvPT_S2_PKii
    .private_segment_fixed_size: 0
    .sgpr_count:     34
    .sgpr_spill_count: 0
    .symbol:         _ZN5aiter24partial_transpose_kernelIfLi256ELi4ELi10000EEEvPT_S2_PKii.kd
    .uniform_work_group_size: 1
    .uses_dynamic_stack: false
    .vgpr_count:     14
    .vgpr_spill_count: 0
    .wavefront_size: 32
    .workgroup_processor_mode: 1
  - .args:
      - .actual_access:  write_only
        .address_space:  global
        .offset:         0
        .size:           8
        .value_kind:     global_buffer
      - .actual_access:  read_only
        .address_space:  global
        .offset:         8
        .size:           8
        .value_kind:     global_buffer
      - .actual_access:  read_only
        .address_space:  global
        .offset:         16
        .size:           8
        .value_kind:     global_buffer
      - .offset:         24
        .size:           4
        .value_kind:     by_value
      - .offset:         32
        .size:           4
        .value_kind:     hidden_block_count_x
      - .offset:         36
        .size:           4
        .value_kind:     hidden_block_count_y
      - .offset:         40
        .size:           4
        .value_kind:     hidden_block_count_z
      - .offset:         44
        .size:           2
        .value_kind:     hidden_group_size_x
      - .offset:         46
        .size:           2
        .value_kind:     hidden_group_size_y
      - .offset:         48
        .size:           2
        .value_kind:     hidden_group_size_z
      - .offset:         50
        .size:           2
        .value_kind:     hidden_remainder_x
      - .offset:         52
        .size:           2
        .value_kind:     hidden_remainder_y
      - .offset:         54
        .size:           2
        .value_kind:     hidden_remainder_z
      - .offset:         72
        .size:           8
        .value_kind:     hidden_global_offset_x
      - .offset:         80
        .size:           8
        .value_kind:     hidden_global_offset_y
      - .offset:         88
        .size:           8
        .value_kind:     hidden_global_offset_z
      - .offset:         96
        .size:           2
        .value_kind:     hidden_grid_dims
    .group_segment_fixed_size: 0
    .kernarg_segment_align: 8
    .kernarg_segment_size: 288
    .language:       OpenCL C
    .language_version:
      - 2
      - 0
    .max_flat_workgroup_size: 1024
    .name:           _ZN5aiter24partial_transpose_kernelIDF16_Li256ELi4ELi10000EEEvPT_S2_PKii
    .private_segment_fixed_size: 0
    .sgpr_count:     31
    .sgpr_spill_count: 0
    .symbol:         _ZN5aiter24partial_transpose_kernelIDF16_Li256ELi4ELi10000EEEvPT_S2_PKii.kd
    .uniform_work_group_size: 1
    .uses_dynamic_stack: false
    .vgpr_count:     13
    .vgpr_spill_count: 0
    .wavefront_size: 32
    .workgroup_processor_mode: 1
  - .args:
      - .actual_access:  write_only
        .address_space:  global
        .offset:         0
        .size:           8
        .value_kind:     global_buffer
      - .actual_access:  read_only
        .address_space:  global
        .offset:         8
        .size:           8
        .value_kind:     global_buffer
      - .actual_access:  read_only
        .address_space:  global
        .offset:         16
        .size:           8
        .value_kind:     global_buffer
      - .offset:         24
        .size:           4
        .value_kind:     by_value
      - .offset:         32
        .size:           4
        .value_kind:     hidden_block_count_x
      - .offset:         36
        .size:           4
        .value_kind:     hidden_block_count_y
      - .offset:         40
        .size:           4
        .value_kind:     hidden_block_count_z
      - .offset:         44
        .size:           2
        .value_kind:     hidden_group_size_x
      - .offset:         46
        .size:           2
        .value_kind:     hidden_group_size_y
      - .offset:         48
        .size:           2
        .value_kind:     hidden_group_size_z
      - .offset:         50
        .size:           2
        .value_kind:     hidden_remainder_x
      - .offset:         52
        .size:           2
        .value_kind:     hidden_remainder_y
      - .offset:         54
        .size:           2
        .value_kind:     hidden_remainder_z
      - .offset:         72
        .size:           8
        .value_kind:     hidden_global_offset_x
      - .offset:         80
        .size:           8
        .value_kind:     hidden_global_offset_y
      - .offset:         88
        .size:           8
        .value_kind:     hidden_global_offset_z
      - .offset:         96
        .size:           2
        .value_kind:     hidden_grid_dims
    .group_segment_fixed_size: 0
    .kernarg_segment_align: 8
    .kernarg_segment_size: 288
    .language:       OpenCL C
    .language_version:
      - 2
      - 0
    .max_flat_workgroup_size: 1024
    .name:           _ZN5aiter24partial_transpose_kernelItLi256ELi4ELi10000EEEvPT_S2_PKii
    .private_segment_fixed_size: 0
    .sgpr_count:     31
    .sgpr_spill_count: 0
    .symbol:         _ZN5aiter24partial_transpose_kernelItLi256ELi4ELi10000EEEvPT_S2_PKii.kd
    .uniform_work_group_size: 1
    .uses_dynamic_stack: false
    .vgpr_count:     13
    .vgpr_spill_count: 0
    .wavefront_size: 32
    .workgroup_processor_mode: 1
  - .args:
      - .actual_access:  write_only
        .address_space:  global
        .offset:         0
        .size:           8
        .value_kind:     global_buffer
      - .actual_access:  read_only
        .address_space:  global
        .offset:         8
        .size:           8
        .value_kind:     global_buffer
      - .actual_access:  read_only
        .address_space:  global
        .offset:         16
        .size:           8
        .value_kind:     global_buffer
      - .offset:         24
        .size:           4
        .value_kind:     by_value
      - .offset:         32
        .size:           4
        .value_kind:     hidden_block_count_x
      - .offset:         36
        .size:           4
        .value_kind:     hidden_block_count_y
      - .offset:         40
        .size:           4
        .value_kind:     hidden_block_count_z
      - .offset:         44
        .size:           2
        .value_kind:     hidden_group_size_x
      - .offset:         46
        .size:           2
        .value_kind:     hidden_group_size_y
      - .offset:         48
        .size:           2
        .value_kind:     hidden_group_size_z
      - .offset:         50
        .size:           2
        .value_kind:     hidden_remainder_x
      - .offset:         52
        .size:           2
        .value_kind:     hidden_remainder_y
      - .offset:         54
        .size:           2
        .value_kind:     hidden_remainder_z
      - .offset:         72
        .size:           8
        .value_kind:     hidden_global_offset_x
      - .offset:         80
        .size:           8
        .value_kind:     hidden_global_offset_y
      - .offset:         88
        .size:           8
        .value_kind:     hidden_global_offset_z
      - .offset:         96
        .size:           2
        .value_kind:     hidden_grid_dims
    .group_segment_fixed_size: 0
    .kernarg_segment_align: 8
    .kernarg_segment_size: 288
    .language:       OpenCL C
    .language_version:
      - 2
      - 0
    .max_flat_workgroup_size: 1024
    .name:           _ZN5aiter24partial_transpose_kernelIfLi256ELi8ELi10000EEEvPT_S2_PKii
    .private_segment_fixed_size: 0
    .sgpr_count:     40
    .sgpr_spill_count: 0
    .symbol:         _ZN5aiter24partial_transpose_kernelIfLi256ELi8ELi10000EEEvPT_S2_PKii.kd
    .uniform_work_group_size: 1
    .uses_dynamic_stack: false
    .vgpr_count:     16
    .vgpr_spill_count: 0
    .wavefront_size: 32
    .workgroup_processor_mode: 1
  - .args:
      - .actual_access:  write_only
        .address_space:  global
        .offset:         0
        .size:           8
        .value_kind:     global_buffer
      - .actual_access:  read_only
        .address_space:  global
        .offset:         8
        .size:           8
        .value_kind:     global_buffer
      - .actual_access:  read_only
        .address_space:  global
        .offset:         16
        .size:           8
        .value_kind:     global_buffer
      - .offset:         24
        .size:           4
        .value_kind:     by_value
      - .offset:         32
        .size:           4
        .value_kind:     hidden_block_count_x
      - .offset:         36
        .size:           4
        .value_kind:     hidden_block_count_y
      - .offset:         40
        .size:           4
        .value_kind:     hidden_block_count_z
      - .offset:         44
        .size:           2
        .value_kind:     hidden_group_size_x
      - .offset:         46
        .size:           2
        .value_kind:     hidden_group_size_y
      - .offset:         48
        .size:           2
        .value_kind:     hidden_group_size_z
      - .offset:         50
        .size:           2
        .value_kind:     hidden_remainder_x
      - .offset:         52
        .size:           2
        .value_kind:     hidden_remainder_y
      - .offset:         54
        .size:           2
        .value_kind:     hidden_remainder_z
      - .offset:         72
        .size:           8
        .value_kind:     hidden_global_offset_x
      - .offset:         80
        .size:           8
        .value_kind:     hidden_global_offset_y
      - .offset:         88
        .size:           8
        .value_kind:     hidden_global_offset_z
      - .offset:         96
        .size:           2
        .value_kind:     hidden_grid_dims
    .group_segment_fixed_size: 0
    .kernarg_segment_align: 8
    .kernarg_segment_size: 288
    .language:       OpenCL C
    .language_version:
      - 2
      - 0
    .max_flat_workgroup_size: 1024
    .name:           _ZN5aiter24partial_transpose_kernelIDF16_Li256ELi8ELi10000EEEvPT_S2_PKii
    .private_segment_fixed_size: 0
    .sgpr_count:     40
    .sgpr_spill_count: 0
    .symbol:         _ZN5aiter24partial_transpose_kernelIDF16_Li256ELi8ELi10000EEEvPT_S2_PKii.kd
    .uniform_work_group_size: 1
    .uses_dynamic_stack: false
    .vgpr_count:     13
    .vgpr_spill_count: 0
    .wavefront_size: 32
    .workgroup_processor_mode: 1
  - .args:
      - .actual_access:  write_only
        .address_space:  global
        .offset:         0
        .size:           8
        .value_kind:     global_buffer
      - .actual_access:  read_only
        .address_space:  global
        .offset:         8
        .size:           8
        .value_kind:     global_buffer
      - .actual_access:  read_only
        .address_space:  global
        .offset:         16
        .size:           8
        .value_kind:     global_buffer
      - .offset:         24
        .size:           4
        .value_kind:     by_value
      - .offset:         32
        .size:           4
        .value_kind:     hidden_block_count_x
      - .offset:         36
        .size:           4
        .value_kind:     hidden_block_count_y
      - .offset:         40
        .size:           4
        .value_kind:     hidden_block_count_z
      - .offset:         44
        .size:           2
        .value_kind:     hidden_group_size_x
      - .offset:         46
        .size:           2
        .value_kind:     hidden_group_size_y
      - .offset:         48
        .size:           2
        .value_kind:     hidden_group_size_z
      - .offset:         50
        .size:           2
        .value_kind:     hidden_remainder_x
      - .offset:         52
        .size:           2
        .value_kind:     hidden_remainder_y
      - .offset:         54
        .size:           2
        .value_kind:     hidden_remainder_z
      - .offset:         72
        .size:           8
        .value_kind:     hidden_global_offset_x
      - .offset:         80
        .size:           8
        .value_kind:     hidden_global_offset_y
      - .offset:         88
        .size:           8
        .value_kind:     hidden_global_offset_z
      - .offset:         96
        .size:           2
        .value_kind:     hidden_grid_dims
    .group_segment_fixed_size: 0
    .kernarg_segment_align: 8
    .kernarg_segment_size: 288
    .language:       OpenCL C
    .language_version:
      - 2
      - 0
    .max_flat_workgroup_size: 1024
    .name:           _ZN5aiter24partial_transpose_kernelItLi256ELi8ELi10000EEEvPT_S2_PKii
    .private_segment_fixed_size: 0
    .sgpr_count:     40
    .sgpr_spill_count: 0
    .symbol:         _ZN5aiter24partial_transpose_kernelItLi256ELi8ELi10000EEEvPT_S2_PKii.kd
    .uniform_work_group_size: 1
    .uses_dynamic_stack: false
    .vgpr_count:     13
    .vgpr_spill_count: 0
    .wavefront_size: 32
    .workgroup_processor_mode: 1
  - .args:
      - .actual_access:  write_only
        .address_space:  global
        .offset:         0
        .size:           8
        .value_kind:     global_buffer
      - .actual_access:  read_only
        .address_space:  global
        .offset:         8
        .size:           8
        .value_kind:     global_buffer
      - .actual_access:  read_only
        .address_space:  global
        .offset:         16
        .size:           8
        .value_kind:     global_buffer
      - .offset:         24
        .size:           4
        .value_kind:     by_value
      - .offset:         32
        .size:           4
        .value_kind:     hidden_block_count_x
      - .offset:         36
        .size:           4
        .value_kind:     hidden_block_count_y
      - .offset:         40
        .size:           4
        .value_kind:     hidden_block_count_z
      - .offset:         44
        .size:           2
        .value_kind:     hidden_group_size_x
      - .offset:         46
        .size:           2
        .value_kind:     hidden_group_size_y
      - .offset:         48
        .size:           2
        .value_kind:     hidden_group_size_z
      - .offset:         50
        .size:           2
        .value_kind:     hidden_remainder_x
      - .offset:         52
        .size:           2
        .value_kind:     hidden_remainder_y
      - .offset:         54
        .size:           2
        .value_kind:     hidden_remainder_z
      - .offset:         72
        .size:           8
        .value_kind:     hidden_global_offset_x
      - .offset:         80
        .size:           8
        .value_kind:     hidden_global_offset_y
      - .offset:         88
        .size:           8
        .value_kind:     hidden_global_offset_z
      - .offset:         96
        .size:           2
        .value_kind:     hidden_grid_dims
    .group_segment_fixed_size: 0
    .kernarg_segment_align: 8
    .kernarg_segment_size: 288
    .language:       OpenCL C
    .language_version:
      - 2
      - 0
    .max_flat_workgroup_size: 1024
    .name:           _ZN5aiter24partial_transpose_kernelIfLi256ELi16ELi10000EEEvPT_S2_PKii
    .private_segment_fixed_size: 0
    .sgpr_count:     54
    .sgpr_spill_count: 0
    .symbol:         _ZN5aiter24partial_transpose_kernelIfLi256ELi16ELi10000EEEvPT_S2_PKii.kd
    .uniform_work_group_size: 1
    .uses_dynamic_stack: false
    .vgpr_count:     24
    .vgpr_spill_count: 0
    .wavefront_size: 32
    .workgroup_processor_mode: 1
  - .args:
      - .actual_access:  write_only
        .address_space:  global
        .offset:         0
        .size:           8
        .value_kind:     global_buffer
      - .actual_access:  read_only
        .address_space:  global
        .offset:         8
        .size:           8
        .value_kind:     global_buffer
      - .actual_access:  read_only
        .address_space:  global
        .offset:         16
        .size:           8
        .value_kind:     global_buffer
      - .offset:         24
        .size:           4
        .value_kind:     by_value
      - .offset:         32
        .size:           4
        .value_kind:     hidden_block_count_x
      - .offset:         36
        .size:           4
        .value_kind:     hidden_block_count_y
      - .offset:         40
        .size:           4
        .value_kind:     hidden_block_count_z
      - .offset:         44
        .size:           2
        .value_kind:     hidden_group_size_x
      - .offset:         46
        .size:           2
        .value_kind:     hidden_group_size_y
      - .offset:         48
        .size:           2
        .value_kind:     hidden_group_size_z
      - .offset:         50
        .size:           2
        .value_kind:     hidden_remainder_x
      - .offset:         52
        .size:           2
        .value_kind:     hidden_remainder_y
      - .offset:         54
        .size:           2
        .value_kind:     hidden_remainder_z
      - .offset:         72
        .size:           8
        .value_kind:     hidden_global_offset_x
      - .offset:         80
        .size:           8
        .value_kind:     hidden_global_offset_y
      - .offset:         88
        .size:           8
        .value_kind:     hidden_global_offset_z
      - .offset:         96
        .size:           2
        .value_kind:     hidden_grid_dims
    .group_segment_fixed_size: 0
    .kernarg_segment_align: 8
    .kernarg_segment_size: 288
    .language:       OpenCL C
    .language_version:
      - 2
      - 0
    .max_flat_workgroup_size: 1024
    .name:           _ZN5aiter24partial_transpose_kernelIDF16_Li256ELi16ELi10000EEEvPT_S2_PKii
    .private_segment_fixed_size: 0
    .sgpr_count:     54
    .sgpr_spill_count: 0
    .symbol:         _ZN5aiter24partial_transpose_kernelIDF16_Li256ELi16ELi10000EEEvPT_S2_PKii.kd
    .uniform_work_group_size: 1
    .uses_dynamic_stack: false
    .vgpr_count:     16
    .vgpr_spill_count: 0
    .wavefront_size: 32
    .workgroup_processor_mode: 1
  - .args:
      - .actual_access:  write_only
        .address_space:  global
        .offset:         0
        .size:           8
        .value_kind:     global_buffer
      - .actual_access:  read_only
        .address_space:  global
        .offset:         8
        .size:           8
        .value_kind:     global_buffer
      - .actual_access:  read_only
        .address_space:  global
        .offset:         16
        .size:           8
        .value_kind:     global_buffer
      - .offset:         24
        .size:           4
        .value_kind:     by_value
      - .offset:         32
        .size:           4
        .value_kind:     hidden_block_count_x
      - .offset:         36
        .size:           4
        .value_kind:     hidden_block_count_y
      - .offset:         40
        .size:           4
        .value_kind:     hidden_block_count_z
      - .offset:         44
        .size:           2
        .value_kind:     hidden_group_size_x
      - .offset:         46
        .size:           2
        .value_kind:     hidden_group_size_y
      - .offset:         48
        .size:           2
        .value_kind:     hidden_group_size_z
      - .offset:         50
        .size:           2
        .value_kind:     hidden_remainder_x
      - .offset:         52
        .size:           2
        .value_kind:     hidden_remainder_y
      - .offset:         54
        .size:           2
        .value_kind:     hidden_remainder_z
      - .offset:         72
        .size:           8
        .value_kind:     hidden_global_offset_x
      - .offset:         80
        .size:           8
        .value_kind:     hidden_global_offset_y
      - .offset:         88
        .size:           8
        .value_kind:     hidden_global_offset_z
      - .offset:         96
        .size:           2
        .value_kind:     hidden_grid_dims
    .group_segment_fixed_size: 0
    .kernarg_segment_align: 8
    .kernarg_segment_size: 288
    .language:       OpenCL C
    .language_version:
      - 2
      - 0
    .max_flat_workgroup_size: 1024
    .name:           _ZN5aiter24partial_transpose_kernelItLi256ELi16ELi10000EEEvPT_S2_PKii
    .private_segment_fixed_size: 0
    .sgpr_count:     54
    .sgpr_spill_count: 0
    .symbol:         _ZN5aiter24partial_transpose_kernelItLi256ELi16ELi10000EEEvPT_S2_PKii.kd
    .uniform_work_group_size: 1
    .uses_dynamic_stack: false
    .vgpr_count:     16
    .vgpr_spill_count: 0
    .wavefront_size: 32
    .workgroup_processor_mode: 1
  - .args:
      - .actual_access:  write_only
        .address_space:  global
        .offset:         0
        .size:           8
        .value_kind:     global_buffer
      - .actual_access:  read_only
        .address_space:  global
        .offset:         8
        .size:           8
        .value_kind:     global_buffer
      - .actual_access:  read_only
        .address_space:  global
        .offset:         16
        .size:           8
        .value_kind:     global_buffer
      - .offset:         24
        .size:           4
        .value_kind:     by_value
      - .offset:         32
        .size:           4
        .value_kind:     hidden_block_count_x
      - .offset:         36
        .size:           4
        .value_kind:     hidden_block_count_y
      - .offset:         40
        .size:           4
        .value_kind:     hidden_block_count_z
      - .offset:         44
        .size:           2
        .value_kind:     hidden_group_size_x
      - .offset:         46
        .size:           2
        .value_kind:     hidden_group_size_y
      - .offset:         48
        .size:           2
        .value_kind:     hidden_group_size_z
      - .offset:         50
        .size:           2
        .value_kind:     hidden_remainder_x
      - .offset:         52
        .size:           2
        .value_kind:     hidden_remainder_y
      - .offset:         54
        .size:           2
        .value_kind:     hidden_remainder_z
      - .offset:         72
        .size:           8
        .value_kind:     hidden_global_offset_x
      - .offset:         80
        .size:           8
        .value_kind:     hidden_global_offset_y
      - .offset:         88
        .size:           8
        .value_kind:     hidden_global_offset_z
      - .offset:         96
        .size:           2
        .value_kind:     hidden_grid_dims
    .group_segment_fixed_size: 0
    .kernarg_segment_align: 8
    .kernarg_segment_size: 288
    .language:       OpenCL C
    .language_version:
      - 2
      - 0
    .max_flat_workgroup_size: 1024
    .name:           _ZN5aiter24partial_transpose_kernelIfLi512ELi16ELi10000EEEvPT_S2_PKii
    .private_segment_fixed_size: 0
    .sgpr_count:     54
    .sgpr_spill_count: 0
    .symbol:         _ZN5aiter24partial_transpose_kernelIfLi512ELi16ELi10000EEEvPT_S2_PKii.kd
    .uniform_work_group_size: 1
    .uses_dynamic_stack: false
    .vgpr_count:     24
    .vgpr_spill_count: 0
    .wavefront_size: 32
    .workgroup_processor_mode: 1
  - .args:
      - .actual_access:  write_only
        .address_space:  global
        .offset:         0
        .size:           8
        .value_kind:     global_buffer
      - .actual_access:  read_only
        .address_space:  global
        .offset:         8
        .size:           8
        .value_kind:     global_buffer
      - .actual_access:  read_only
        .address_space:  global
        .offset:         16
        .size:           8
        .value_kind:     global_buffer
      - .offset:         24
        .size:           4
        .value_kind:     by_value
      - .offset:         32
        .size:           4
        .value_kind:     hidden_block_count_x
      - .offset:         36
        .size:           4
        .value_kind:     hidden_block_count_y
      - .offset:         40
        .size:           4
        .value_kind:     hidden_block_count_z
      - .offset:         44
        .size:           2
        .value_kind:     hidden_group_size_x
      - .offset:         46
        .size:           2
        .value_kind:     hidden_group_size_y
      - .offset:         48
        .size:           2
        .value_kind:     hidden_group_size_z
      - .offset:         50
        .size:           2
        .value_kind:     hidden_remainder_x
      - .offset:         52
        .size:           2
        .value_kind:     hidden_remainder_y
      - .offset:         54
        .size:           2
        .value_kind:     hidden_remainder_z
      - .offset:         72
        .size:           8
        .value_kind:     hidden_global_offset_x
      - .offset:         80
        .size:           8
        .value_kind:     hidden_global_offset_y
      - .offset:         88
        .size:           8
        .value_kind:     hidden_global_offset_z
      - .offset:         96
        .size:           2
        .value_kind:     hidden_grid_dims
    .group_segment_fixed_size: 0
    .kernarg_segment_align: 8
    .kernarg_segment_size: 288
    .language:       OpenCL C
    .language_version:
      - 2
      - 0
    .max_flat_workgroup_size: 1024
    .name:           _ZN5aiter24partial_transpose_kernelIDF16_Li512ELi16ELi10000EEEvPT_S2_PKii
    .private_segment_fixed_size: 0
    .sgpr_count:     54
    .sgpr_spill_count: 0
    .symbol:         _ZN5aiter24partial_transpose_kernelIDF16_Li512ELi16ELi10000EEEvPT_S2_PKii.kd
    .uniform_work_group_size: 1
    .uses_dynamic_stack: false
    .vgpr_count:     16
    .vgpr_spill_count: 0
    .wavefront_size: 32
    .workgroup_processor_mode: 1
  - .args:
      - .actual_access:  write_only
        .address_space:  global
        .offset:         0
        .size:           8
        .value_kind:     global_buffer
      - .actual_access:  read_only
        .address_space:  global
        .offset:         8
        .size:           8
        .value_kind:     global_buffer
      - .actual_access:  read_only
        .address_space:  global
        .offset:         16
        .size:           8
        .value_kind:     global_buffer
      - .offset:         24
        .size:           4
        .value_kind:     by_value
      - .offset:         32
        .size:           4
        .value_kind:     hidden_block_count_x
      - .offset:         36
        .size:           4
        .value_kind:     hidden_block_count_y
      - .offset:         40
        .size:           4
        .value_kind:     hidden_block_count_z
      - .offset:         44
        .size:           2
        .value_kind:     hidden_group_size_x
      - .offset:         46
        .size:           2
        .value_kind:     hidden_group_size_y
      - .offset:         48
        .size:           2
        .value_kind:     hidden_group_size_z
      - .offset:         50
        .size:           2
        .value_kind:     hidden_remainder_x
      - .offset:         52
        .size:           2
        .value_kind:     hidden_remainder_y
      - .offset:         54
        .size:           2
        .value_kind:     hidden_remainder_z
      - .offset:         72
        .size:           8
        .value_kind:     hidden_global_offset_x
      - .offset:         80
        .size:           8
        .value_kind:     hidden_global_offset_y
      - .offset:         88
        .size:           8
        .value_kind:     hidden_global_offset_z
      - .offset:         96
        .size:           2
        .value_kind:     hidden_grid_dims
    .group_segment_fixed_size: 0
    .kernarg_segment_align: 8
    .kernarg_segment_size: 288
    .language:       OpenCL C
    .language_version:
      - 2
      - 0
    .max_flat_workgroup_size: 1024
    .name:           _ZN5aiter24partial_transpose_kernelItLi512ELi16ELi10000EEEvPT_S2_PKii
    .private_segment_fixed_size: 0
    .sgpr_count:     54
    .sgpr_spill_count: 0
    .symbol:         _ZN5aiter24partial_transpose_kernelItLi512ELi16ELi10000EEEvPT_S2_PKii.kd
    .uniform_work_group_size: 1
    .uses_dynamic_stack: false
    .vgpr_count:     16
    .vgpr_spill_count: 0
    .wavefront_size: 32
    .workgroup_processor_mode: 1
  - .args:
      - .actual_access:  write_only
        .address_space:  global
        .offset:         0
        .size:           8
        .value_kind:     global_buffer
      - .actual_access:  write_only
        .address_space:  global
        .offset:         8
        .size:           8
        .value_kind:     global_buffer
      - .actual_access:  read_only
        .address_space:  global
        .offset:         16
        .size:           8
        .value_kind:     global_buffer
      - .actual_access:  read_only
        .address_space:  global
        .offset:         24
        .size:           8
        .value_kind:     global_buffer
      - .actual_access:  read_only
        .address_space:  global
        .offset:         32
        .size:           8
        .value_kind:     global_buffer
      - .actual_access:  read_only
        .address_space:  global
        .offset:         40
        .size:           8
        .value_kind:     global_buffer
      - .offset:         48
        .size:           4
        .value_kind:     by_value
      - .offset:         52
        .size:           4
        .value_kind:     by_value
      - .offset:         56
        .size:           4
        .value_kind:     by_value
      - .offset:         60
        .size:           4
        .value_kind:     by_value
      - .offset:         64
        .size:           4
        .value_kind:     by_value
    .group_segment_fixed_size: 4112
    .kernarg_segment_align: 8
    .kernarg_segment_size: 68
    .language:       OpenCL C
    .language_version:
      - 2
      - 0
    .max_flat_workgroup_size: 1024
    .name:           _ZN5aiter43moe_smooth_per_token_scaled_quant_kernel_v1IDF16_DB8_Li128ELi8ELb1ELb1ELi1024EEEvPT0_PfPT_S4_PiS7_iiiii
    .private_segment_fixed_size: 0
    .sgpr_count:     26
    .sgpr_spill_count: 0
    .symbol:         _ZN5aiter43moe_smooth_per_token_scaled_quant_kernel_v1IDF16_DB8_Li128ELi8ELb1ELb1ELi1024EEEvPT0_PfPT_S4_PiS7_iiiii.kd
    .uniform_work_group_size: 1
    .uses_dynamic_stack: false
    .vgpr_count:     28
    .vgpr_spill_count: 0
    .wavefront_size: 32
    .workgroup_processor_mode: 1
  - .args:
      - .actual_access:  write_only
        .address_space:  global
        .offset:         0
        .size:           8
        .value_kind:     global_buffer
      - .actual_access:  write_only
        .address_space:  global
        .offset:         8
        .size:           8
        .value_kind:     global_buffer
      - .actual_access:  read_only
        .address_space:  global
        .offset:         16
        .size:           8
        .value_kind:     global_buffer
      - .actual_access:  read_only
        .address_space:  global
        .offset:         24
        .size:           8
        .value_kind:     global_buffer
      - .actual_access:  read_only
        .address_space:  global
        .offset:         32
        .size:           8
        .value_kind:     global_buffer
      - .actual_access:  read_only
        .address_space:  global
        .offset:         40
        .size:           8
        .value_kind:     global_buffer
      - .offset:         48
        .size:           4
        .value_kind:     by_value
      - .offset:         52
        .size:           4
        .value_kind:     by_value
      - .offset:         56
        .size:           4
        .value_kind:     by_value
      - .offset:         60
        .size:           4
        .value_kind:     by_value
      - .offset:         64
        .size:           4
        .value_kind:     by_value
    .group_segment_fixed_size: 4112
    .kernarg_segment_align: 8
    .kernarg_segment_size: 68
    .language:       OpenCL C
    .language_version:
      - 2
      - 0
    .max_flat_workgroup_size: 1024
    .name:           _ZN5aiter43moe_smooth_per_token_scaled_quant_kernel_v1ItDB8_Li128ELi8ELb1ELb1ELi1024EEEvPT0_PfPT_S4_PiS7_iiiii
    .private_segment_fixed_size: 0
    .sgpr_count:     26
    .sgpr_spill_count: 0
    .symbol:         _ZN5aiter43moe_smooth_per_token_scaled_quant_kernel_v1ItDB8_Li128ELi8ELb1ELb1ELi1024EEEvPT0_PfPT_S4_PiS7_iiiii.kd
    .uniform_work_group_size: 1
    .uses_dynamic_stack: false
    .vgpr_count:     28
    .vgpr_spill_count: 0
    .wavefront_size: 32
    .workgroup_processor_mode: 1
  - .args:
      - .actual_access:  write_only
        .address_space:  global
        .offset:         0
        .size:           8
        .value_kind:     global_buffer
      - .actual_access:  write_only
        .address_space:  global
        .offset:         8
        .size:           8
        .value_kind:     global_buffer
      - .actual_access:  read_only
        .address_space:  global
        .offset:         16
        .size:           8
        .value_kind:     global_buffer
      - .actual_access:  read_only
        .address_space:  global
        .offset:         24
        .size:           8
        .value_kind:     global_buffer
      - .actual_access:  read_only
        .address_space:  global
        .offset:         32
        .size:           8
        .value_kind:     global_buffer
      - .actual_access:  read_only
        .address_space:  global
        .offset:         40
        .size:           8
        .value_kind:     global_buffer
      - .offset:         48
        .size:           4
        .value_kind:     by_value
      - .offset:         52
        .size:           4
        .value_kind:     by_value
      - .offset:         56
        .size:           4
        .value_kind:     by_value
      - .offset:         60
        .size:           4
        .value_kind:     by_value
      - .offset:         64
        .size:           4
        .value_kind:     by_value
    .group_segment_fixed_size: 16
    .kernarg_segment_align: 8
    .kernarg_segment_size: 68
    .language:       OpenCL C
    .language_version:
      - 2
      - 0
    .max_flat_workgroup_size: 1024
    .name:           _ZN5aiter43moe_smooth_per_token_scaled_quant_kernel_v1IDF16_DB8_Li128ELi8ELb1ELb0ELi1024EEEvPT0_PfPT_S4_PiS7_iiiii
    .private_segment_fixed_size: 0
    .sgpr_count:     26
    .sgpr_spill_count: 0
    .symbol:         _ZN5aiter43moe_smooth_per_token_scaled_quant_kernel_v1IDF16_DB8_Li128ELi8ELb1ELb0ELi1024EEEvPT0_PfPT_S4_PiS7_iiiii.kd
    .uniform_work_group_size: 1
    .uses_dynamic_stack: false
    .vgpr_count:     28
    .vgpr_spill_count: 0
    .wavefront_size: 32
    .workgroup_processor_mode: 1
  - .args:
      - .actual_access:  write_only
        .address_space:  global
        .offset:         0
        .size:           8
        .value_kind:     global_buffer
      - .actual_access:  write_only
        .address_space:  global
        .offset:         8
        .size:           8
        .value_kind:     global_buffer
      - .actual_access:  read_only
        .address_space:  global
        .offset:         16
        .size:           8
        .value_kind:     global_buffer
      - .actual_access:  read_only
        .address_space:  global
        .offset:         24
        .size:           8
        .value_kind:     global_buffer
      - .actual_access:  read_only
        .address_space:  global
        .offset:         32
        .size:           8
        .value_kind:     global_buffer
      - .actual_access:  read_only
        .address_space:  global
        .offset:         40
        .size:           8
        .value_kind:     global_buffer
      - .offset:         48
        .size:           4
        .value_kind:     by_value
      - .offset:         52
        .size:           4
        .value_kind:     by_value
      - .offset:         56
        .size:           4
        .value_kind:     by_value
      - .offset:         60
        .size:           4
        .value_kind:     by_value
      - .offset:         64
        .size:           4
        .value_kind:     by_value
    .group_segment_fixed_size: 16
    .kernarg_segment_align: 8
    .kernarg_segment_size: 68
    .language:       OpenCL C
    .language_version:
      - 2
      - 0
    .max_flat_workgroup_size: 1024
    .name:           _ZN5aiter43moe_smooth_per_token_scaled_quant_kernel_v1ItDB8_Li128ELi8ELb1ELb0ELi1024EEEvPT0_PfPT_S4_PiS7_iiiii
    .private_segment_fixed_size: 0
    .sgpr_count:     26
    .sgpr_spill_count: 0
    .symbol:         _ZN5aiter43moe_smooth_per_token_scaled_quant_kernel_v1ItDB8_Li128ELi8ELb1ELb0ELi1024EEEvPT0_PfPT_S4_PiS7_iiiii.kd
    .uniform_work_group_size: 1
    .uses_dynamic_stack: false
    .vgpr_count:     28
    .vgpr_spill_count: 0
    .wavefront_size: 32
    .workgroup_processor_mode: 1
  - .args:
      - .actual_access:  write_only
        .address_space:  global
        .offset:         0
        .size:           8
        .value_kind:     global_buffer
      - .actual_access:  write_only
        .address_space:  global
        .offset:         8
        .size:           8
        .value_kind:     global_buffer
      - .actual_access:  read_only
        .address_space:  global
        .offset:         16
        .size:           8
        .value_kind:     global_buffer
      - .actual_access:  read_only
        .address_space:  global
        .offset:         24
        .size:           8
        .value_kind:     global_buffer
      - .actual_access:  read_only
        .address_space:  global
        .offset:         32
        .size:           8
        .value_kind:     global_buffer
      - .actual_access:  read_only
        .address_space:  global
        .offset:         40
        .size:           8
        .value_kind:     global_buffer
      - .offset:         48
        .size:           4
        .value_kind:     by_value
      - .offset:         52
        .size:           4
        .value_kind:     by_value
      - .offset:         56
        .size:           4
        .value_kind:     by_value
      - .offset:         60
        .size:           4
        .value_kind:     by_value
      - .offset:         64
        .size:           4
        .value_kind:     by_value
    .group_segment_fixed_size: 4112
    .kernarg_segment_align: 8
    .kernarg_segment_size: 68
    .language:       OpenCL C
    .language_version:
      - 2
      - 0
    .max_flat_workgroup_size: 1024
    .name:           _ZN5aiter43moe_smooth_per_token_scaled_quant_kernel_v1IDF16_DB8_Li128ELi8ELb0ELb1ELi1024EEEvPT0_PfPT_S4_PiS7_iiiii
    .private_segment_fixed_size: 0
    .sgpr_count:     25
    .sgpr_spill_count: 0
    .symbol:         _ZN5aiter43moe_smooth_per_token_scaled_quant_kernel_v1IDF16_DB8_Li128ELi8ELb0ELb1ELi1024EEEvPT0_PfPT_S4_PiS7_iiiii.kd
    .uniform_work_group_size: 1
    .uses_dynamic_stack: false
    .vgpr_count:     28
    .vgpr_spill_count: 0
    .wavefront_size: 32
    .workgroup_processor_mode: 1
  - .args:
      - .actual_access:  write_only
        .address_space:  global
        .offset:         0
        .size:           8
        .value_kind:     global_buffer
      - .actual_access:  write_only
        .address_space:  global
        .offset:         8
        .size:           8
        .value_kind:     global_buffer
      - .actual_access:  read_only
        .address_space:  global
        .offset:         16
        .size:           8
        .value_kind:     global_buffer
      - .actual_access:  read_only
        .address_space:  global
        .offset:         24
        .size:           8
        .value_kind:     global_buffer
      - .actual_access:  read_only
        .address_space:  global
        .offset:         32
        .size:           8
        .value_kind:     global_buffer
      - .actual_access:  read_only
        .address_space:  global
        .offset:         40
        .size:           8
        .value_kind:     global_buffer
      - .offset:         48
        .size:           4
        .value_kind:     by_value
      - .offset:         52
        .size:           4
        .value_kind:     by_value
      - .offset:         56
        .size:           4
        .value_kind:     by_value
      - .offset:         60
        .size:           4
        .value_kind:     by_value
      - .offset:         64
        .size:           4
        .value_kind:     by_value
    .group_segment_fixed_size: 4112
    .kernarg_segment_align: 8
    .kernarg_segment_size: 68
    .language:       OpenCL C
    .language_version:
      - 2
      - 0
    .max_flat_workgroup_size: 1024
    .name:           _ZN5aiter43moe_smooth_per_token_scaled_quant_kernel_v1ItDB8_Li128ELi8ELb0ELb1ELi1024EEEvPT0_PfPT_S4_PiS7_iiiii
    .private_segment_fixed_size: 0
    .sgpr_count:     25
    .sgpr_spill_count: 0
    .symbol:         _ZN5aiter43moe_smooth_per_token_scaled_quant_kernel_v1ItDB8_Li128ELi8ELb0ELb1ELi1024EEEvPT0_PfPT_S4_PiS7_iiiii.kd
    .uniform_work_group_size: 1
    .uses_dynamic_stack: false
    .vgpr_count:     28
    .vgpr_spill_count: 0
    .wavefront_size: 32
    .workgroup_processor_mode: 1
  - .args:
      - .actual_access:  write_only
        .address_space:  global
        .offset:         0
        .size:           8
        .value_kind:     global_buffer
      - .actual_access:  write_only
        .address_space:  global
        .offset:         8
        .size:           8
        .value_kind:     global_buffer
      - .actual_access:  read_only
        .address_space:  global
        .offset:         16
        .size:           8
        .value_kind:     global_buffer
      - .actual_access:  read_only
        .address_space:  global
        .offset:         24
        .size:           8
        .value_kind:     global_buffer
      - .actual_access:  read_only
        .address_space:  global
        .offset:         32
        .size:           8
        .value_kind:     global_buffer
      - .actual_access:  read_only
        .address_space:  global
        .offset:         40
        .size:           8
        .value_kind:     global_buffer
      - .offset:         48
        .size:           4
        .value_kind:     by_value
      - .offset:         52
        .size:           4
        .value_kind:     by_value
      - .offset:         56
        .size:           4
        .value_kind:     by_value
      - .offset:         60
        .size:           4
        .value_kind:     by_value
      - .offset:         64
        .size:           4
        .value_kind:     by_value
    .group_segment_fixed_size: 16
    .kernarg_segment_align: 8
    .kernarg_segment_size: 68
    .language:       OpenCL C
    .language_version:
      - 2
      - 0
    .max_flat_workgroup_size: 1024
    .name:           _ZN5aiter43moe_smooth_per_token_scaled_quant_kernel_v1IDF16_DB8_Li128ELi8ELb0ELb0ELi1024EEEvPT0_PfPT_S4_PiS7_iiiii
    .private_segment_fixed_size: 0
    .sgpr_count:     25
    .sgpr_spill_count: 0
    .symbol:         _ZN5aiter43moe_smooth_per_token_scaled_quant_kernel_v1IDF16_DB8_Li128ELi8ELb0ELb0ELi1024EEEvPT0_PfPT_S4_PiS7_iiiii.kd
    .uniform_work_group_size: 1
    .uses_dynamic_stack: false
    .vgpr_count:     28
    .vgpr_spill_count: 0
    .wavefront_size: 32
    .workgroup_processor_mode: 1
  - .args:
      - .actual_access:  write_only
        .address_space:  global
        .offset:         0
        .size:           8
        .value_kind:     global_buffer
      - .actual_access:  write_only
        .address_space:  global
        .offset:         8
        .size:           8
        .value_kind:     global_buffer
      - .actual_access:  read_only
        .address_space:  global
        .offset:         16
        .size:           8
        .value_kind:     global_buffer
      - .actual_access:  read_only
        .address_space:  global
        .offset:         24
        .size:           8
        .value_kind:     global_buffer
      - .actual_access:  read_only
        .address_space:  global
        .offset:         32
        .size:           8
        .value_kind:     global_buffer
      - .actual_access:  read_only
        .address_space:  global
        .offset:         40
        .size:           8
        .value_kind:     global_buffer
      - .offset:         48
        .size:           4
        .value_kind:     by_value
      - .offset:         52
        .size:           4
        .value_kind:     by_value
      - .offset:         56
        .size:           4
        .value_kind:     by_value
      - .offset:         60
        .size:           4
        .value_kind:     by_value
      - .offset:         64
        .size:           4
        .value_kind:     by_value
    .group_segment_fixed_size: 16
    .kernarg_segment_align: 8
    .kernarg_segment_size: 68
    .language:       OpenCL C
    .language_version:
      - 2
      - 0
    .max_flat_workgroup_size: 1024
    .name:           _ZN5aiter43moe_smooth_per_token_scaled_quant_kernel_v1ItDB8_Li128ELi8ELb0ELb0ELi1024EEEvPT0_PfPT_S4_PiS7_iiiii
    .private_segment_fixed_size: 0
    .sgpr_count:     25
    .sgpr_spill_count: 0
    .symbol:         _ZN5aiter43moe_smooth_per_token_scaled_quant_kernel_v1ItDB8_Li128ELi8ELb0ELb0ELi1024EEEvPT0_PfPT_S4_PiS7_iiiii.kd
    .uniform_work_group_size: 1
    .uses_dynamic_stack: false
    .vgpr_count:     28
    .vgpr_spill_count: 0
    .wavefront_size: 32
    .workgroup_processor_mode: 1
  - .args:
      - .actual_access:  write_only
        .address_space:  global
        .offset:         0
        .size:           8
        .value_kind:     global_buffer
      - .actual_access:  write_only
        .address_space:  global
        .offset:         8
        .size:           8
        .value_kind:     global_buffer
      - .actual_access:  read_only
        .address_space:  global
        .offset:         16
        .size:           8
        .value_kind:     global_buffer
      - .actual_access:  read_only
        .address_space:  global
        .offset:         24
        .size:           8
        .value_kind:     global_buffer
      - .actual_access:  read_only
        .address_space:  global
        .offset:         32
        .size:           8
        .value_kind:     global_buffer
      - .actual_access:  read_only
        .address_space:  global
        .offset:         40
        .size:           8
        .value_kind:     global_buffer
      - .offset:         48
        .size:           4
        .value_kind:     by_value
      - .offset:         52
        .size:           4
        .value_kind:     by_value
      - .offset:         56
        .size:           4
        .value_kind:     by_value
      - .offset:         60
        .size:           4
        .value_kind:     by_value
      - .offset:         64
        .size:           4
        .value_kind:     by_value
    .group_segment_fixed_size: 4128
    .kernarg_segment_align: 8
    .kernarg_segment_size: 68
    .language:       OpenCL C
    .language_version:
      - 2
      - 0
    .max_flat_workgroup_size: 1024
    .name:           _ZN5aiter43moe_smooth_per_token_scaled_quant_kernel_v1IDF16_DB8_Li256ELi8ELb1ELb1ELi1024EEEvPT0_PfPT_S4_PiS7_iiiii
    .private_segment_fixed_size: 0
    .sgpr_count:     26
    .sgpr_spill_count: 0
    .symbol:         _ZN5aiter43moe_smooth_per_token_scaled_quant_kernel_v1IDF16_DB8_Li256ELi8ELb1ELb1ELi1024EEEvPT0_PfPT_S4_PiS7_iiiii.kd
    .uniform_work_group_size: 1
    .uses_dynamic_stack: false
    .vgpr_count:     28
    .vgpr_spill_count: 0
    .wavefront_size: 32
    .workgroup_processor_mode: 1
  - .args:
      - .actual_access:  write_only
        .address_space:  global
        .offset:         0
        .size:           8
        .value_kind:     global_buffer
      - .actual_access:  write_only
        .address_space:  global
        .offset:         8
        .size:           8
        .value_kind:     global_buffer
      - .actual_access:  read_only
        .address_space:  global
        .offset:         16
        .size:           8
        .value_kind:     global_buffer
      - .actual_access:  read_only
        .address_space:  global
        .offset:         24
        .size:           8
        .value_kind:     global_buffer
      - .actual_access:  read_only
        .address_space:  global
        .offset:         32
        .size:           8
        .value_kind:     global_buffer
      - .actual_access:  read_only
        .address_space:  global
        .offset:         40
        .size:           8
        .value_kind:     global_buffer
      - .offset:         48
        .size:           4
        .value_kind:     by_value
      - .offset:         52
        .size:           4
        .value_kind:     by_value
      - .offset:         56
        .size:           4
        .value_kind:     by_value
      - .offset:         60
        .size:           4
        .value_kind:     by_value
      - .offset:         64
        .size:           4
        .value_kind:     by_value
    .group_segment_fixed_size: 4128
    .kernarg_segment_align: 8
    .kernarg_segment_size: 68
    .language:       OpenCL C
    .language_version:
      - 2
      - 0
    .max_flat_workgroup_size: 1024
    .name:           _ZN5aiter43moe_smooth_per_token_scaled_quant_kernel_v1ItDB8_Li256ELi8ELb1ELb1ELi1024EEEvPT0_PfPT_S4_PiS7_iiiii
    .private_segment_fixed_size: 0
    .sgpr_count:     26
    .sgpr_spill_count: 0
    .symbol:         _ZN5aiter43moe_smooth_per_token_scaled_quant_kernel_v1ItDB8_Li256ELi8ELb1ELb1ELi1024EEEvPT0_PfPT_S4_PiS7_iiiii.kd
    .uniform_work_group_size: 1
    .uses_dynamic_stack: false
    .vgpr_count:     28
    .vgpr_spill_count: 0
    .wavefront_size: 32
    .workgroup_processor_mode: 1
  - .args:
      - .actual_access:  write_only
        .address_space:  global
        .offset:         0
        .size:           8
        .value_kind:     global_buffer
      - .actual_access:  write_only
        .address_space:  global
        .offset:         8
        .size:           8
        .value_kind:     global_buffer
      - .actual_access:  read_only
        .address_space:  global
        .offset:         16
        .size:           8
        .value_kind:     global_buffer
      - .actual_access:  read_only
        .address_space:  global
        .offset:         24
        .size:           8
        .value_kind:     global_buffer
      - .actual_access:  read_only
        .address_space:  global
        .offset:         32
        .size:           8
        .value_kind:     global_buffer
      - .actual_access:  read_only
        .address_space:  global
        .offset:         40
        .size:           8
        .value_kind:     global_buffer
      - .offset:         48
        .size:           4
        .value_kind:     by_value
      - .offset:         52
        .size:           4
        .value_kind:     by_value
      - .offset:         56
        .size:           4
        .value_kind:     by_value
      - .offset:         60
        .size:           4
        .value_kind:     by_value
      - .offset:         64
        .size:           4
        .value_kind:     by_value
    .group_segment_fixed_size: 32
    .kernarg_segment_align: 8
    .kernarg_segment_size: 68
    .language:       OpenCL C
    .language_version:
      - 2
      - 0
    .max_flat_workgroup_size: 1024
    .name:           _ZN5aiter43moe_smooth_per_token_scaled_quant_kernel_v1IDF16_DB8_Li256ELi8ELb1ELb0ELi1024EEEvPT0_PfPT_S4_PiS7_iiiii
    .private_segment_fixed_size: 0
    .sgpr_count:     26
    .sgpr_spill_count: 0
    .symbol:         _ZN5aiter43moe_smooth_per_token_scaled_quant_kernel_v1IDF16_DB8_Li256ELi8ELb1ELb0ELi1024EEEvPT0_PfPT_S4_PiS7_iiiii.kd
    .uniform_work_group_size: 1
    .uses_dynamic_stack: false
    .vgpr_count:     28
    .vgpr_spill_count: 0
    .wavefront_size: 32
    .workgroup_processor_mode: 1
  - .args:
      - .actual_access:  write_only
        .address_space:  global
        .offset:         0
        .size:           8
        .value_kind:     global_buffer
      - .actual_access:  write_only
        .address_space:  global
        .offset:         8
        .size:           8
        .value_kind:     global_buffer
      - .actual_access:  read_only
        .address_space:  global
        .offset:         16
        .size:           8
        .value_kind:     global_buffer
      - .actual_access:  read_only
        .address_space:  global
        .offset:         24
        .size:           8
        .value_kind:     global_buffer
      - .actual_access:  read_only
        .address_space:  global
        .offset:         32
        .size:           8
        .value_kind:     global_buffer
      - .actual_access:  read_only
        .address_space:  global
        .offset:         40
        .size:           8
        .value_kind:     global_buffer
      - .offset:         48
        .size:           4
        .value_kind:     by_value
      - .offset:         52
        .size:           4
        .value_kind:     by_value
      - .offset:         56
        .size:           4
        .value_kind:     by_value
      - .offset:         60
        .size:           4
        .value_kind:     by_value
      - .offset:         64
        .size:           4
        .value_kind:     by_value
    .group_segment_fixed_size: 32
    .kernarg_segment_align: 8
    .kernarg_segment_size: 68
    .language:       OpenCL C
    .language_version:
      - 2
      - 0
    .max_flat_workgroup_size: 1024
    .name:           _ZN5aiter43moe_smooth_per_token_scaled_quant_kernel_v1ItDB8_Li256ELi8ELb1ELb0ELi1024EEEvPT0_PfPT_S4_PiS7_iiiii
    .private_segment_fixed_size: 0
    .sgpr_count:     26
    .sgpr_spill_count: 0
    .symbol:         _ZN5aiter43moe_smooth_per_token_scaled_quant_kernel_v1ItDB8_Li256ELi8ELb1ELb0ELi1024EEEvPT0_PfPT_S4_PiS7_iiiii.kd
    .uniform_work_group_size: 1
    .uses_dynamic_stack: false
    .vgpr_count:     28
    .vgpr_spill_count: 0
    .wavefront_size: 32
    .workgroup_processor_mode: 1
  - .args:
      - .actual_access:  write_only
        .address_space:  global
        .offset:         0
        .size:           8
        .value_kind:     global_buffer
      - .actual_access:  write_only
        .address_space:  global
        .offset:         8
        .size:           8
        .value_kind:     global_buffer
      - .actual_access:  read_only
        .address_space:  global
        .offset:         16
        .size:           8
        .value_kind:     global_buffer
      - .actual_access:  read_only
        .address_space:  global
        .offset:         24
        .size:           8
        .value_kind:     global_buffer
      - .actual_access:  read_only
        .address_space:  global
        .offset:         32
        .size:           8
        .value_kind:     global_buffer
      - .actual_access:  read_only
        .address_space:  global
        .offset:         40
        .size:           8
        .value_kind:     global_buffer
      - .offset:         48
        .size:           4
        .value_kind:     by_value
      - .offset:         52
        .size:           4
        .value_kind:     by_value
      - .offset:         56
        .size:           4
        .value_kind:     by_value
      - .offset:         60
        .size:           4
        .value_kind:     by_value
      - .offset:         64
        .size:           4
        .value_kind:     by_value
    .group_segment_fixed_size: 4128
    .kernarg_segment_align: 8
    .kernarg_segment_size: 68
    .language:       OpenCL C
    .language_version:
      - 2
      - 0
    .max_flat_workgroup_size: 1024
    .name:           _ZN5aiter43moe_smooth_per_token_scaled_quant_kernel_v1IDF16_DB8_Li256ELi8ELb0ELb1ELi1024EEEvPT0_PfPT_S4_PiS7_iiiii
    .private_segment_fixed_size: 0
    .sgpr_count:     25
    .sgpr_spill_count: 0
    .symbol:         _ZN5aiter43moe_smooth_per_token_scaled_quant_kernel_v1IDF16_DB8_Li256ELi8ELb0ELb1ELi1024EEEvPT0_PfPT_S4_PiS7_iiiii.kd
    .uniform_work_group_size: 1
    .uses_dynamic_stack: false
    .vgpr_count:     28
    .vgpr_spill_count: 0
    .wavefront_size: 32
    .workgroup_processor_mode: 1
  - .args:
      - .actual_access:  write_only
        .address_space:  global
        .offset:         0
        .size:           8
        .value_kind:     global_buffer
      - .actual_access:  write_only
        .address_space:  global
        .offset:         8
        .size:           8
        .value_kind:     global_buffer
      - .actual_access:  read_only
        .address_space:  global
        .offset:         16
        .size:           8
        .value_kind:     global_buffer
      - .actual_access:  read_only
        .address_space:  global
        .offset:         24
        .size:           8
        .value_kind:     global_buffer
      - .actual_access:  read_only
        .address_space:  global
        .offset:         32
        .size:           8
        .value_kind:     global_buffer
      - .actual_access:  read_only
        .address_space:  global
        .offset:         40
        .size:           8
        .value_kind:     global_buffer
      - .offset:         48
        .size:           4
        .value_kind:     by_value
      - .offset:         52
        .size:           4
        .value_kind:     by_value
      - .offset:         56
        .size:           4
        .value_kind:     by_value
      - .offset:         60
        .size:           4
        .value_kind:     by_value
      - .offset:         64
        .size:           4
        .value_kind:     by_value
    .group_segment_fixed_size: 4128
    .kernarg_segment_align: 8
    .kernarg_segment_size: 68
    .language:       OpenCL C
    .language_version:
      - 2
      - 0
    .max_flat_workgroup_size: 1024
    .name:           _ZN5aiter43moe_smooth_per_token_scaled_quant_kernel_v1ItDB8_Li256ELi8ELb0ELb1ELi1024EEEvPT0_PfPT_S4_PiS7_iiiii
    .private_segment_fixed_size: 0
    .sgpr_count:     25
    .sgpr_spill_count: 0
    .symbol:         _ZN5aiter43moe_smooth_per_token_scaled_quant_kernel_v1ItDB8_Li256ELi8ELb0ELb1ELi1024EEEvPT0_PfPT_S4_PiS7_iiiii.kd
    .uniform_work_group_size: 1
    .uses_dynamic_stack: false
    .vgpr_count:     28
    .vgpr_spill_count: 0
    .wavefront_size: 32
    .workgroup_processor_mode: 1
  - .args:
      - .actual_access:  write_only
        .address_space:  global
        .offset:         0
        .size:           8
        .value_kind:     global_buffer
      - .actual_access:  write_only
        .address_space:  global
        .offset:         8
        .size:           8
        .value_kind:     global_buffer
      - .actual_access:  read_only
        .address_space:  global
        .offset:         16
        .size:           8
        .value_kind:     global_buffer
      - .actual_access:  read_only
        .address_space:  global
        .offset:         24
        .size:           8
        .value_kind:     global_buffer
      - .actual_access:  read_only
        .address_space:  global
        .offset:         32
        .size:           8
        .value_kind:     global_buffer
      - .actual_access:  read_only
        .address_space:  global
        .offset:         40
        .size:           8
        .value_kind:     global_buffer
      - .offset:         48
        .size:           4
        .value_kind:     by_value
      - .offset:         52
        .size:           4
        .value_kind:     by_value
      - .offset:         56
        .size:           4
        .value_kind:     by_value
      - .offset:         60
        .size:           4
        .value_kind:     by_value
      - .offset:         64
        .size:           4
        .value_kind:     by_value
    .group_segment_fixed_size: 32
    .kernarg_segment_align: 8
    .kernarg_segment_size: 68
    .language:       OpenCL C
    .language_version:
      - 2
      - 0
    .max_flat_workgroup_size: 1024
    .name:           _ZN5aiter43moe_smooth_per_token_scaled_quant_kernel_v1IDF16_DB8_Li256ELi8ELb0ELb0ELi1024EEEvPT0_PfPT_S4_PiS7_iiiii
    .private_segment_fixed_size: 0
    .sgpr_count:     25
    .sgpr_spill_count: 0
    .symbol:         _ZN5aiter43moe_smooth_per_token_scaled_quant_kernel_v1IDF16_DB8_Li256ELi8ELb0ELb0ELi1024EEEvPT0_PfPT_S4_PiS7_iiiii.kd
    .uniform_work_group_size: 1
    .uses_dynamic_stack: false
    .vgpr_count:     28
    .vgpr_spill_count: 0
    .wavefront_size: 32
    .workgroup_processor_mode: 1
  - .args:
      - .actual_access:  write_only
        .address_space:  global
        .offset:         0
        .size:           8
        .value_kind:     global_buffer
      - .actual_access:  write_only
        .address_space:  global
        .offset:         8
        .size:           8
        .value_kind:     global_buffer
      - .actual_access:  read_only
        .address_space:  global
        .offset:         16
        .size:           8
        .value_kind:     global_buffer
      - .actual_access:  read_only
        .address_space:  global
        .offset:         24
        .size:           8
        .value_kind:     global_buffer
      - .actual_access:  read_only
        .address_space:  global
        .offset:         32
        .size:           8
        .value_kind:     global_buffer
      - .actual_access:  read_only
        .address_space:  global
        .offset:         40
        .size:           8
        .value_kind:     global_buffer
      - .offset:         48
        .size:           4
        .value_kind:     by_value
      - .offset:         52
        .size:           4
        .value_kind:     by_value
      - .offset:         56
        .size:           4
        .value_kind:     by_value
      - .offset:         60
        .size:           4
        .value_kind:     by_value
      - .offset:         64
        .size:           4
        .value_kind:     by_value
    .group_segment_fixed_size: 32
    .kernarg_segment_align: 8
    .kernarg_segment_size: 68
    .language:       OpenCL C
    .language_version:
      - 2
      - 0
    .max_flat_workgroup_size: 1024
    .name:           _ZN5aiter43moe_smooth_per_token_scaled_quant_kernel_v1ItDB8_Li256ELi8ELb0ELb0ELi1024EEEvPT0_PfPT_S4_PiS7_iiiii
    .private_segment_fixed_size: 0
    .sgpr_count:     25
    .sgpr_spill_count: 0
    .symbol:         _ZN5aiter43moe_smooth_per_token_scaled_quant_kernel_v1ItDB8_Li256ELi8ELb0ELb0ELi1024EEEvPT0_PfPT_S4_PiS7_iiiii.kd
    .uniform_work_group_size: 1
    .uses_dynamic_stack: false
    .vgpr_count:     28
    .vgpr_spill_count: 0
    .wavefront_size: 32
    .workgroup_processor_mode: 1
  - .args:
      - .actual_access:  write_only
        .address_space:  global
        .offset:         0
        .size:           8
        .value_kind:     global_buffer
      - .actual_access:  write_only
        .address_space:  global
        .offset:         8
        .size:           8
        .value_kind:     global_buffer
      - .actual_access:  read_only
        .address_space:  global
        .offset:         16
        .size:           8
        .value_kind:     global_buffer
      - .actual_access:  read_only
        .address_space:  global
        .offset:         24
        .size:           8
        .value_kind:     global_buffer
      - .actual_access:  read_only
        .address_space:  global
        .offset:         32
        .size:           8
        .value_kind:     global_buffer
      - .actual_access:  read_only
        .address_space:  global
        .offset:         40
        .size:           8
        .value_kind:     global_buffer
      - .offset:         48
        .size:           4
        .value_kind:     by_value
      - .offset:         52
        .size:           4
        .value_kind:     by_value
      - .offset:         56
        .size:           4
        .value_kind:     by_value
      - .offset:         60
        .size:           4
        .value_kind:     by_value
      - .offset:         64
        .size:           4
        .value_kind:     by_value
    .group_segment_fixed_size: 4128
    .kernarg_segment_align: 8
    .kernarg_segment_size: 68
    .language:       OpenCL C
    .language_version:
      - 2
      - 0
    .max_flat_workgroup_size: 1024
    .name:           _ZN5aiter43moe_smooth_per_token_scaled_quant_kernel_v1IDF16_DB8_Li256ELi16ELb1ELb1ELi1024EEEvPT0_PfPT_S4_PiS7_iiiii
    .private_segment_fixed_size: 0
    .sgpr_count:     26
    .sgpr_spill_count: 0
    .symbol:         _ZN5aiter43moe_smooth_per_token_scaled_quant_kernel_v1IDF16_DB8_Li256ELi16ELb1ELb1ELi1024EEEvPT0_PfPT_S4_PiS7_iiiii.kd
    .uniform_work_group_size: 1
    .uses_dynamic_stack: false
    .vgpr_count:     48
    .vgpr_spill_count: 0
    .wavefront_size: 32
    .workgroup_processor_mode: 1
  - .args:
      - .actual_access:  write_only
        .address_space:  global
        .offset:         0
        .size:           8
        .value_kind:     global_buffer
      - .actual_access:  write_only
        .address_space:  global
        .offset:         8
        .size:           8
        .value_kind:     global_buffer
      - .actual_access:  read_only
        .address_space:  global
        .offset:         16
        .size:           8
        .value_kind:     global_buffer
      - .actual_access:  read_only
        .address_space:  global
        .offset:         24
        .size:           8
        .value_kind:     global_buffer
      - .actual_access:  read_only
        .address_space:  global
        .offset:         32
        .size:           8
        .value_kind:     global_buffer
      - .actual_access:  read_only
        .address_space:  global
        .offset:         40
        .size:           8
        .value_kind:     global_buffer
      - .offset:         48
        .size:           4
        .value_kind:     by_value
      - .offset:         52
        .size:           4
        .value_kind:     by_value
      - .offset:         56
        .size:           4
        .value_kind:     by_value
      - .offset:         60
        .size:           4
        .value_kind:     by_value
      - .offset:         64
        .size:           4
        .value_kind:     by_value
    .group_segment_fixed_size: 4128
    .kernarg_segment_align: 8
    .kernarg_segment_size: 68
    .language:       OpenCL C
    .language_version:
      - 2
      - 0
    .max_flat_workgroup_size: 1024
    .name:           _ZN5aiter43moe_smooth_per_token_scaled_quant_kernel_v1ItDB8_Li256ELi16ELb1ELb1ELi1024EEEvPT0_PfPT_S4_PiS7_iiiii
    .private_segment_fixed_size: 0
    .sgpr_count:     26
    .sgpr_spill_count: 0
    .symbol:         _ZN5aiter43moe_smooth_per_token_scaled_quant_kernel_v1ItDB8_Li256ELi16ELb1ELb1ELi1024EEEvPT0_PfPT_S4_PiS7_iiiii.kd
    .uniform_work_group_size: 1
    .uses_dynamic_stack: false
    .vgpr_count:     48
    .vgpr_spill_count: 0
    .wavefront_size: 32
    .workgroup_processor_mode: 1
  - .args:
      - .actual_access:  write_only
        .address_space:  global
        .offset:         0
        .size:           8
        .value_kind:     global_buffer
      - .actual_access:  write_only
        .address_space:  global
        .offset:         8
        .size:           8
        .value_kind:     global_buffer
      - .actual_access:  read_only
        .address_space:  global
        .offset:         16
        .size:           8
        .value_kind:     global_buffer
      - .actual_access:  read_only
        .address_space:  global
        .offset:         24
        .size:           8
        .value_kind:     global_buffer
      - .actual_access:  read_only
        .address_space:  global
        .offset:         32
        .size:           8
        .value_kind:     global_buffer
      - .actual_access:  read_only
        .address_space:  global
        .offset:         40
        .size:           8
        .value_kind:     global_buffer
      - .offset:         48
        .size:           4
        .value_kind:     by_value
      - .offset:         52
        .size:           4
        .value_kind:     by_value
      - .offset:         56
        .size:           4
        .value_kind:     by_value
      - .offset:         60
        .size:           4
        .value_kind:     by_value
      - .offset:         64
        .size:           4
        .value_kind:     by_value
    .group_segment_fixed_size: 32
    .kernarg_segment_align: 8
    .kernarg_segment_size: 68
    .language:       OpenCL C
    .language_version:
      - 2
      - 0
    .max_flat_workgroup_size: 1024
    .name:           _ZN5aiter43moe_smooth_per_token_scaled_quant_kernel_v1IDF16_DB8_Li256ELi16ELb1ELb0ELi1024EEEvPT0_PfPT_S4_PiS7_iiiii
    .private_segment_fixed_size: 0
    .sgpr_count:     26
    .sgpr_spill_count: 0
    .symbol:         _ZN5aiter43moe_smooth_per_token_scaled_quant_kernel_v1IDF16_DB8_Li256ELi16ELb1ELb0ELi1024EEEvPT0_PfPT_S4_PiS7_iiiii.kd
    .uniform_work_group_size: 1
    .uses_dynamic_stack: false
    .vgpr_count:     48
    .vgpr_spill_count: 0
    .wavefront_size: 32
    .workgroup_processor_mode: 1
  - .args:
      - .actual_access:  write_only
        .address_space:  global
        .offset:         0
        .size:           8
        .value_kind:     global_buffer
      - .actual_access:  write_only
        .address_space:  global
        .offset:         8
        .size:           8
        .value_kind:     global_buffer
      - .actual_access:  read_only
        .address_space:  global
        .offset:         16
        .size:           8
        .value_kind:     global_buffer
      - .actual_access:  read_only
        .address_space:  global
        .offset:         24
        .size:           8
        .value_kind:     global_buffer
      - .actual_access:  read_only
        .address_space:  global
        .offset:         32
        .size:           8
        .value_kind:     global_buffer
      - .actual_access:  read_only
        .address_space:  global
        .offset:         40
        .size:           8
        .value_kind:     global_buffer
      - .offset:         48
        .size:           4
        .value_kind:     by_value
      - .offset:         52
        .size:           4
        .value_kind:     by_value
      - .offset:         56
        .size:           4
        .value_kind:     by_value
      - .offset:         60
        .size:           4
        .value_kind:     by_value
      - .offset:         64
        .size:           4
        .value_kind:     by_value
    .group_segment_fixed_size: 32
    .kernarg_segment_align: 8
    .kernarg_segment_size: 68
    .language:       OpenCL C
    .language_version:
      - 2
      - 0
    .max_flat_workgroup_size: 1024
    .name:           _ZN5aiter43moe_smooth_per_token_scaled_quant_kernel_v1ItDB8_Li256ELi16ELb1ELb0ELi1024EEEvPT0_PfPT_S4_PiS7_iiiii
    .private_segment_fixed_size: 0
    .sgpr_count:     26
    .sgpr_spill_count: 0
    .symbol:         _ZN5aiter43moe_smooth_per_token_scaled_quant_kernel_v1ItDB8_Li256ELi16ELb1ELb0ELi1024EEEvPT0_PfPT_S4_PiS7_iiiii.kd
    .uniform_work_group_size: 1
    .uses_dynamic_stack: false
    .vgpr_count:     48
    .vgpr_spill_count: 0
    .wavefront_size: 32
    .workgroup_processor_mode: 1
  - .args:
      - .actual_access:  write_only
        .address_space:  global
        .offset:         0
        .size:           8
        .value_kind:     global_buffer
      - .actual_access:  write_only
        .address_space:  global
        .offset:         8
        .size:           8
        .value_kind:     global_buffer
      - .actual_access:  read_only
        .address_space:  global
        .offset:         16
        .size:           8
        .value_kind:     global_buffer
      - .actual_access:  read_only
        .address_space:  global
        .offset:         24
        .size:           8
        .value_kind:     global_buffer
      - .actual_access:  read_only
        .address_space:  global
        .offset:         32
        .size:           8
        .value_kind:     global_buffer
      - .actual_access:  read_only
        .address_space:  global
        .offset:         40
        .size:           8
        .value_kind:     global_buffer
      - .offset:         48
        .size:           4
        .value_kind:     by_value
      - .offset:         52
        .size:           4
        .value_kind:     by_value
      - .offset:         56
        .size:           4
        .value_kind:     by_value
      - .offset:         60
        .size:           4
        .value_kind:     by_value
      - .offset:         64
        .size:           4
        .value_kind:     by_value
    .group_segment_fixed_size: 4128
    .kernarg_segment_align: 8
    .kernarg_segment_size: 68
    .language:       OpenCL C
    .language_version:
      - 2
      - 0
    .max_flat_workgroup_size: 1024
    .name:           _ZN5aiter43moe_smooth_per_token_scaled_quant_kernel_v1IDF16_DB8_Li256ELi16ELb0ELb1ELi1024EEEvPT0_PfPT_S4_PiS7_iiiii
    .private_segment_fixed_size: 0
    .sgpr_count:     25
    .sgpr_spill_count: 0
    .symbol:         _ZN5aiter43moe_smooth_per_token_scaled_quant_kernel_v1IDF16_DB8_Li256ELi16ELb0ELb1ELi1024EEEvPT0_PfPT_S4_PiS7_iiiii.kd
    .uniform_work_group_size: 1
    .uses_dynamic_stack: false
    .vgpr_count:     48
    .vgpr_spill_count: 0
    .wavefront_size: 32
    .workgroup_processor_mode: 1
  - .args:
      - .actual_access:  write_only
        .address_space:  global
        .offset:         0
        .size:           8
        .value_kind:     global_buffer
      - .actual_access:  write_only
        .address_space:  global
        .offset:         8
        .size:           8
        .value_kind:     global_buffer
      - .actual_access:  read_only
        .address_space:  global
        .offset:         16
        .size:           8
        .value_kind:     global_buffer
      - .actual_access:  read_only
        .address_space:  global
        .offset:         24
        .size:           8
        .value_kind:     global_buffer
      - .actual_access:  read_only
        .address_space:  global
        .offset:         32
        .size:           8
        .value_kind:     global_buffer
      - .actual_access:  read_only
        .address_space:  global
        .offset:         40
        .size:           8
        .value_kind:     global_buffer
      - .offset:         48
        .size:           4
        .value_kind:     by_value
      - .offset:         52
        .size:           4
        .value_kind:     by_value
      - .offset:         56
        .size:           4
        .value_kind:     by_value
      - .offset:         60
        .size:           4
        .value_kind:     by_value
      - .offset:         64
        .size:           4
        .value_kind:     by_value
    .group_segment_fixed_size: 4128
    .kernarg_segment_align: 8
    .kernarg_segment_size: 68
    .language:       OpenCL C
    .language_version:
      - 2
      - 0
    .max_flat_workgroup_size: 1024
    .name:           _ZN5aiter43moe_smooth_per_token_scaled_quant_kernel_v1ItDB8_Li256ELi16ELb0ELb1ELi1024EEEvPT0_PfPT_S4_PiS7_iiiii
    .private_segment_fixed_size: 0
    .sgpr_count:     25
    .sgpr_spill_count: 0
    .symbol:         _ZN5aiter43moe_smooth_per_token_scaled_quant_kernel_v1ItDB8_Li256ELi16ELb0ELb1ELi1024EEEvPT0_PfPT_S4_PiS7_iiiii.kd
    .uniform_work_group_size: 1
    .uses_dynamic_stack: false
    .vgpr_count:     48
    .vgpr_spill_count: 0
    .wavefront_size: 32
    .workgroup_processor_mode: 1
  - .args:
      - .actual_access:  write_only
        .address_space:  global
        .offset:         0
        .size:           8
        .value_kind:     global_buffer
      - .actual_access:  write_only
        .address_space:  global
        .offset:         8
        .size:           8
        .value_kind:     global_buffer
      - .actual_access:  read_only
        .address_space:  global
        .offset:         16
        .size:           8
        .value_kind:     global_buffer
      - .actual_access:  read_only
        .address_space:  global
        .offset:         24
        .size:           8
        .value_kind:     global_buffer
      - .actual_access:  read_only
        .address_space:  global
        .offset:         32
        .size:           8
        .value_kind:     global_buffer
      - .actual_access:  read_only
        .address_space:  global
        .offset:         40
        .size:           8
        .value_kind:     global_buffer
      - .offset:         48
        .size:           4
        .value_kind:     by_value
      - .offset:         52
        .size:           4
        .value_kind:     by_value
      - .offset:         56
        .size:           4
        .value_kind:     by_value
      - .offset:         60
        .size:           4
        .value_kind:     by_value
      - .offset:         64
        .size:           4
        .value_kind:     by_value
    .group_segment_fixed_size: 32
    .kernarg_segment_align: 8
    .kernarg_segment_size: 68
    .language:       OpenCL C
    .language_version:
      - 2
      - 0
    .max_flat_workgroup_size: 1024
    .name:           _ZN5aiter43moe_smooth_per_token_scaled_quant_kernel_v1IDF16_DB8_Li256ELi16ELb0ELb0ELi1024EEEvPT0_PfPT_S4_PiS7_iiiii
    .private_segment_fixed_size: 0
    .sgpr_count:     25
    .sgpr_spill_count: 0
    .symbol:         _ZN5aiter43moe_smooth_per_token_scaled_quant_kernel_v1IDF16_DB8_Li256ELi16ELb0ELb0ELi1024EEEvPT0_PfPT_S4_PiS7_iiiii.kd
    .uniform_work_group_size: 1
    .uses_dynamic_stack: false
    .vgpr_count:     48
    .vgpr_spill_count: 0
    .wavefront_size: 32
    .workgroup_processor_mode: 1
  - .args:
      - .actual_access:  write_only
        .address_space:  global
        .offset:         0
        .size:           8
        .value_kind:     global_buffer
      - .actual_access:  write_only
        .address_space:  global
        .offset:         8
        .size:           8
        .value_kind:     global_buffer
      - .actual_access:  read_only
        .address_space:  global
        .offset:         16
        .size:           8
        .value_kind:     global_buffer
      - .actual_access:  read_only
        .address_space:  global
        .offset:         24
        .size:           8
        .value_kind:     global_buffer
      - .actual_access:  read_only
        .address_space:  global
        .offset:         32
        .size:           8
        .value_kind:     global_buffer
      - .actual_access:  read_only
        .address_space:  global
        .offset:         40
        .size:           8
        .value_kind:     global_buffer
      - .offset:         48
        .size:           4
        .value_kind:     by_value
      - .offset:         52
        .size:           4
        .value_kind:     by_value
      - .offset:         56
        .size:           4
        .value_kind:     by_value
      - .offset:         60
        .size:           4
        .value_kind:     by_value
      - .offset:         64
        .size:           4
        .value_kind:     by_value
    .group_segment_fixed_size: 32
    .kernarg_segment_align: 8
    .kernarg_segment_size: 68
    .language:       OpenCL C
    .language_version:
      - 2
      - 0
    .max_flat_workgroup_size: 1024
    .name:           _ZN5aiter43moe_smooth_per_token_scaled_quant_kernel_v1ItDB8_Li256ELi16ELb0ELb0ELi1024EEEvPT0_PfPT_S4_PiS7_iiiii
    .private_segment_fixed_size: 0
    .sgpr_count:     25
    .sgpr_spill_count: 0
    .symbol:         _ZN5aiter43moe_smooth_per_token_scaled_quant_kernel_v1ItDB8_Li256ELi16ELb0ELb0ELi1024EEEvPT0_PfPT_S4_PiS7_iiiii.kd
    .uniform_work_group_size: 1
    .uses_dynamic_stack: false
    .vgpr_count:     48
    .vgpr_spill_count: 0
    .wavefront_size: 32
    .workgroup_processor_mode: 1
  - .args:
      - .actual_access:  write_only
        .address_space:  global
        .offset:         0
        .size:           8
        .value_kind:     global_buffer
      - .actual_access:  write_only
        .address_space:  global
        .offset:         8
        .size:           8
        .value_kind:     global_buffer
      - .actual_access:  read_only
        .address_space:  global
        .offset:         16
        .size:           8
        .value_kind:     global_buffer
      - .actual_access:  read_only
        .address_space:  global
        .offset:         24
        .size:           8
        .value_kind:     global_buffer
      - .actual_access:  read_only
        .address_space:  global
        .offset:         32
        .size:           8
        .value_kind:     global_buffer
      - .actual_access:  read_only
        .address_space:  global
        .offset:         40
        .size:           8
        .value_kind:     global_buffer
      - .offset:         48
        .size:           4
        .value_kind:     by_value
      - .offset:         52
        .size:           4
        .value_kind:     by_value
      - .offset:         56
        .size:           4
        .value_kind:     by_value
      - .offset:         60
        .size:           4
        .value_kind:     by_value
      - .offset:         64
        .size:           4
        .value_kind:     by_value
    .group_segment_fixed_size: 4160
    .kernarg_segment_align: 8
    .kernarg_segment_size: 68
    .language:       OpenCL C
    .language_version:
      - 2
      - 0
    .max_flat_workgroup_size: 1024
    .name:           _ZN5aiter43moe_smooth_per_token_scaled_quant_kernel_v1IDF16_DB8_Li512ELi16ELb1ELb1ELi1024EEEvPT0_PfPT_S4_PiS7_iiiii
    .private_segment_fixed_size: 0
    .sgpr_count:     26
    .sgpr_spill_count: 0
    .symbol:         _ZN5aiter43moe_smooth_per_token_scaled_quant_kernel_v1IDF16_DB8_Li512ELi16ELb1ELb1ELi1024EEEvPT0_PfPT_S4_PiS7_iiiii.kd
    .uniform_work_group_size: 1
    .uses_dynamic_stack: false
    .vgpr_count:     48
    .vgpr_spill_count: 0
    .wavefront_size: 32
    .workgroup_processor_mode: 1
  - .args:
      - .actual_access:  write_only
        .address_space:  global
        .offset:         0
        .size:           8
        .value_kind:     global_buffer
      - .actual_access:  write_only
        .address_space:  global
        .offset:         8
        .size:           8
        .value_kind:     global_buffer
      - .actual_access:  read_only
        .address_space:  global
        .offset:         16
        .size:           8
        .value_kind:     global_buffer
      - .actual_access:  read_only
        .address_space:  global
        .offset:         24
        .size:           8
        .value_kind:     global_buffer
      - .actual_access:  read_only
        .address_space:  global
        .offset:         32
        .size:           8
        .value_kind:     global_buffer
      - .actual_access:  read_only
        .address_space:  global
        .offset:         40
        .size:           8
        .value_kind:     global_buffer
      - .offset:         48
        .size:           4
        .value_kind:     by_value
      - .offset:         52
        .size:           4
        .value_kind:     by_value
      - .offset:         56
        .size:           4
        .value_kind:     by_value
      - .offset:         60
        .size:           4
        .value_kind:     by_value
      - .offset:         64
        .size:           4
        .value_kind:     by_value
    .group_segment_fixed_size: 4160
    .kernarg_segment_align: 8
    .kernarg_segment_size: 68
    .language:       OpenCL C
    .language_version:
      - 2
      - 0
    .max_flat_workgroup_size: 1024
    .name:           _ZN5aiter43moe_smooth_per_token_scaled_quant_kernel_v1ItDB8_Li512ELi16ELb1ELb1ELi1024EEEvPT0_PfPT_S4_PiS7_iiiii
    .private_segment_fixed_size: 0
    .sgpr_count:     26
    .sgpr_spill_count: 0
    .symbol:         _ZN5aiter43moe_smooth_per_token_scaled_quant_kernel_v1ItDB8_Li512ELi16ELb1ELb1ELi1024EEEvPT0_PfPT_S4_PiS7_iiiii.kd
    .uniform_work_group_size: 1
    .uses_dynamic_stack: false
    .vgpr_count:     48
    .vgpr_spill_count: 0
    .wavefront_size: 32
    .workgroup_processor_mode: 1
  - .args:
      - .actual_access:  write_only
        .address_space:  global
        .offset:         0
        .size:           8
        .value_kind:     global_buffer
      - .actual_access:  write_only
        .address_space:  global
        .offset:         8
        .size:           8
        .value_kind:     global_buffer
      - .actual_access:  read_only
        .address_space:  global
        .offset:         16
        .size:           8
        .value_kind:     global_buffer
      - .actual_access:  read_only
        .address_space:  global
        .offset:         24
        .size:           8
        .value_kind:     global_buffer
      - .actual_access:  read_only
        .address_space:  global
        .offset:         32
        .size:           8
        .value_kind:     global_buffer
      - .actual_access:  read_only
        .address_space:  global
        .offset:         40
        .size:           8
        .value_kind:     global_buffer
      - .offset:         48
        .size:           4
        .value_kind:     by_value
      - .offset:         52
        .size:           4
        .value_kind:     by_value
      - .offset:         56
        .size:           4
        .value_kind:     by_value
      - .offset:         60
        .size:           4
        .value_kind:     by_value
      - .offset:         64
        .size:           4
        .value_kind:     by_value
    .group_segment_fixed_size: 64
    .kernarg_segment_align: 8
    .kernarg_segment_size: 68
    .language:       OpenCL C
    .language_version:
      - 2
      - 0
    .max_flat_workgroup_size: 1024
    .name:           _ZN5aiter43moe_smooth_per_token_scaled_quant_kernel_v1IDF16_DB8_Li512ELi16ELb1ELb0ELi1024EEEvPT0_PfPT_S4_PiS7_iiiii
    .private_segment_fixed_size: 0
    .sgpr_count:     26
    .sgpr_spill_count: 0
    .symbol:         _ZN5aiter43moe_smooth_per_token_scaled_quant_kernel_v1IDF16_DB8_Li512ELi16ELb1ELb0ELi1024EEEvPT0_PfPT_S4_PiS7_iiiii.kd
    .uniform_work_group_size: 1
    .uses_dynamic_stack: false
    .vgpr_count:     48
    .vgpr_spill_count: 0
    .wavefront_size: 32
    .workgroup_processor_mode: 1
  - .args:
      - .actual_access:  write_only
        .address_space:  global
        .offset:         0
        .size:           8
        .value_kind:     global_buffer
      - .actual_access:  write_only
        .address_space:  global
        .offset:         8
        .size:           8
        .value_kind:     global_buffer
      - .actual_access:  read_only
        .address_space:  global
        .offset:         16
        .size:           8
        .value_kind:     global_buffer
      - .actual_access:  read_only
        .address_space:  global
        .offset:         24
        .size:           8
        .value_kind:     global_buffer
      - .actual_access:  read_only
        .address_space:  global
        .offset:         32
        .size:           8
        .value_kind:     global_buffer
      - .actual_access:  read_only
        .address_space:  global
        .offset:         40
        .size:           8
        .value_kind:     global_buffer
      - .offset:         48
        .size:           4
        .value_kind:     by_value
      - .offset:         52
        .size:           4
        .value_kind:     by_value
      - .offset:         56
        .size:           4
        .value_kind:     by_value
      - .offset:         60
        .size:           4
        .value_kind:     by_value
      - .offset:         64
        .size:           4
        .value_kind:     by_value
    .group_segment_fixed_size: 64
    .kernarg_segment_align: 8
    .kernarg_segment_size: 68
    .language:       OpenCL C
    .language_version:
      - 2
      - 0
    .max_flat_workgroup_size: 1024
    .name:           _ZN5aiter43moe_smooth_per_token_scaled_quant_kernel_v1ItDB8_Li512ELi16ELb1ELb0ELi1024EEEvPT0_PfPT_S4_PiS7_iiiii
    .private_segment_fixed_size: 0
    .sgpr_count:     26
    .sgpr_spill_count: 0
    .symbol:         _ZN5aiter43moe_smooth_per_token_scaled_quant_kernel_v1ItDB8_Li512ELi16ELb1ELb0ELi1024EEEvPT0_PfPT_S4_PiS7_iiiii.kd
    .uniform_work_group_size: 1
    .uses_dynamic_stack: false
    .vgpr_count:     48
    .vgpr_spill_count: 0
    .wavefront_size: 32
    .workgroup_processor_mode: 1
  - .args:
      - .actual_access:  write_only
        .address_space:  global
        .offset:         0
        .size:           8
        .value_kind:     global_buffer
      - .actual_access:  write_only
        .address_space:  global
        .offset:         8
        .size:           8
        .value_kind:     global_buffer
      - .actual_access:  read_only
        .address_space:  global
        .offset:         16
        .size:           8
        .value_kind:     global_buffer
      - .actual_access:  read_only
        .address_space:  global
        .offset:         24
        .size:           8
        .value_kind:     global_buffer
      - .actual_access:  read_only
        .address_space:  global
        .offset:         32
        .size:           8
        .value_kind:     global_buffer
      - .actual_access:  read_only
        .address_space:  global
        .offset:         40
        .size:           8
        .value_kind:     global_buffer
      - .offset:         48
        .size:           4
        .value_kind:     by_value
      - .offset:         52
        .size:           4
        .value_kind:     by_value
      - .offset:         56
        .size:           4
        .value_kind:     by_value
      - .offset:         60
        .size:           4
        .value_kind:     by_value
      - .offset:         64
        .size:           4
        .value_kind:     by_value
    .group_segment_fixed_size: 4160
    .kernarg_segment_align: 8
    .kernarg_segment_size: 68
    .language:       OpenCL C
    .language_version:
      - 2
      - 0
    .max_flat_workgroup_size: 1024
    .name:           _ZN5aiter43moe_smooth_per_token_scaled_quant_kernel_v1IDF16_DB8_Li512ELi16ELb0ELb1ELi1024EEEvPT0_PfPT_S4_PiS7_iiiii
    .private_segment_fixed_size: 0
    .sgpr_count:     25
    .sgpr_spill_count: 0
    .symbol:         _ZN5aiter43moe_smooth_per_token_scaled_quant_kernel_v1IDF16_DB8_Li512ELi16ELb0ELb1ELi1024EEEvPT0_PfPT_S4_PiS7_iiiii.kd
    .uniform_work_group_size: 1
    .uses_dynamic_stack: false
    .vgpr_count:     48
    .vgpr_spill_count: 0
    .wavefront_size: 32
    .workgroup_processor_mode: 1
  - .args:
      - .actual_access:  write_only
        .address_space:  global
        .offset:         0
        .size:           8
        .value_kind:     global_buffer
      - .actual_access:  write_only
        .address_space:  global
        .offset:         8
        .size:           8
        .value_kind:     global_buffer
      - .actual_access:  read_only
        .address_space:  global
        .offset:         16
        .size:           8
        .value_kind:     global_buffer
      - .actual_access:  read_only
        .address_space:  global
        .offset:         24
        .size:           8
        .value_kind:     global_buffer
      - .actual_access:  read_only
        .address_space:  global
        .offset:         32
        .size:           8
        .value_kind:     global_buffer
      - .actual_access:  read_only
        .address_space:  global
        .offset:         40
        .size:           8
        .value_kind:     global_buffer
      - .offset:         48
        .size:           4
        .value_kind:     by_value
      - .offset:         52
        .size:           4
        .value_kind:     by_value
      - .offset:         56
        .size:           4
        .value_kind:     by_value
      - .offset:         60
        .size:           4
        .value_kind:     by_value
      - .offset:         64
        .size:           4
        .value_kind:     by_value
    .group_segment_fixed_size: 4160
    .kernarg_segment_align: 8
    .kernarg_segment_size: 68
    .language:       OpenCL C
    .language_version:
      - 2
      - 0
    .max_flat_workgroup_size: 1024
    .name:           _ZN5aiter43moe_smooth_per_token_scaled_quant_kernel_v1ItDB8_Li512ELi16ELb0ELb1ELi1024EEEvPT0_PfPT_S4_PiS7_iiiii
    .private_segment_fixed_size: 0
    .sgpr_count:     25
    .sgpr_spill_count: 0
    .symbol:         _ZN5aiter43moe_smooth_per_token_scaled_quant_kernel_v1ItDB8_Li512ELi16ELb0ELb1ELi1024EEEvPT0_PfPT_S4_PiS7_iiiii.kd
    .uniform_work_group_size: 1
    .uses_dynamic_stack: false
    .vgpr_count:     48
    .vgpr_spill_count: 0
    .wavefront_size: 32
    .workgroup_processor_mode: 1
  - .args:
      - .actual_access:  write_only
        .address_space:  global
        .offset:         0
        .size:           8
        .value_kind:     global_buffer
      - .actual_access:  write_only
        .address_space:  global
        .offset:         8
        .size:           8
        .value_kind:     global_buffer
      - .actual_access:  read_only
        .address_space:  global
        .offset:         16
        .size:           8
        .value_kind:     global_buffer
      - .actual_access:  read_only
        .address_space:  global
        .offset:         24
        .size:           8
        .value_kind:     global_buffer
      - .actual_access:  read_only
        .address_space:  global
        .offset:         32
        .size:           8
        .value_kind:     global_buffer
      - .actual_access:  read_only
        .address_space:  global
        .offset:         40
        .size:           8
        .value_kind:     global_buffer
      - .offset:         48
        .size:           4
        .value_kind:     by_value
      - .offset:         52
        .size:           4
        .value_kind:     by_value
      - .offset:         56
        .size:           4
        .value_kind:     by_value
      - .offset:         60
        .size:           4
        .value_kind:     by_value
      - .offset:         64
        .size:           4
        .value_kind:     by_value
    .group_segment_fixed_size: 64
    .kernarg_segment_align: 8
    .kernarg_segment_size: 68
    .language:       OpenCL C
    .language_version:
      - 2
      - 0
    .max_flat_workgroup_size: 1024
    .name:           _ZN5aiter43moe_smooth_per_token_scaled_quant_kernel_v1IDF16_DB8_Li512ELi16ELb0ELb0ELi1024EEEvPT0_PfPT_S4_PiS7_iiiii
    .private_segment_fixed_size: 0
    .sgpr_count:     25
    .sgpr_spill_count: 0
    .symbol:         _ZN5aiter43moe_smooth_per_token_scaled_quant_kernel_v1IDF16_DB8_Li512ELi16ELb0ELb0ELi1024EEEvPT0_PfPT_S4_PiS7_iiiii.kd
    .uniform_work_group_size: 1
    .uses_dynamic_stack: false
    .vgpr_count:     48
    .vgpr_spill_count: 0
    .wavefront_size: 32
    .workgroup_processor_mode: 1
  - .args:
      - .actual_access:  write_only
        .address_space:  global
        .offset:         0
        .size:           8
        .value_kind:     global_buffer
      - .actual_access:  write_only
        .address_space:  global
        .offset:         8
        .size:           8
        .value_kind:     global_buffer
      - .actual_access:  read_only
        .address_space:  global
        .offset:         16
        .size:           8
        .value_kind:     global_buffer
      - .actual_access:  read_only
        .address_space:  global
        .offset:         24
        .size:           8
        .value_kind:     global_buffer
      - .actual_access:  read_only
        .address_space:  global
        .offset:         32
        .size:           8
        .value_kind:     global_buffer
      - .actual_access:  read_only
        .address_space:  global
        .offset:         40
        .size:           8
        .value_kind:     global_buffer
      - .offset:         48
        .size:           4
        .value_kind:     by_value
      - .offset:         52
        .size:           4
        .value_kind:     by_value
      - .offset:         56
        .size:           4
        .value_kind:     by_value
      - .offset:         60
        .size:           4
        .value_kind:     by_value
      - .offset:         64
        .size:           4
        .value_kind:     by_value
    .group_segment_fixed_size: 64
    .kernarg_segment_align: 8
    .kernarg_segment_size: 68
    .language:       OpenCL C
    .language_version:
      - 2
      - 0
    .max_flat_workgroup_size: 1024
    .name:           _ZN5aiter43moe_smooth_per_token_scaled_quant_kernel_v1ItDB8_Li512ELi16ELb0ELb0ELi1024EEEvPT0_PfPT_S4_PiS7_iiiii
    .private_segment_fixed_size: 0
    .sgpr_count:     25
    .sgpr_spill_count: 0
    .symbol:         _ZN5aiter43moe_smooth_per_token_scaled_quant_kernel_v1ItDB8_Li512ELi16ELb0ELb0ELi1024EEEvPT0_PfPT_S4_PiS7_iiiii.kd
    .uniform_work_group_size: 1
    .uses_dynamic_stack: false
    .vgpr_count:     48
    .vgpr_spill_count: 0
    .wavefront_size: 32
    .workgroup_processor_mode: 1
  - .args:
      - .actual_access:  write_only
        .address_space:  global
        .offset:         0
        .size:           8
        .value_kind:     global_buffer
      - .actual_access:  write_only
        .address_space:  global
        .offset:         8
        .size:           8
        .value_kind:     global_buffer
      - .actual_access:  read_only
        .address_space:  global
        .offset:         16
        .size:           8
        .value_kind:     global_buffer
      - .actual_access:  read_only
        .address_space:  global
        .offset:         24
        .size:           8
        .value_kind:     global_buffer
      - .actual_access:  read_only
        .address_space:  global
        .offset:         32
        .size:           8
        .value_kind:     global_buffer
      - .actual_access:  read_only
        .address_space:  global
        .offset:         40
        .size:           8
        .value_kind:     global_buffer
      - .offset:         48
        .size:           4
        .value_kind:     by_value
      - .offset:         52
        .size:           4
        .value_kind:     by_value
      - .offset:         56
        .size:           4
        .value_kind:     by_value
      - .offset:         60
        .size:           4
        .value_kind:     by_value
      - .offset:         64
        .size:           4
        .value_kind:     by_value
    .group_segment_fixed_size: 4112
    .kernarg_segment_align: 8
    .kernarg_segment_size: 68
    .language:       OpenCL C
    .language_version:
      - 2
      - 0
    .max_flat_workgroup_size: 1024
    .name:           _ZN5aiter43moe_smooth_per_token_scaled_quant_kernel_v1IDF16_aLi128ELi8ELb1ELb1ELi1024EEEvPT0_PfPT_S3_PiS6_iiiii
    .private_segment_fixed_size: 0
    .sgpr_count:     26
    .sgpr_spill_count: 0
    .symbol:         _ZN5aiter43moe_smooth_per_token_scaled_quant_kernel_v1IDF16_aLi128ELi8ELb1ELb1ELi1024EEEvPT0_PfPT_S3_PiS6_iiiii.kd
    .uniform_work_group_size: 1
    .uses_dynamic_stack: false
    .vgpr_count:     26
    .vgpr_spill_count: 0
    .wavefront_size: 32
    .workgroup_processor_mode: 1
  - .args:
      - .actual_access:  write_only
        .address_space:  global
        .offset:         0
        .size:           8
        .value_kind:     global_buffer
      - .actual_access:  write_only
        .address_space:  global
        .offset:         8
        .size:           8
        .value_kind:     global_buffer
      - .actual_access:  read_only
        .address_space:  global
        .offset:         16
        .size:           8
        .value_kind:     global_buffer
      - .actual_access:  read_only
        .address_space:  global
        .offset:         24
        .size:           8
        .value_kind:     global_buffer
      - .actual_access:  read_only
        .address_space:  global
        .offset:         32
        .size:           8
        .value_kind:     global_buffer
      - .actual_access:  read_only
        .address_space:  global
        .offset:         40
        .size:           8
        .value_kind:     global_buffer
      - .offset:         48
        .size:           4
        .value_kind:     by_value
      - .offset:         52
        .size:           4
        .value_kind:     by_value
      - .offset:         56
        .size:           4
        .value_kind:     by_value
      - .offset:         60
        .size:           4
        .value_kind:     by_value
      - .offset:         64
        .size:           4
        .value_kind:     by_value
    .group_segment_fixed_size: 4112
    .kernarg_segment_align: 8
    .kernarg_segment_size: 68
    .language:       OpenCL C
    .language_version:
      - 2
      - 0
    .max_flat_workgroup_size: 1024
    .name:           _ZN5aiter43moe_smooth_per_token_scaled_quant_kernel_v1ItaLi128ELi8ELb1ELb1ELi1024EEEvPT0_PfPT_S3_PiS6_iiiii
    .private_segment_fixed_size: 0
    .sgpr_count:     26
    .sgpr_spill_count: 0
    .symbol:         _ZN5aiter43moe_smooth_per_token_scaled_quant_kernel_v1ItaLi128ELi8ELb1ELb1ELi1024EEEvPT0_PfPT_S3_PiS6_iiiii.kd
    .uniform_work_group_size: 1
    .uses_dynamic_stack: false
    .vgpr_count:     26
    .vgpr_spill_count: 0
    .wavefront_size: 32
    .workgroup_processor_mode: 1
  - .args:
      - .actual_access:  write_only
        .address_space:  global
        .offset:         0
        .size:           8
        .value_kind:     global_buffer
      - .actual_access:  write_only
        .address_space:  global
        .offset:         8
        .size:           8
        .value_kind:     global_buffer
      - .actual_access:  read_only
        .address_space:  global
        .offset:         16
        .size:           8
        .value_kind:     global_buffer
      - .actual_access:  read_only
        .address_space:  global
        .offset:         24
        .size:           8
        .value_kind:     global_buffer
      - .actual_access:  read_only
        .address_space:  global
        .offset:         32
        .size:           8
        .value_kind:     global_buffer
      - .actual_access:  read_only
        .address_space:  global
        .offset:         40
        .size:           8
        .value_kind:     global_buffer
      - .offset:         48
        .size:           4
        .value_kind:     by_value
      - .offset:         52
        .size:           4
        .value_kind:     by_value
      - .offset:         56
        .size:           4
        .value_kind:     by_value
      - .offset:         60
        .size:           4
        .value_kind:     by_value
      - .offset:         64
        .size:           4
        .value_kind:     by_value
    .group_segment_fixed_size: 16
    .kernarg_segment_align: 8
    .kernarg_segment_size: 68
    .language:       OpenCL C
    .language_version:
      - 2
      - 0
    .max_flat_workgroup_size: 1024
    .name:           _ZN5aiter43moe_smooth_per_token_scaled_quant_kernel_v1IDF16_aLi128ELi8ELb1ELb0ELi1024EEEvPT0_PfPT_S3_PiS6_iiiii
    .private_segment_fixed_size: 0
    .sgpr_count:     26
    .sgpr_spill_count: 0
    .symbol:         _ZN5aiter43moe_smooth_per_token_scaled_quant_kernel_v1IDF16_aLi128ELi8ELb1ELb0ELi1024EEEvPT0_PfPT_S3_PiS6_iiiii.kd
    .uniform_work_group_size: 1
    .uses_dynamic_stack: false
    .vgpr_count:     26
    .vgpr_spill_count: 0
    .wavefront_size: 32
    .workgroup_processor_mode: 1
  - .args:
      - .actual_access:  write_only
        .address_space:  global
        .offset:         0
        .size:           8
        .value_kind:     global_buffer
      - .actual_access:  write_only
        .address_space:  global
        .offset:         8
        .size:           8
        .value_kind:     global_buffer
      - .actual_access:  read_only
        .address_space:  global
        .offset:         16
        .size:           8
        .value_kind:     global_buffer
      - .actual_access:  read_only
        .address_space:  global
        .offset:         24
        .size:           8
        .value_kind:     global_buffer
      - .actual_access:  read_only
        .address_space:  global
        .offset:         32
        .size:           8
        .value_kind:     global_buffer
      - .actual_access:  read_only
        .address_space:  global
        .offset:         40
        .size:           8
        .value_kind:     global_buffer
      - .offset:         48
        .size:           4
        .value_kind:     by_value
      - .offset:         52
        .size:           4
        .value_kind:     by_value
      - .offset:         56
        .size:           4
        .value_kind:     by_value
      - .offset:         60
        .size:           4
        .value_kind:     by_value
      - .offset:         64
        .size:           4
        .value_kind:     by_value
    .group_segment_fixed_size: 16
    .kernarg_segment_align: 8
    .kernarg_segment_size: 68
    .language:       OpenCL C
    .language_version:
      - 2
      - 0
    .max_flat_workgroup_size: 1024
    .name:           _ZN5aiter43moe_smooth_per_token_scaled_quant_kernel_v1ItaLi128ELi8ELb1ELb0ELi1024EEEvPT0_PfPT_S3_PiS6_iiiii
    .private_segment_fixed_size: 0
    .sgpr_count:     26
    .sgpr_spill_count: 0
    .symbol:         _ZN5aiter43moe_smooth_per_token_scaled_quant_kernel_v1ItaLi128ELi8ELb1ELb0ELi1024EEEvPT0_PfPT_S3_PiS6_iiiii.kd
    .uniform_work_group_size: 1
    .uses_dynamic_stack: false
    .vgpr_count:     26
    .vgpr_spill_count: 0
    .wavefront_size: 32
    .workgroup_processor_mode: 1
  - .args:
      - .actual_access:  write_only
        .address_space:  global
        .offset:         0
        .size:           8
        .value_kind:     global_buffer
      - .actual_access:  write_only
        .address_space:  global
        .offset:         8
        .size:           8
        .value_kind:     global_buffer
      - .actual_access:  read_only
        .address_space:  global
        .offset:         16
        .size:           8
        .value_kind:     global_buffer
      - .actual_access:  read_only
        .address_space:  global
        .offset:         24
        .size:           8
        .value_kind:     global_buffer
      - .actual_access:  read_only
        .address_space:  global
        .offset:         32
        .size:           8
        .value_kind:     global_buffer
      - .actual_access:  read_only
        .address_space:  global
        .offset:         40
        .size:           8
        .value_kind:     global_buffer
      - .offset:         48
        .size:           4
        .value_kind:     by_value
      - .offset:         52
        .size:           4
        .value_kind:     by_value
      - .offset:         56
        .size:           4
        .value_kind:     by_value
      - .offset:         60
        .size:           4
        .value_kind:     by_value
      - .offset:         64
        .size:           4
        .value_kind:     by_value
    .group_segment_fixed_size: 4112
    .kernarg_segment_align: 8
    .kernarg_segment_size: 68
    .language:       OpenCL C
    .language_version:
      - 2
      - 0
    .max_flat_workgroup_size: 1024
    .name:           _ZN5aiter43moe_smooth_per_token_scaled_quant_kernel_v1IDF16_aLi128ELi8ELb0ELb1ELi1024EEEvPT0_PfPT_S3_PiS6_iiiii
    .private_segment_fixed_size: 0
    .sgpr_count:     25
    .sgpr_spill_count: 0
    .symbol:         _ZN5aiter43moe_smooth_per_token_scaled_quant_kernel_v1IDF16_aLi128ELi8ELb0ELb1ELi1024EEEvPT0_PfPT_S3_PiS6_iiiii.kd
    .uniform_work_group_size: 1
    .uses_dynamic_stack: false
    .vgpr_count:     26
    .vgpr_spill_count: 0
    .wavefront_size: 32
    .workgroup_processor_mode: 1
  - .args:
      - .actual_access:  write_only
        .address_space:  global
        .offset:         0
        .size:           8
        .value_kind:     global_buffer
      - .actual_access:  write_only
        .address_space:  global
        .offset:         8
        .size:           8
        .value_kind:     global_buffer
      - .actual_access:  read_only
        .address_space:  global
        .offset:         16
        .size:           8
        .value_kind:     global_buffer
      - .actual_access:  read_only
        .address_space:  global
        .offset:         24
        .size:           8
        .value_kind:     global_buffer
      - .actual_access:  read_only
        .address_space:  global
        .offset:         32
        .size:           8
        .value_kind:     global_buffer
      - .actual_access:  read_only
        .address_space:  global
        .offset:         40
        .size:           8
        .value_kind:     global_buffer
      - .offset:         48
        .size:           4
        .value_kind:     by_value
      - .offset:         52
        .size:           4
        .value_kind:     by_value
      - .offset:         56
        .size:           4
        .value_kind:     by_value
      - .offset:         60
        .size:           4
        .value_kind:     by_value
      - .offset:         64
        .size:           4
        .value_kind:     by_value
    .group_segment_fixed_size: 4112
    .kernarg_segment_align: 8
    .kernarg_segment_size: 68
    .language:       OpenCL C
    .language_version:
      - 2
      - 0
    .max_flat_workgroup_size: 1024
    .name:           _ZN5aiter43moe_smooth_per_token_scaled_quant_kernel_v1ItaLi128ELi8ELb0ELb1ELi1024EEEvPT0_PfPT_S3_PiS6_iiiii
    .private_segment_fixed_size: 0
    .sgpr_count:     25
    .sgpr_spill_count: 0
    .symbol:         _ZN5aiter43moe_smooth_per_token_scaled_quant_kernel_v1ItaLi128ELi8ELb0ELb1ELi1024EEEvPT0_PfPT_S3_PiS6_iiiii.kd
    .uniform_work_group_size: 1
    .uses_dynamic_stack: false
    .vgpr_count:     26
    .vgpr_spill_count: 0
    .wavefront_size: 32
    .workgroup_processor_mode: 1
  - .args:
      - .actual_access:  write_only
        .address_space:  global
        .offset:         0
        .size:           8
        .value_kind:     global_buffer
      - .actual_access:  write_only
        .address_space:  global
        .offset:         8
        .size:           8
        .value_kind:     global_buffer
      - .actual_access:  read_only
        .address_space:  global
        .offset:         16
        .size:           8
        .value_kind:     global_buffer
      - .actual_access:  read_only
        .address_space:  global
        .offset:         24
        .size:           8
        .value_kind:     global_buffer
      - .actual_access:  read_only
        .address_space:  global
        .offset:         32
        .size:           8
        .value_kind:     global_buffer
      - .actual_access:  read_only
        .address_space:  global
        .offset:         40
        .size:           8
        .value_kind:     global_buffer
      - .offset:         48
        .size:           4
        .value_kind:     by_value
      - .offset:         52
        .size:           4
        .value_kind:     by_value
      - .offset:         56
        .size:           4
        .value_kind:     by_value
      - .offset:         60
        .size:           4
        .value_kind:     by_value
      - .offset:         64
        .size:           4
        .value_kind:     by_value
    .group_segment_fixed_size: 16
    .kernarg_segment_align: 8
    .kernarg_segment_size: 68
    .language:       OpenCL C
    .language_version:
      - 2
      - 0
    .max_flat_workgroup_size: 1024
    .name:           _ZN5aiter43moe_smooth_per_token_scaled_quant_kernel_v1IDF16_aLi128ELi8ELb0ELb0ELi1024EEEvPT0_PfPT_S3_PiS6_iiiii
    .private_segment_fixed_size: 0
    .sgpr_count:     25
    .sgpr_spill_count: 0
    .symbol:         _ZN5aiter43moe_smooth_per_token_scaled_quant_kernel_v1IDF16_aLi128ELi8ELb0ELb0ELi1024EEEvPT0_PfPT_S3_PiS6_iiiii.kd
    .uniform_work_group_size: 1
    .uses_dynamic_stack: false
    .vgpr_count:     26
    .vgpr_spill_count: 0
    .wavefront_size: 32
    .workgroup_processor_mode: 1
  - .args:
      - .actual_access:  write_only
        .address_space:  global
        .offset:         0
        .size:           8
        .value_kind:     global_buffer
      - .actual_access:  write_only
        .address_space:  global
        .offset:         8
        .size:           8
        .value_kind:     global_buffer
      - .actual_access:  read_only
        .address_space:  global
        .offset:         16
        .size:           8
        .value_kind:     global_buffer
      - .actual_access:  read_only
        .address_space:  global
        .offset:         24
        .size:           8
        .value_kind:     global_buffer
      - .actual_access:  read_only
        .address_space:  global
        .offset:         32
        .size:           8
        .value_kind:     global_buffer
      - .actual_access:  read_only
        .address_space:  global
        .offset:         40
        .size:           8
        .value_kind:     global_buffer
      - .offset:         48
        .size:           4
        .value_kind:     by_value
      - .offset:         52
        .size:           4
        .value_kind:     by_value
      - .offset:         56
        .size:           4
        .value_kind:     by_value
      - .offset:         60
        .size:           4
        .value_kind:     by_value
      - .offset:         64
        .size:           4
        .value_kind:     by_value
    .group_segment_fixed_size: 16
    .kernarg_segment_align: 8
    .kernarg_segment_size: 68
    .language:       OpenCL C
    .language_version:
      - 2
      - 0
    .max_flat_workgroup_size: 1024
    .name:           _ZN5aiter43moe_smooth_per_token_scaled_quant_kernel_v1ItaLi128ELi8ELb0ELb0ELi1024EEEvPT0_PfPT_S3_PiS6_iiiii
    .private_segment_fixed_size: 0
    .sgpr_count:     25
    .sgpr_spill_count: 0
    .symbol:         _ZN5aiter43moe_smooth_per_token_scaled_quant_kernel_v1ItaLi128ELi8ELb0ELb0ELi1024EEEvPT0_PfPT_S3_PiS6_iiiii.kd
    .uniform_work_group_size: 1
    .uses_dynamic_stack: false
    .vgpr_count:     26
    .vgpr_spill_count: 0
    .wavefront_size: 32
    .workgroup_processor_mode: 1
  - .args:
      - .actual_access:  write_only
        .address_space:  global
        .offset:         0
        .size:           8
        .value_kind:     global_buffer
      - .actual_access:  write_only
        .address_space:  global
        .offset:         8
        .size:           8
        .value_kind:     global_buffer
      - .actual_access:  read_only
        .address_space:  global
        .offset:         16
        .size:           8
        .value_kind:     global_buffer
      - .actual_access:  read_only
        .address_space:  global
        .offset:         24
        .size:           8
        .value_kind:     global_buffer
      - .actual_access:  read_only
        .address_space:  global
        .offset:         32
        .size:           8
        .value_kind:     global_buffer
      - .actual_access:  read_only
        .address_space:  global
        .offset:         40
        .size:           8
        .value_kind:     global_buffer
      - .offset:         48
        .size:           4
        .value_kind:     by_value
      - .offset:         52
        .size:           4
        .value_kind:     by_value
      - .offset:         56
        .size:           4
        .value_kind:     by_value
      - .offset:         60
        .size:           4
        .value_kind:     by_value
      - .offset:         64
        .size:           4
        .value_kind:     by_value
    .group_segment_fixed_size: 4128
    .kernarg_segment_align: 8
    .kernarg_segment_size: 68
    .language:       OpenCL C
    .language_version:
      - 2
      - 0
    .max_flat_workgroup_size: 1024
    .name:           _ZN5aiter43moe_smooth_per_token_scaled_quant_kernel_v1IDF16_aLi256ELi8ELb1ELb1ELi1024EEEvPT0_PfPT_S3_PiS6_iiiii
    .private_segment_fixed_size: 0
    .sgpr_count:     26
    .sgpr_spill_count: 0
    .symbol:         _ZN5aiter43moe_smooth_per_token_scaled_quant_kernel_v1IDF16_aLi256ELi8ELb1ELb1ELi1024EEEvPT0_PfPT_S3_PiS6_iiiii.kd
    .uniform_work_group_size: 1
    .uses_dynamic_stack: false
    .vgpr_count:     26
    .vgpr_spill_count: 0
    .wavefront_size: 32
    .workgroup_processor_mode: 1
  - .args:
      - .actual_access:  write_only
        .address_space:  global
        .offset:         0
        .size:           8
        .value_kind:     global_buffer
      - .actual_access:  write_only
        .address_space:  global
        .offset:         8
        .size:           8
        .value_kind:     global_buffer
      - .actual_access:  read_only
        .address_space:  global
        .offset:         16
        .size:           8
        .value_kind:     global_buffer
      - .actual_access:  read_only
        .address_space:  global
        .offset:         24
        .size:           8
        .value_kind:     global_buffer
      - .actual_access:  read_only
        .address_space:  global
        .offset:         32
        .size:           8
        .value_kind:     global_buffer
      - .actual_access:  read_only
        .address_space:  global
        .offset:         40
        .size:           8
        .value_kind:     global_buffer
      - .offset:         48
        .size:           4
        .value_kind:     by_value
      - .offset:         52
        .size:           4
        .value_kind:     by_value
      - .offset:         56
        .size:           4
        .value_kind:     by_value
      - .offset:         60
        .size:           4
        .value_kind:     by_value
      - .offset:         64
        .size:           4
        .value_kind:     by_value
    .group_segment_fixed_size: 4128
    .kernarg_segment_align: 8
    .kernarg_segment_size: 68
    .language:       OpenCL C
    .language_version:
      - 2
      - 0
    .max_flat_workgroup_size: 1024
    .name:           _ZN5aiter43moe_smooth_per_token_scaled_quant_kernel_v1ItaLi256ELi8ELb1ELb1ELi1024EEEvPT0_PfPT_S3_PiS6_iiiii
    .private_segment_fixed_size: 0
    .sgpr_count:     26
    .sgpr_spill_count: 0
    .symbol:         _ZN5aiter43moe_smooth_per_token_scaled_quant_kernel_v1ItaLi256ELi8ELb1ELb1ELi1024EEEvPT0_PfPT_S3_PiS6_iiiii.kd
    .uniform_work_group_size: 1
    .uses_dynamic_stack: false
    .vgpr_count:     26
    .vgpr_spill_count: 0
    .wavefront_size: 32
    .workgroup_processor_mode: 1
  - .args:
      - .actual_access:  write_only
        .address_space:  global
        .offset:         0
        .size:           8
        .value_kind:     global_buffer
      - .actual_access:  write_only
        .address_space:  global
        .offset:         8
        .size:           8
        .value_kind:     global_buffer
      - .actual_access:  read_only
        .address_space:  global
        .offset:         16
        .size:           8
        .value_kind:     global_buffer
      - .actual_access:  read_only
        .address_space:  global
        .offset:         24
        .size:           8
        .value_kind:     global_buffer
      - .actual_access:  read_only
        .address_space:  global
        .offset:         32
        .size:           8
        .value_kind:     global_buffer
      - .actual_access:  read_only
        .address_space:  global
        .offset:         40
        .size:           8
        .value_kind:     global_buffer
      - .offset:         48
        .size:           4
        .value_kind:     by_value
      - .offset:         52
        .size:           4
        .value_kind:     by_value
      - .offset:         56
        .size:           4
        .value_kind:     by_value
      - .offset:         60
        .size:           4
        .value_kind:     by_value
      - .offset:         64
        .size:           4
        .value_kind:     by_value
    .group_segment_fixed_size: 32
    .kernarg_segment_align: 8
    .kernarg_segment_size: 68
    .language:       OpenCL C
    .language_version:
      - 2
      - 0
    .max_flat_workgroup_size: 1024
    .name:           _ZN5aiter43moe_smooth_per_token_scaled_quant_kernel_v1IDF16_aLi256ELi8ELb1ELb0ELi1024EEEvPT0_PfPT_S3_PiS6_iiiii
    .private_segment_fixed_size: 0
    .sgpr_count:     26
    .sgpr_spill_count: 0
    .symbol:         _ZN5aiter43moe_smooth_per_token_scaled_quant_kernel_v1IDF16_aLi256ELi8ELb1ELb0ELi1024EEEvPT0_PfPT_S3_PiS6_iiiii.kd
    .uniform_work_group_size: 1
    .uses_dynamic_stack: false
    .vgpr_count:     26
    .vgpr_spill_count: 0
    .wavefront_size: 32
    .workgroup_processor_mode: 1
  - .args:
      - .actual_access:  write_only
        .address_space:  global
        .offset:         0
        .size:           8
        .value_kind:     global_buffer
      - .actual_access:  write_only
        .address_space:  global
        .offset:         8
        .size:           8
        .value_kind:     global_buffer
      - .actual_access:  read_only
        .address_space:  global
        .offset:         16
        .size:           8
        .value_kind:     global_buffer
      - .actual_access:  read_only
        .address_space:  global
        .offset:         24
        .size:           8
        .value_kind:     global_buffer
      - .actual_access:  read_only
        .address_space:  global
        .offset:         32
        .size:           8
        .value_kind:     global_buffer
      - .actual_access:  read_only
        .address_space:  global
        .offset:         40
        .size:           8
        .value_kind:     global_buffer
      - .offset:         48
        .size:           4
        .value_kind:     by_value
      - .offset:         52
        .size:           4
        .value_kind:     by_value
      - .offset:         56
        .size:           4
        .value_kind:     by_value
      - .offset:         60
        .size:           4
        .value_kind:     by_value
      - .offset:         64
        .size:           4
        .value_kind:     by_value
    .group_segment_fixed_size: 32
    .kernarg_segment_align: 8
    .kernarg_segment_size: 68
    .language:       OpenCL C
    .language_version:
      - 2
      - 0
    .max_flat_workgroup_size: 1024
    .name:           _ZN5aiter43moe_smooth_per_token_scaled_quant_kernel_v1ItaLi256ELi8ELb1ELb0ELi1024EEEvPT0_PfPT_S3_PiS6_iiiii
    .private_segment_fixed_size: 0
    .sgpr_count:     26
    .sgpr_spill_count: 0
    .symbol:         _ZN5aiter43moe_smooth_per_token_scaled_quant_kernel_v1ItaLi256ELi8ELb1ELb0ELi1024EEEvPT0_PfPT_S3_PiS6_iiiii.kd
    .uniform_work_group_size: 1
    .uses_dynamic_stack: false
    .vgpr_count:     26
    .vgpr_spill_count: 0
    .wavefront_size: 32
    .workgroup_processor_mode: 1
  - .args:
      - .actual_access:  write_only
        .address_space:  global
        .offset:         0
        .size:           8
        .value_kind:     global_buffer
      - .actual_access:  write_only
        .address_space:  global
        .offset:         8
        .size:           8
        .value_kind:     global_buffer
      - .actual_access:  read_only
        .address_space:  global
        .offset:         16
        .size:           8
        .value_kind:     global_buffer
      - .actual_access:  read_only
        .address_space:  global
        .offset:         24
        .size:           8
        .value_kind:     global_buffer
      - .actual_access:  read_only
        .address_space:  global
        .offset:         32
        .size:           8
        .value_kind:     global_buffer
      - .actual_access:  read_only
        .address_space:  global
        .offset:         40
        .size:           8
        .value_kind:     global_buffer
      - .offset:         48
        .size:           4
        .value_kind:     by_value
      - .offset:         52
        .size:           4
        .value_kind:     by_value
      - .offset:         56
        .size:           4
        .value_kind:     by_value
      - .offset:         60
        .size:           4
        .value_kind:     by_value
      - .offset:         64
        .size:           4
        .value_kind:     by_value
    .group_segment_fixed_size: 4128
    .kernarg_segment_align: 8
    .kernarg_segment_size: 68
    .language:       OpenCL C
    .language_version:
      - 2
      - 0
    .max_flat_workgroup_size: 1024
    .name:           _ZN5aiter43moe_smooth_per_token_scaled_quant_kernel_v1IDF16_aLi256ELi8ELb0ELb1ELi1024EEEvPT0_PfPT_S3_PiS6_iiiii
    .private_segment_fixed_size: 0
    .sgpr_count:     25
    .sgpr_spill_count: 0
    .symbol:         _ZN5aiter43moe_smooth_per_token_scaled_quant_kernel_v1IDF16_aLi256ELi8ELb0ELb1ELi1024EEEvPT0_PfPT_S3_PiS6_iiiii.kd
    .uniform_work_group_size: 1
    .uses_dynamic_stack: false
    .vgpr_count:     26
    .vgpr_spill_count: 0
    .wavefront_size: 32
    .workgroup_processor_mode: 1
  - .args:
      - .actual_access:  write_only
        .address_space:  global
        .offset:         0
        .size:           8
        .value_kind:     global_buffer
      - .actual_access:  write_only
        .address_space:  global
        .offset:         8
        .size:           8
        .value_kind:     global_buffer
      - .actual_access:  read_only
        .address_space:  global
        .offset:         16
        .size:           8
        .value_kind:     global_buffer
      - .actual_access:  read_only
        .address_space:  global
        .offset:         24
        .size:           8
        .value_kind:     global_buffer
      - .actual_access:  read_only
        .address_space:  global
        .offset:         32
        .size:           8
        .value_kind:     global_buffer
      - .actual_access:  read_only
        .address_space:  global
        .offset:         40
        .size:           8
        .value_kind:     global_buffer
      - .offset:         48
        .size:           4
        .value_kind:     by_value
      - .offset:         52
        .size:           4
        .value_kind:     by_value
      - .offset:         56
        .size:           4
        .value_kind:     by_value
      - .offset:         60
        .size:           4
        .value_kind:     by_value
      - .offset:         64
        .size:           4
        .value_kind:     by_value
    .group_segment_fixed_size: 4128
    .kernarg_segment_align: 8
    .kernarg_segment_size: 68
    .language:       OpenCL C
    .language_version:
      - 2
      - 0
    .max_flat_workgroup_size: 1024
    .name:           _ZN5aiter43moe_smooth_per_token_scaled_quant_kernel_v1ItaLi256ELi8ELb0ELb1ELi1024EEEvPT0_PfPT_S3_PiS6_iiiii
    .private_segment_fixed_size: 0
    .sgpr_count:     25
    .sgpr_spill_count: 0
    .symbol:         _ZN5aiter43moe_smooth_per_token_scaled_quant_kernel_v1ItaLi256ELi8ELb0ELb1ELi1024EEEvPT0_PfPT_S3_PiS6_iiiii.kd
    .uniform_work_group_size: 1
    .uses_dynamic_stack: false
    .vgpr_count:     26
    .vgpr_spill_count: 0
    .wavefront_size: 32
    .workgroup_processor_mode: 1
  - .args:
      - .actual_access:  write_only
        .address_space:  global
        .offset:         0
        .size:           8
        .value_kind:     global_buffer
      - .actual_access:  write_only
        .address_space:  global
        .offset:         8
        .size:           8
        .value_kind:     global_buffer
      - .actual_access:  read_only
        .address_space:  global
        .offset:         16
        .size:           8
        .value_kind:     global_buffer
      - .actual_access:  read_only
        .address_space:  global
        .offset:         24
        .size:           8
        .value_kind:     global_buffer
      - .actual_access:  read_only
        .address_space:  global
        .offset:         32
        .size:           8
        .value_kind:     global_buffer
      - .actual_access:  read_only
        .address_space:  global
        .offset:         40
        .size:           8
        .value_kind:     global_buffer
      - .offset:         48
        .size:           4
        .value_kind:     by_value
      - .offset:         52
        .size:           4
        .value_kind:     by_value
      - .offset:         56
        .size:           4
        .value_kind:     by_value
      - .offset:         60
        .size:           4
        .value_kind:     by_value
      - .offset:         64
        .size:           4
        .value_kind:     by_value
    .group_segment_fixed_size: 32
    .kernarg_segment_align: 8
    .kernarg_segment_size: 68
    .language:       OpenCL C
    .language_version:
      - 2
      - 0
    .max_flat_workgroup_size: 1024
    .name:           _ZN5aiter43moe_smooth_per_token_scaled_quant_kernel_v1IDF16_aLi256ELi8ELb0ELb0ELi1024EEEvPT0_PfPT_S3_PiS6_iiiii
    .private_segment_fixed_size: 0
    .sgpr_count:     25
    .sgpr_spill_count: 0
    .symbol:         _ZN5aiter43moe_smooth_per_token_scaled_quant_kernel_v1IDF16_aLi256ELi8ELb0ELb0ELi1024EEEvPT0_PfPT_S3_PiS6_iiiii.kd
    .uniform_work_group_size: 1
    .uses_dynamic_stack: false
    .vgpr_count:     26
    .vgpr_spill_count: 0
    .wavefront_size: 32
    .workgroup_processor_mode: 1
  - .args:
      - .actual_access:  write_only
        .address_space:  global
        .offset:         0
        .size:           8
        .value_kind:     global_buffer
      - .actual_access:  write_only
        .address_space:  global
        .offset:         8
        .size:           8
        .value_kind:     global_buffer
      - .actual_access:  read_only
        .address_space:  global
        .offset:         16
        .size:           8
        .value_kind:     global_buffer
      - .actual_access:  read_only
        .address_space:  global
        .offset:         24
        .size:           8
        .value_kind:     global_buffer
      - .actual_access:  read_only
        .address_space:  global
        .offset:         32
        .size:           8
        .value_kind:     global_buffer
      - .actual_access:  read_only
        .address_space:  global
        .offset:         40
        .size:           8
        .value_kind:     global_buffer
      - .offset:         48
        .size:           4
        .value_kind:     by_value
      - .offset:         52
        .size:           4
        .value_kind:     by_value
      - .offset:         56
        .size:           4
        .value_kind:     by_value
      - .offset:         60
        .size:           4
        .value_kind:     by_value
      - .offset:         64
        .size:           4
        .value_kind:     by_value
    .group_segment_fixed_size: 32
    .kernarg_segment_align: 8
    .kernarg_segment_size: 68
    .language:       OpenCL C
    .language_version:
      - 2
      - 0
    .max_flat_workgroup_size: 1024
    .name:           _ZN5aiter43moe_smooth_per_token_scaled_quant_kernel_v1ItaLi256ELi8ELb0ELb0ELi1024EEEvPT0_PfPT_S3_PiS6_iiiii
    .private_segment_fixed_size: 0
    .sgpr_count:     25
    .sgpr_spill_count: 0
    .symbol:         _ZN5aiter43moe_smooth_per_token_scaled_quant_kernel_v1ItaLi256ELi8ELb0ELb0ELi1024EEEvPT0_PfPT_S3_PiS6_iiiii.kd
    .uniform_work_group_size: 1
    .uses_dynamic_stack: false
    .vgpr_count:     26
    .vgpr_spill_count: 0
    .wavefront_size: 32
    .workgroup_processor_mode: 1
  - .args:
      - .actual_access:  write_only
        .address_space:  global
        .offset:         0
        .size:           8
        .value_kind:     global_buffer
      - .actual_access:  write_only
        .address_space:  global
        .offset:         8
        .size:           8
        .value_kind:     global_buffer
      - .actual_access:  read_only
        .address_space:  global
        .offset:         16
        .size:           8
        .value_kind:     global_buffer
      - .actual_access:  read_only
        .address_space:  global
        .offset:         24
        .size:           8
        .value_kind:     global_buffer
      - .actual_access:  read_only
        .address_space:  global
        .offset:         32
        .size:           8
        .value_kind:     global_buffer
      - .actual_access:  read_only
        .address_space:  global
        .offset:         40
        .size:           8
        .value_kind:     global_buffer
      - .offset:         48
        .size:           4
        .value_kind:     by_value
      - .offset:         52
        .size:           4
        .value_kind:     by_value
      - .offset:         56
        .size:           4
        .value_kind:     by_value
      - .offset:         60
        .size:           4
        .value_kind:     by_value
      - .offset:         64
        .size:           4
        .value_kind:     by_value
    .group_segment_fixed_size: 4128
    .kernarg_segment_align: 8
    .kernarg_segment_size: 68
    .language:       OpenCL C
    .language_version:
      - 2
      - 0
    .max_flat_workgroup_size: 1024
    .name:           _ZN5aiter43moe_smooth_per_token_scaled_quant_kernel_v1IDF16_aLi256ELi16ELb1ELb1ELi1024EEEvPT0_PfPT_S3_PiS6_iiiii
    .private_segment_fixed_size: 0
    .sgpr_count:     26
    .sgpr_spill_count: 0
    .symbol:         _ZN5aiter43moe_smooth_per_token_scaled_quant_kernel_v1IDF16_aLi256ELi16ELb1ELb1ELi1024EEEvPT0_PfPT_S3_PiS6_iiiii.kd
    .uniform_work_group_size: 1
    .uses_dynamic_stack: false
    .vgpr_count:     46
    .vgpr_spill_count: 0
    .wavefront_size: 32
    .workgroup_processor_mode: 1
  - .args:
      - .actual_access:  write_only
        .address_space:  global
        .offset:         0
        .size:           8
        .value_kind:     global_buffer
      - .actual_access:  write_only
        .address_space:  global
        .offset:         8
        .size:           8
        .value_kind:     global_buffer
      - .actual_access:  read_only
        .address_space:  global
        .offset:         16
        .size:           8
        .value_kind:     global_buffer
      - .actual_access:  read_only
        .address_space:  global
        .offset:         24
        .size:           8
        .value_kind:     global_buffer
      - .actual_access:  read_only
        .address_space:  global
        .offset:         32
        .size:           8
        .value_kind:     global_buffer
      - .actual_access:  read_only
        .address_space:  global
        .offset:         40
        .size:           8
        .value_kind:     global_buffer
      - .offset:         48
        .size:           4
        .value_kind:     by_value
      - .offset:         52
        .size:           4
        .value_kind:     by_value
      - .offset:         56
        .size:           4
        .value_kind:     by_value
      - .offset:         60
        .size:           4
        .value_kind:     by_value
      - .offset:         64
        .size:           4
        .value_kind:     by_value
    .group_segment_fixed_size: 4128
    .kernarg_segment_align: 8
    .kernarg_segment_size: 68
    .language:       OpenCL C
    .language_version:
      - 2
      - 0
    .max_flat_workgroup_size: 1024
    .name:           _ZN5aiter43moe_smooth_per_token_scaled_quant_kernel_v1ItaLi256ELi16ELb1ELb1ELi1024EEEvPT0_PfPT_S3_PiS6_iiiii
    .private_segment_fixed_size: 0
    .sgpr_count:     26
    .sgpr_spill_count: 0
    .symbol:         _ZN5aiter43moe_smooth_per_token_scaled_quant_kernel_v1ItaLi256ELi16ELb1ELb1ELi1024EEEvPT0_PfPT_S3_PiS6_iiiii.kd
    .uniform_work_group_size: 1
    .uses_dynamic_stack: false
    .vgpr_count:     46
    .vgpr_spill_count: 0
    .wavefront_size: 32
    .workgroup_processor_mode: 1
  - .args:
      - .actual_access:  write_only
        .address_space:  global
        .offset:         0
        .size:           8
        .value_kind:     global_buffer
      - .actual_access:  write_only
        .address_space:  global
        .offset:         8
        .size:           8
        .value_kind:     global_buffer
      - .actual_access:  read_only
        .address_space:  global
        .offset:         16
        .size:           8
        .value_kind:     global_buffer
      - .actual_access:  read_only
        .address_space:  global
        .offset:         24
        .size:           8
        .value_kind:     global_buffer
      - .actual_access:  read_only
        .address_space:  global
        .offset:         32
        .size:           8
        .value_kind:     global_buffer
      - .actual_access:  read_only
        .address_space:  global
        .offset:         40
        .size:           8
        .value_kind:     global_buffer
      - .offset:         48
        .size:           4
        .value_kind:     by_value
      - .offset:         52
        .size:           4
        .value_kind:     by_value
      - .offset:         56
        .size:           4
        .value_kind:     by_value
      - .offset:         60
        .size:           4
        .value_kind:     by_value
      - .offset:         64
        .size:           4
        .value_kind:     by_value
    .group_segment_fixed_size: 32
    .kernarg_segment_align: 8
    .kernarg_segment_size: 68
    .language:       OpenCL C
    .language_version:
      - 2
      - 0
    .max_flat_workgroup_size: 1024
    .name:           _ZN5aiter43moe_smooth_per_token_scaled_quant_kernel_v1IDF16_aLi256ELi16ELb1ELb0ELi1024EEEvPT0_PfPT_S3_PiS6_iiiii
    .private_segment_fixed_size: 0
    .sgpr_count:     26
    .sgpr_spill_count: 0
    .symbol:         _ZN5aiter43moe_smooth_per_token_scaled_quant_kernel_v1IDF16_aLi256ELi16ELb1ELb0ELi1024EEEvPT0_PfPT_S3_PiS6_iiiii.kd
    .uniform_work_group_size: 1
    .uses_dynamic_stack: false
    .vgpr_count:     46
    .vgpr_spill_count: 0
    .wavefront_size: 32
    .workgroup_processor_mode: 1
  - .args:
      - .actual_access:  write_only
        .address_space:  global
        .offset:         0
        .size:           8
        .value_kind:     global_buffer
      - .actual_access:  write_only
        .address_space:  global
        .offset:         8
        .size:           8
        .value_kind:     global_buffer
      - .actual_access:  read_only
        .address_space:  global
        .offset:         16
        .size:           8
        .value_kind:     global_buffer
      - .actual_access:  read_only
        .address_space:  global
        .offset:         24
        .size:           8
        .value_kind:     global_buffer
      - .actual_access:  read_only
        .address_space:  global
        .offset:         32
        .size:           8
        .value_kind:     global_buffer
      - .actual_access:  read_only
        .address_space:  global
        .offset:         40
        .size:           8
        .value_kind:     global_buffer
      - .offset:         48
        .size:           4
        .value_kind:     by_value
      - .offset:         52
        .size:           4
        .value_kind:     by_value
      - .offset:         56
        .size:           4
        .value_kind:     by_value
      - .offset:         60
        .size:           4
        .value_kind:     by_value
      - .offset:         64
        .size:           4
        .value_kind:     by_value
    .group_segment_fixed_size: 32
    .kernarg_segment_align: 8
    .kernarg_segment_size: 68
    .language:       OpenCL C
    .language_version:
      - 2
      - 0
    .max_flat_workgroup_size: 1024
    .name:           _ZN5aiter43moe_smooth_per_token_scaled_quant_kernel_v1ItaLi256ELi16ELb1ELb0ELi1024EEEvPT0_PfPT_S3_PiS6_iiiii
    .private_segment_fixed_size: 0
    .sgpr_count:     26
    .sgpr_spill_count: 0
    .symbol:         _ZN5aiter43moe_smooth_per_token_scaled_quant_kernel_v1ItaLi256ELi16ELb1ELb0ELi1024EEEvPT0_PfPT_S3_PiS6_iiiii.kd
    .uniform_work_group_size: 1
    .uses_dynamic_stack: false
    .vgpr_count:     46
    .vgpr_spill_count: 0
    .wavefront_size: 32
    .workgroup_processor_mode: 1
  - .args:
      - .actual_access:  write_only
        .address_space:  global
        .offset:         0
        .size:           8
        .value_kind:     global_buffer
      - .actual_access:  write_only
        .address_space:  global
        .offset:         8
        .size:           8
        .value_kind:     global_buffer
      - .actual_access:  read_only
        .address_space:  global
        .offset:         16
        .size:           8
        .value_kind:     global_buffer
      - .actual_access:  read_only
        .address_space:  global
        .offset:         24
        .size:           8
        .value_kind:     global_buffer
      - .actual_access:  read_only
        .address_space:  global
        .offset:         32
        .size:           8
        .value_kind:     global_buffer
      - .actual_access:  read_only
        .address_space:  global
        .offset:         40
        .size:           8
        .value_kind:     global_buffer
      - .offset:         48
        .size:           4
        .value_kind:     by_value
      - .offset:         52
        .size:           4
        .value_kind:     by_value
      - .offset:         56
        .size:           4
        .value_kind:     by_value
      - .offset:         60
        .size:           4
        .value_kind:     by_value
      - .offset:         64
        .size:           4
        .value_kind:     by_value
    .group_segment_fixed_size: 4128
    .kernarg_segment_align: 8
    .kernarg_segment_size: 68
    .language:       OpenCL C
    .language_version:
      - 2
      - 0
    .max_flat_workgroup_size: 1024
    .name:           _ZN5aiter43moe_smooth_per_token_scaled_quant_kernel_v1IDF16_aLi256ELi16ELb0ELb1ELi1024EEEvPT0_PfPT_S3_PiS6_iiiii
    .private_segment_fixed_size: 0
    .sgpr_count:     25
    .sgpr_spill_count: 0
    .symbol:         _ZN5aiter43moe_smooth_per_token_scaled_quant_kernel_v1IDF16_aLi256ELi16ELb0ELb1ELi1024EEEvPT0_PfPT_S3_PiS6_iiiii.kd
    .uniform_work_group_size: 1
    .uses_dynamic_stack: false
    .vgpr_count:     46
    .vgpr_spill_count: 0
    .wavefront_size: 32
    .workgroup_processor_mode: 1
  - .args:
      - .actual_access:  write_only
        .address_space:  global
        .offset:         0
        .size:           8
        .value_kind:     global_buffer
      - .actual_access:  write_only
        .address_space:  global
        .offset:         8
        .size:           8
        .value_kind:     global_buffer
      - .actual_access:  read_only
        .address_space:  global
        .offset:         16
        .size:           8
        .value_kind:     global_buffer
      - .actual_access:  read_only
        .address_space:  global
        .offset:         24
        .size:           8
        .value_kind:     global_buffer
      - .actual_access:  read_only
        .address_space:  global
        .offset:         32
        .size:           8
        .value_kind:     global_buffer
      - .actual_access:  read_only
        .address_space:  global
        .offset:         40
        .size:           8
        .value_kind:     global_buffer
      - .offset:         48
        .size:           4
        .value_kind:     by_value
      - .offset:         52
        .size:           4
        .value_kind:     by_value
      - .offset:         56
        .size:           4
        .value_kind:     by_value
      - .offset:         60
        .size:           4
        .value_kind:     by_value
      - .offset:         64
        .size:           4
        .value_kind:     by_value
    .group_segment_fixed_size: 4128
    .kernarg_segment_align: 8
    .kernarg_segment_size: 68
    .language:       OpenCL C
    .language_version:
      - 2
      - 0
    .max_flat_workgroup_size: 1024
    .name:           _ZN5aiter43moe_smooth_per_token_scaled_quant_kernel_v1ItaLi256ELi16ELb0ELb1ELi1024EEEvPT0_PfPT_S3_PiS6_iiiii
    .private_segment_fixed_size: 0
    .sgpr_count:     25
    .sgpr_spill_count: 0
    .symbol:         _ZN5aiter43moe_smooth_per_token_scaled_quant_kernel_v1ItaLi256ELi16ELb0ELb1ELi1024EEEvPT0_PfPT_S3_PiS6_iiiii.kd
    .uniform_work_group_size: 1
    .uses_dynamic_stack: false
    .vgpr_count:     46
    .vgpr_spill_count: 0
    .wavefront_size: 32
    .workgroup_processor_mode: 1
  - .args:
      - .actual_access:  write_only
        .address_space:  global
        .offset:         0
        .size:           8
        .value_kind:     global_buffer
      - .actual_access:  write_only
        .address_space:  global
        .offset:         8
        .size:           8
        .value_kind:     global_buffer
      - .actual_access:  read_only
        .address_space:  global
        .offset:         16
        .size:           8
        .value_kind:     global_buffer
      - .actual_access:  read_only
        .address_space:  global
        .offset:         24
        .size:           8
        .value_kind:     global_buffer
      - .actual_access:  read_only
        .address_space:  global
        .offset:         32
        .size:           8
        .value_kind:     global_buffer
      - .actual_access:  read_only
        .address_space:  global
        .offset:         40
        .size:           8
        .value_kind:     global_buffer
      - .offset:         48
        .size:           4
        .value_kind:     by_value
      - .offset:         52
        .size:           4
        .value_kind:     by_value
      - .offset:         56
        .size:           4
        .value_kind:     by_value
      - .offset:         60
        .size:           4
        .value_kind:     by_value
      - .offset:         64
        .size:           4
        .value_kind:     by_value
    .group_segment_fixed_size: 32
    .kernarg_segment_align: 8
    .kernarg_segment_size: 68
    .language:       OpenCL C
    .language_version:
      - 2
      - 0
    .max_flat_workgroup_size: 1024
    .name:           _ZN5aiter43moe_smooth_per_token_scaled_quant_kernel_v1IDF16_aLi256ELi16ELb0ELb0ELi1024EEEvPT0_PfPT_S3_PiS6_iiiii
    .private_segment_fixed_size: 0
    .sgpr_count:     25
    .sgpr_spill_count: 0
    .symbol:         _ZN5aiter43moe_smooth_per_token_scaled_quant_kernel_v1IDF16_aLi256ELi16ELb0ELb0ELi1024EEEvPT0_PfPT_S3_PiS6_iiiii.kd
    .uniform_work_group_size: 1
    .uses_dynamic_stack: false
    .vgpr_count:     46
    .vgpr_spill_count: 0
    .wavefront_size: 32
    .workgroup_processor_mode: 1
  - .args:
      - .actual_access:  write_only
        .address_space:  global
        .offset:         0
        .size:           8
        .value_kind:     global_buffer
      - .actual_access:  write_only
        .address_space:  global
        .offset:         8
        .size:           8
        .value_kind:     global_buffer
      - .actual_access:  read_only
        .address_space:  global
        .offset:         16
        .size:           8
        .value_kind:     global_buffer
      - .actual_access:  read_only
        .address_space:  global
        .offset:         24
        .size:           8
        .value_kind:     global_buffer
      - .actual_access:  read_only
        .address_space:  global
        .offset:         32
        .size:           8
        .value_kind:     global_buffer
      - .actual_access:  read_only
        .address_space:  global
        .offset:         40
        .size:           8
        .value_kind:     global_buffer
      - .offset:         48
        .size:           4
        .value_kind:     by_value
      - .offset:         52
        .size:           4
        .value_kind:     by_value
      - .offset:         56
        .size:           4
        .value_kind:     by_value
      - .offset:         60
        .size:           4
        .value_kind:     by_value
      - .offset:         64
        .size:           4
        .value_kind:     by_value
    .group_segment_fixed_size: 32
    .kernarg_segment_align: 8
    .kernarg_segment_size: 68
    .language:       OpenCL C
    .language_version:
      - 2
      - 0
    .max_flat_workgroup_size: 1024
    .name:           _ZN5aiter43moe_smooth_per_token_scaled_quant_kernel_v1ItaLi256ELi16ELb0ELb0ELi1024EEEvPT0_PfPT_S3_PiS6_iiiii
    .private_segment_fixed_size: 0
    .sgpr_count:     25
    .sgpr_spill_count: 0
    .symbol:         _ZN5aiter43moe_smooth_per_token_scaled_quant_kernel_v1ItaLi256ELi16ELb0ELb0ELi1024EEEvPT0_PfPT_S3_PiS6_iiiii.kd
    .uniform_work_group_size: 1
    .uses_dynamic_stack: false
    .vgpr_count:     46
    .vgpr_spill_count: 0
    .wavefront_size: 32
    .workgroup_processor_mode: 1
  - .args:
      - .actual_access:  write_only
        .address_space:  global
        .offset:         0
        .size:           8
        .value_kind:     global_buffer
      - .actual_access:  write_only
        .address_space:  global
        .offset:         8
        .size:           8
        .value_kind:     global_buffer
      - .actual_access:  read_only
        .address_space:  global
        .offset:         16
        .size:           8
        .value_kind:     global_buffer
      - .actual_access:  read_only
        .address_space:  global
        .offset:         24
        .size:           8
        .value_kind:     global_buffer
      - .actual_access:  read_only
        .address_space:  global
        .offset:         32
        .size:           8
        .value_kind:     global_buffer
      - .actual_access:  read_only
        .address_space:  global
        .offset:         40
        .size:           8
        .value_kind:     global_buffer
      - .offset:         48
        .size:           4
        .value_kind:     by_value
      - .offset:         52
        .size:           4
        .value_kind:     by_value
      - .offset:         56
        .size:           4
        .value_kind:     by_value
      - .offset:         60
        .size:           4
        .value_kind:     by_value
      - .offset:         64
        .size:           4
        .value_kind:     by_value
    .group_segment_fixed_size: 4160
    .kernarg_segment_align: 8
    .kernarg_segment_size: 68
    .language:       OpenCL C
    .language_version:
      - 2
      - 0
    .max_flat_workgroup_size: 1024
    .name:           _ZN5aiter43moe_smooth_per_token_scaled_quant_kernel_v1IDF16_aLi512ELi16ELb1ELb1ELi1024EEEvPT0_PfPT_S3_PiS6_iiiii
    .private_segment_fixed_size: 0
    .sgpr_count:     26
    .sgpr_spill_count: 0
    .symbol:         _ZN5aiter43moe_smooth_per_token_scaled_quant_kernel_v1IDF16_aLi512ELi16ELb1ELb1ELi1024EEEvPT0_PfPT_S3_PiS6_iiiii.kd
    .uniform_work_group_size: 1
    .uses_dynamic_stack: false
    .vgpr_count:     46
    .vgpr_spill_count: 0
    .wavefront_size: 32
    .workgroup_processor_mode: 1
  - .args:
      - .actual_access:  write_only
        .address_space:  global
        .offset:         0
        .size:           8
        .value_kind:     global_buffer
      - .actual_access:  write_only
        .address_space:  global
        .offset:         8
        .size:           8
        .value_kind:     global_buffer
      - .actual_access:  read_only
        .address_space:  global
        .offset:         16
        .size:           8
        .value_kind:     global_buffer
      - .actual_access:  read_only
        .address_space:  global
        .offset:         24
        .size:           8
        .value_kind:     global_buffer
      - .actual_access:  read_only
        .address_space:  global
        .offset:         32
        .size:           8
        .value_kind:     global_buffer
      - .actual_access:  read_only
        .address_space:  global
        .offset:         40
        .size:           8
        .value_kind:     global_buffer
      - .offset:         48
        .size:           4
        .value_kind:     by_value
      - .offset:         52
        .size:           4
        .value_kind:     by_value
      - .offset:         56
        .size:           4
        .value_kind:     by_value
      - .offset:         60
        .size:           4
        .value_kind:     by_value
      - .offset:         64
        .size:           4
        .value_kind:     by_value
    .group_segment_fixed_size: 4160
    .kernarg_segment_align: 8
    .kernarg_segment_size: 68
    .language:       OpenCL C
    .language_version:
      - 2
      - 0
    .max_flat_workgroup_size: 1024
    .name:           _ZN5aiter43moe_smooth_per_token_scaled_quant_kernel_v1ItaLi512ELi16ELb1ELb1ELi1024EEEvPT0_PfPT_S3_PiS6_iiiii
    .private_segment_fixed_size: 0
    .sgpr_count:     26
    .sgpr_spill_count: 0
    .symbol:         _ZN5aiter43moe_smooth_per_token_scaled_quant_kernel_v1ItaLi512ELi16ELb1ELb1ELi1024EEEvPT0_PfPT_S3_PiS6_iiiii.kd
    .uniform_work_group_size: 1
    .uses_dynamic_stack: false
    .vgpr_count:     46
    .vgpr_spill_count: 0
    .wavefront_size: 32
    .workgroup_processor_mode: 1
  - .args:
      - .actual_access:  write_only
        .address_space:  global
        .offset:         0
        .size:           8
        .value_kind:     global_buffer
      - .actual_access:  write_only
        .address_space:  global
        .offset:         8
        .size:           8
        .value_kind:     global_buffer
      - .actual_access:  read_only
        .address_space:  global
        .offset:         16
        .size:           8
        .value_kind:     global_buffer
      - .actual_access:  read_only
        .address_space:  global
        .offset:         24
        .size:           8
        .value_kind:     global_buffer
      - .actual_access:  read_only
        .address_space:  global
        .offset:         32
        .size:           8
        .value_kind:     global_buffer
      - .actual_access:  read_only
        .address_space:  global
        .offset:         40
        .size:           8
        .value_kind:     global_buffer
      - .offset:         48
        .size:           4
        .value_kind:     by_value
      - .offset:         52
        .size:           4
        .value_kind:     by_value
      - .offset:         56
        .size:           4
        .value_kind:     by_value
      - .offset:         60
        .size:           4
        .value_kind:     by_value
      - .offset:         64
        .size:           4
        .value_kind:     by_value
    .group_segment_fixed_size: 64
    .kernarg_segment_align: 8
    .kernarg_segment_size: 68
    .language:       OpenCL C
    .language_version:
      - 2
      - 0
    .max_flat_workgroup_size: 1024
    .name:           _ZN5aiter43moe_smooth_per_token_scaled_quant_kernel_v1IDF16_aLi512ELi16ELb1ELb0ELi1024EEEvPT0_PfPT_S3_PiS6_iiiii
    .private_segment_fixed_size: 0
    .sgpr_count:     26
    .sgpr_spill_count: 0
    .symbol:         _ZN5aiter43moe_smooth_per_token_scaled_quant_kernel_v1IDF16_aLi512ELi16ELb1ELb0ELi1024EEEvPT0_PfPT_S3_PiS6_iiiii.kd
    .uniform_work_group_size: 1
    .uses_dynamic_stack: false
    .vgpr_count:     46
    .vgpr_spill_count: 0
    .wavefront_size: 32
    .workgroup_processor_mode: 1
  - .args:
      - .actual_access:  write_only
        .address_space:  global
        .offset:         0
        .size:           8
        .value_kind:     global_buffer
      - .actual_access:  write_only
        .address_space:  global
        .offset:         8
        .size:           8
        .value_kind:     global_buffer
      - .actual_access:  read_only
        .address_space:  global
        .offset:         16
        .size:           8
        .value_kind:     global_buffer
      - .actual_access:  read_only
        .address_space:  global
        .offset:         24
        .size:           8
        .value_kind:     global_buffer
      - .actual_access:  read_only
        .address_space:  global
        .offset:         32
        .size:           8
        .value_kind:     global_buffer
      - .actual_access:  read_only
        .address_space:  global
        .offset:         40
        .size:           8
        .value_kind:     global_buffer
      - .offset:         48
        .size:           4
        .value_kind:     by_value
      - .offset:         52
        .size:           4
        .value_kind:     by_value
      - .offset:         56
        .size:           4
        .value_kind:     by_value
      - .offset:         60
        .size:           4
        .value_kind:     by_value
      - .offset:         64
        .size:           4
        .value_kind:     by_value
    .group_segment_fixed_size: 64
    .kernarg_segment_align: 8
    .kernarg_segment_size: 68
    .language:       OpenCL C
    .language_version:
      - 2
      - 0
    .max_flat_workgroup_size: 1024
    .name:           _ZN5aiter43moe_smooth_per_token_scaled_quant_kernel_v1ItaLi512ELi16ELb1ELb0ELi1024EEEvPT0_PfPT_S3_PiS6_iiiii
    .private_segment_fixed_size: 0
    .sgpr_count:     26
    .sgpr_spill_count: 0
    .symbol:         _ZN5aiter43moe_smooth_per_token_scaled_quant_kernel_v1ItaLi512ELi16ELb1ELb0ELi1024EEEvPT0_PfPT_S3_PiS6_iiiii.kd
    .uniform_work_group_size: 1
    .uses_dynamic_stack: false
    .vgpr_count:     46
    .vgpr_spill_count: 0
    .wavefront_size: 32
    .workgroup_processor_mode: 1
  - .args:
      - .actual_access:  write_only
        .address_space:  global
        .offset:         0
        .size:           8
        .value_kind:     global_buffer
      - .actual_access:  write_only
        .address_space:  global
        .offset:         8
        .size:           8
        .value_kind:     global_buffer
      - .actual_access:  read_only
        .address_space:  global
        .offset:         16
        .size:           8
        .value_kind:     global_buffer
      - .actual_access:  read_only
        .address_space:  global
        .offset:         24
        .size:           8
        .value_kind:     global_buffer
      - .actual_access:  read_only
        .address_space:  global
        .offset:         32
        .size:           8
        .value_kind:     global_buffer
      - .actual_access:  read_only
        .address_space:  global
        .offset:         40
        .size:           8
        .value_kind:     global_buffer
      - .offset:         48
        .size:           4
        .value_kind:     by_value
      - .offset:         52
        .size:           4
        .value_kind:     by_value
      - .offset:         56
        .size:           4
        .value_kind:     by_value
      - .offset:         60
        .size:           4
        .value_kind:     by_value
      - .offset:         64
        .size:           4
        .value_kind:     by_value
    .group_segment_fixed_size: 4160
    .kernarg_segment_align: 8
    .kernarg_segment_size: 68
    .language:       OpenCL C
    .language_version:
      - 2
      - 0
    .max_flat_workgroup_size: 1024
    .name:           _ZN5aiter43moe_smooth_per_token_scaled_quant_kernel_v1IDF16_aLi512ELi16ELb0ELb1ELi1024EEEvPT0_PfPT_S3_PiS6_iiiii
    .private_segment_fixed_size: 0
    .sgpr_count:     25
    .sgpr_spill_count: 0
    .symbol:         _ZN5aiter43moe_smooth_per_token_scaled_quant_kernel_v1IDF16_aLi512ELi16ELb0ELb1ELi1024EEEvPT0_PfPT_S3_PiS6_iiiii.kd
    .uniform_work_group_size: 1
    .uses_dynamic_stack: false
    .vgpr_count:     46
    .vgpr_spill_count: 0
    .wavefront_size: 32
    .workgroup_processor_mode: 1
  - .args:
      - .actual_access:  write_only
        .address_space:  global
        .offset:         0
        .size:           8
        .value_kind:     global_buffer
      - .actual_access:  write_only
        .address_space:  global
        .offset:         8
        .size:           8
        .value_kind:     global_buffer
      - .actual_access:  read_only
        .address_space:  global
        .offset:         16
        .size:           8
        .value_kind:     global_buffer
      - .actual_access:  read_only
        .address_space:  global
        .offset:         24
        .size:           8
        .value_kind:     global_buffer
      - .actual_access:  read_only
        .address_space:  global
        .offset:         32
        .size:           8
        .value_kind:     global_buffer
      - .actual_access:  read_only
        .address_space:  global
        .offset:         40
        .size:           8
        .value_kind:     global_buffer
      - .offset:         48
        .size:           4
        .value_kind:     by_value
      - .offset:         52
        .size:           4
        .value_kind:     by_value
      - .offset:         56
        .size:           4
        .value_kind:     by_value
      - .offset:         60
        .size:           4
        .value_kind:     by_value
      - .offset:         64
        .size:           4
        .value_kind:     by_value
    .group_segment_fixed_size: 4160
    .kernarg_segment_align: 8
    .kernarg_segment_size: 68
    .language:       OpenCL C
    .language_version:
      - 2
      - 0
    .max_flat_workgroup_size: 1024
    .name:           _ZN5aiter43moe_smooth_per_token_scaled_quant_kernel_v1ItaLi512ELi16ELb0ELb1ELi1024EEEvPT0_PfPT_S3_PiS6_iiiii
    .private_segment_fixed_size: 0
    .sgpr_count:     25
    .sgpr_spill_count: 0
    .symbol:         _ZN5aiter43moe_smooth_per_token_scaled_quant_kernel_v1ItaLi512ELi16ELb0ELb1ELi1024EEEvPT0_PfPT_S3_PiS6_iiiii.kd
    .uniform_work_group_size: 1
    .uses_dynamic_stack: false
    .vgpr_count:     46
    .vgpr_spill_count: 0
    .wavefront_size: 32
    .workgroup_processor_mode: 1
  - .args:
      - .actual_access:  write_only
        .address_space:  global
        .offset:         0
        .size:           8
        .value_kind:     global_buffer
      - .actual_access:  write_only
        .address_space:  global
        .offset:         8
        .size:           8
        .value_kind:     global_buffer
      - .actual_access:  read_only
        .address_space:  global
        .offset:         16
        .size:           8
        .value_kind:     global_buffer
      - .actual_access:  read_only
        .address_space:  global
        .offset:         24
        .size:           8
        .value_kind:     global_buffer
      - .actual_access:  read_only
        .address_space:  global
        .offset:         32
        .size:           8
        .value_kind:     global_buffer
      - .actual_access:  read_only
        .address_space:  global
        .offset:         40
        .size:           8
        .value_kind:     global_buffer
      - .offset:         48
        .size:           4
        .value_kind:     by_value
      - .offset:         52
        .size:           4
        .value_kind:     by_value
      - .offset:         56
        .size:           4
        .value_kind:     by_value
      - .offset:         60
        .size:           4
        .value_kind:     by_value
      - .offset:         64
        .size:           4
        .value_kind:     by_value
    .group_segment_fixed_size: 64
    .kernarg_segment_align: 8
    .kernarg_segment_size: 68
    .language:       OpenCL C
    .language_version:
      - 2
      - 0
    .max_flat_workgroup_size: 1024
    .name:           _ZN5aiter43moe_smooth_per_token_scaled_quant_kernel_v1IDF16_aLi512ELi16ELb0ELb0ELi1024EEEvPT0_PfPT_S3_PiS6_iiiii
    .private_segment_fixed_size: 0
    .sgpr_count:     25
    .sgpr_spill_count: 0
    .symbol:         _ZN5aiter43moe_smooth_per_token_scaled_quant_kernel_v1IDF16_aLi512ELi16ELb0ELb0ELi1024EEEvPT0_PfPT_S3_PiS6_iiiii.kd
    .uniform_work_group_size: 1
    .uses_dynamic_stack: false
    .vgpr_count:     46
    .vgpr_spill_count: 0
    .wavefront_size: 32
    .workgroup_processor_mode: 1
  - .args:
      - .actual_access:  write_only
        .address_space:  global
        .offset:         0
        .size:           8
        .value_kind:     global_buffer
      - .actual_access:  write_only
        .address_space:  global
        .offset:         8
        .size:           8
        .value_kind:     global_buffer
      - .actual_access:  read_only
        .address_space:  global
        .offset:         16
        .size:           8
        .value_kind:     global_buffer
      - .actual_access:  read_only
        .address_space:  global
        .offset:         24
        .size:           8
        .value_kind:     global_buffer
      - .actual_access:  read_only
        .address_space:  global
        .offset:         32
        .size:           8
        .value_kind:     global_buffer
      - .actual_access:  read_only
        .address_space:  global
        .offset:         40
        .size:           8
        .value_kind:     global_buffer
      - .offset:         48
        .size:           4
        .value_kind:     by_value
      - .offset:         52
        .size:           4
        .value_kind:     by_value
      - .offset:         56
        .size:           4
        .value_kind:     by_value
      - .offset:         60
        .size:           4
        .value_kind:     by_value
      - .offset:         64
        .size:           4
        .value_kind:     by_value
    .group_segment_fixed_size: 64
    .kernarg_segment_align: 8
    .kernarg_segment_size: 68
    .language:       OpenCL C
    .language_version:
      - 2
      - 0
    .max_flat_workgroup_size: 1024
    .name:           _ZN5aiter43moe_smooth_per_token_scaled_quant_kernel_v1ItaLi512ELi16ELb0ELb0ELi1024EEEvPT0_PfPT_S3_PiS6_iiiii
    .private_segment_fixed_size: 0
    .sgpr_count:     25
    .sgpr_spill_count: 0
    .symbol:         _ZN5aiter43moe_smooth_per_token_scaled_quant_kernel_v1ItaLi512ELi16ELb0ELb0ELi1024EEEvPT0_PfPT_S3_PiS6_iiiii.kd
    .uniform_work_group_size: 1
    .uses_dynamic_stack: false
    .vgpr_count:     46
    .vgpr_spill_count: 0
    .wavefront_size: 32
    .workgroup_processor_mode: 1
  - .args:
      - .actual_access:  write_only
        .address_space:  global
        .offset:         0
        .size:           8
        .value_kind:     global_buffer
      - .actual_access:  write_only
        .address_space:  global
        .offset:         8
        .size:           8
        .value_kind:     global_buffer
      - .actual_access:  read_only
        .address_space:  global
        .offset:         16
        .size:           8
        .value_kind:     global_buffer
      - .actual_access:  read_only
        .address_space:  global
        .offset:         24
        .size:           8
        .value_kind:     global_buffer
      - .actual_access:  read_only
        .address_space:  global
        .offset:         32
        .size:           8
        .value_kind:     global_buffer
      - .actual_access:  read_only
        .address_space:  global
        .offset:         40
        .size:           8
        .value_kind:     global_buffer
      - .actual_access:  read_only
        .address_space:  global
        .offset:         48
        .size:           8
        .value_kind:     global_buffer
      - .offset:         56
        .size:           4
        .value_kind:     by_value
      - .offset:         60
        .size:           4
        .value_kind:     by_value
      - .offset:         64
        .size:           4
        .value_kind:     by_value
      - .offset:         68
        .size:           4
        .value_kind:     by_value
      - .offset:         72
        .size:           4
        .value_kind:     by_value
      - .offset:         76
        .size:           4
        .value_kind:     by_value
      - .offset:         80
        .size:           4
        .value_kind:     by_value
      - .offset:         84
        .size:           4
        .value_kind:     by_value
      - .offset:         88
        .size:           4
        .value_kind:     by_value
      - .offset:         92
        .size:           4
        .value_kind:     by_value
      - .offset:         96
        .size:           1
        .value_kind:     by_value
      - .offset:         97
        .size:           1
        .value_kind:     by_value
    .group_segment_fixed_size: 16
    .kernarg_segment_align: 8
    .kernarg_segment_size: 100
    .language:       OpenCL C
    .language_version:
      - 2
      - 0
    .max_flat_workgroup_size: 1024
    .name:           _ZN5aiter43moe_smooth_per_token_scaled_quant_kernel_v2IDF16_DB8_Li128ELi8EEEvPT0_PfPT_S4_PiS7_S7_iiiiiiiiiibb
    .private_segment_fixed_size: 0
    .sgpr_count:     54
    .sgpr_spill_count: 0
    .symbol:         _ZN5aiter43moe_smooth_per_token_scaled_quant_kernel_v2IDF16_DB8_Li128ELi8EEEvPT0_PfPT_S4_PiS7_S7_iiiiiiiiiibb.kd
    .uniform_work_group_size: 1
    .uses_dynamic_stack: false
    .vgpr_count:     30
    .vgpr_spill_count: 0
    .wavefront_size: 32
    .workgroup_processor_mode: 1
  - .args:
      - .actual_access:  write_only
        .address_space:  global
        .offset:         0
        .size:           8
        .value_kind:     global_buffer
      - .actual_access:  write_only
        .address_space:  global
        .offset:         8
        .size:           8
        .value_kind:     global_buffer
      - .actual_access:  read_only
        .address_space:  global
        .offset:         16
        .size:           8
        .value_kind:     global_buffer
      - .actual_access:  read_only
        .address_space:  global
        .offset:         24
        .size:           8
        .value_kind:     global_buffer
      - .actual_access:  read_only
        .address_space:  global
        .offset:         32
        .size:           8
        .value_kind:     global_buffer
      - .actual_access:  read_only
        .address_space:  global
        .offset:         40
        .size:           8
        .value_kind:     global_buffer
      - .actual_access:  read_only
        .address_space:  global
        .offset:         48
        .size:           8
        .value_kind:     global_buffer
      - .offset:         56
        .size:           4
        .value_kind:     by_value
      - .offset:         60
        .size:           4
        .value_kind:     by_value
      - .offset:         64
        .size:           4
        .value_kind:     by_value
      - .offset:         68
        .size:           4
        .value_kind:     by_value
      - .offset:         72
        .size:           4
        .value_kind:     by_value
      - .offset:         76
        .size:           4
        .value_kind:     by_value
      - .offset:         80
        .size:           4
        .value_kind:     by_value
      - .offset:         84
        .size:           4
        .value_kind:     by_value
      - .offset:         88
        .size:           4
        .value_kind:     by_value
      - .offset:         92
        .size:           4
        .value_kind:     by_value
      - .offset:         96
        .size:           1
        .value_kind:     by_value
      - .offset:         97
        .size:           1
        .value_kind:     by_value
    .group_segment_fixed_size: 16
    .kernarg_segment_align: 8
    .kernarg_segment_size: 100
    .language:       OpenCL C
    .language_version:
      - 2
      - 0
    .max_flat_workgroup_size: 1024
    .name:           _ZN5aiter43moe_smooth_per_token_scaled_quant_kernel_v2ItDB8_Li128ELi8EEEvPT0_PfPT_S4_PiS7_S7_iiiiiiiiiibb
    .private_segment_fixed_size: 0
    .sgpr_count:     54
    .sgpr_spill_count: 0
    .symbol:         _ZN5aiter43moe_smooth_per_token_scaled_quant_kernel_v2ItDB8_Li128ELi8EEEvPT0_PfPT_S4_PiS7_S7_iiiiiiiiiibb.kd
    .uniform_work_group_size: 1
    .uses_dynamic_stack: false
    .vgpr_count:     30
    .vgpr_spill_count: 0
    .wavefront_size: 32
    .workgroup_processor_mode: 1
  - .args:
      - .actual_access:  write_only
        .address_space:  global
        .offset:         0
        .size:           8
        .value_kind:     global_buffer
      - .actual_access:  write_only
        .address_space:  global
        .offset:         8
        .size:           8
        .value_kind:     global_buffer
      - .actual_access:  read_only
        .address_space:  global
        .offset:         16
        .size:           8
        .value_kind:     global_buffer
      - .actual_access:  read_only
        .address_space:  global
        .offset:         24
        .size:           8
        .value_kind:     global_buffer
      - .actual_access:  read_only
        .address_space:  global
        .offset:         32
        .size:           8
        .value_kind:     global_buffer
      - .actual_access:  read_only
        .address_space:  global
        .offset:         40
        .size:           8
        .value_kind:     global_buffer
      - .actual_access:  read_only
        .address_space:  global
        .offset:         48
        .size:           8
        .value_kind:     global_buffer
      - .offset:         56
        .size:           4
        .value_kind:     by_value
      - .offset:         60
        .size:           4
        .value_kind:     by_value
      - .offset:         64
        .size:           4
        .value_kind:     by_value
      - .offset:         68
        .size:           4
        .value_kind:     by_value
      - .offset:         72
        .size:           4
        .value_kind:     by_value
      - .offset:         76
        .size:           4
        .value_kind:     by_value
      - .offset:         80
        .size:           4
        .value_kind:     by_value
      - .offset:         84
        .size:           4
        .value_kind:     by_value
      - .offset:         88
        .size:           4
        .value_kind:     by_value
      - .offset:         92
        .size:           4
        .value_kind:     by_value
      - .offset:         96
        .size:           1
        .value_kind:     by_value
      - .offset:         97
        .size:           1
        .value_kind:     by_value
    .group_segment_fixed_size: 32
    .kernarg_segment_align: 8
    .kernarg_segment_size: 100
    .language:       OpenCL C
    .language_version:
      - 2
      - 0
    .max_flat_workgroup_size: 1024
    .name:           _ZN5aiter43moe_smooth_per_token_scaled_quant_kernel_v2IDF16_DB8_Li256ELi8EEEvPT0_PfPT_S4_PiS7_S7_iiiiiiiiiibb
    .private_segment_fixed_size: 0
    .sgpr_count:     54
    .sgpr_spill_count: 0
    .symbol:         _ZN5aiter43moe_smooth_per_token_scaled_quant_kernel_v2IDF16_DB8_Li256ELi8EEEvPT0_PfPT_S4_PiS7_S7_iiiiiiiiiibb.kd
    .uniform_work_group_size: 1
    .uses_dynamic_stack: false
    .vgpr_count:     30
    .vgpr_spill_count: 0
    .wavefront_size: 32
    .workgroup_processor_mode: 1
  - .args:
      - .actual_access:  write_only
        .address_space:  global
        .offset:         0
        .size:           8
        .value_kind:     global_buffer
      - .actual_access:  write_only
        .address_space:  global
        .offset:         8
        .size:           8
        .value_kind:     global_buffer
      - .actual_access:  read_only
        .address_space:  global
        .offset:         16
        .size:           8
        .value_kind:     global_buffer
      - .actual_access:  read_only
        .address_space:  global
        .offset:         24
        .size:           8
        .value_kind:     global_buffer
      - .actual_access:  read_only
        .address_space:  global
        .offset:         32
        .size:           8
        .value_kind:     global_buffer
      - .actual_access:  read_only
        .address_space:  global
        .offset:         40
        .size:           8
        .value_kind:     global_buffer
      - .actual_access:  read_only
        .address_space:  global
        .offset:         48
        .size:           8
        .value_kind:     global_buffer
      - .offset:         56
        .size:           4
        .value_kind:     by_value
      - .offset:         60
        .size:           4
        .value_kind:     by_value
      - .offset:         64
        .size:           4
        .value_kind:     by_value
      - .offset:         68
        .size:           4
        .value_kind:     by_value
      - .offset:         72
        .size:           4
        .value_kind:     by_value
      - .offset:         76
        .size:           4
        .value_kind:     by_value
      - .offset:         80
        .size:           4
        .value_kind:     by_value
      - .offset:         84
        .size:           4
        .value_kind:     by_value
      - .offset:         88
        .size:           4
        .value_kind:     by_value
      - .offset:         92
        .size:           4
        .value_kind:     by_value
      - .offset:         96
        .size:           1
        .value_kind:     by_value
      - .offset:         97
        .size:           1
        .value_kind:     by_value
    .group_segment_fixed_size: 32
    .kernarg_segment_align: 8
    .kernarg_segment_size: 100
    .language:       OpenCL C
    .language_version:
      - 2
      - 0
    .max_flat_workgroup_size: 1024
    .name:           _ZN5aiter43moe_smooth_per_token_scaled_quant_kernel_v2ItDB8_Li256ELi8EEEvPT0_PfPT_S4_PiS7_S7_iiiiiiiiiibb
    .private_segment_fixed_size: 0
    .sgpr_count:     54
    .sgpr_spill_count: 0
    .symbol:         _ZN5aiter43moe_smooth_per_token_scaled_quant_kernel_v2ItDB8_Li256ELi8EEEvPT0_PfPT_S4_PiS7_S7_iiiiiiiiiibb.kd
    .uniform_work_group_size: 1
    .uses_dynamic_stack: false
    .vgpr_count:     30
    .vgpr_spill_count: 0
    .wavefront_size: 32
    .workgroup_processor_mode: 1
  - .args:
      - .actual_access:  write_only
        .address_space:  global
        .offset:         0
        .size:           8
        .value_kind:     global_buffer
      - .actual_access:  write_only
        .address_space:  global
        .offset:         8
        .size:           8
        .value_kind:     global_buffer
      - .actual_access:  read_only
        .address_space:  global
        .offset:         16
        .size:           8
        .value_kind:     global_buffer
      - .actual_access:  read_only
        .address_space:  global
        .offset:         24
        .size:           8
        .value_kind:     global_buffer
      - .actual_access:  read_only
        .address_space:  global
        .offset:         32
        .size:           8
        .value_kind:     global_buffer
      - .actual_access:  read_only
        .address_space:  global
        .offset:         40
        .size:           8
        .value_kind:     global_buffer
      - .actual_access:  read_only
        .address_space:  global
        .offset:         48
        .size:           8
        .value_kind:     global_buffer
      - .offset:         56
        .size:           4
        .value_kind:     by_value
      - .offset:         60
        .size:           4
        .value_kind:     by_value
      - .offset:         64
        .size:           4
        .value_kind:     by_value
      - .offset:         68
        .size:           4
        .value_kind:     by_value
      - .offset:         72
        .size:           4
        .value_kind:     by_value
      - .offset:         76
        .size:           4
        .value_kind:     by_value
      - .offset:         80
        .size:           4
        .value_kind:     by_value
      - .offset:         84
        .size:           4
        .value_kind:     by_value
      - .offset:         88
        .size:           4
        .value_kind:     by_value
      - .offset:         92
        .size:           4
        .value_kind:     by_value
      - .offset:         96
        .size:           1
        .value_kind:     by_value
      - .offset:         97
        .size:           1
        .value_kind:     by_value
    .group_segment_fixed_size: 32
    .kernarg_segment_align: 8
    .kernarg_segment_size: 100
    .language:       OpenCL C
    .language_version:
      - 2
      - 0
    .max_flat_workgroup_size: 1024
    .name:           _ZN5aiter43moe_smooth_per_token_scaled_quant_kernel_v2IDF16_DB8_Li256ELi16EEEvPT0_PfPT_S4_PiS7_S7_iiiiiiiiiibb
    .private_segment_fixed_size: 0
    .sgpr_count:     54
    .sgpr_spill_count: 0
    .symbol:         _ZN5aiter43moe_smooth_per_token_scaled_quant_kernel_v2IDF16_DB8_Li256ELi16EEEvPT0_PfPT_S4_PiS7_S7_iiiiiiiiiibb.kd
    .uniform_work_group_size: 1
    .uses_dynamic_stack: false
    .vgpr_count:     46
    .vgpr_spill_count: 0
    .wavefront_size: 32
    .workgroup_processor_mode: 1
  - .args:
      - .actual_access:  write_only
        .address_space:  global
        .offset:         0
        .size:           8
        .value_kind:     global_buffer
      - .actual_access:  write_only
        .address_space:  global
        .offset:         8
        .size:           8
        .value_kind:     global_buffer
      - .actual_access:  read_only
        .address_space:  global
        .offset:         16
        .size:           8
        .value_kind:     global_buffer
      - .actual_access:  read_only
        .address_space:  global
        .offset:         24
        .size:           8
        .value_kind:     global_buffer
      - .actual_access:  read_only
        .address_space:  global
        .offset:         32
        .size:           8
        .value_kind:     global_buffer
      - .actual_access:  read_only
        .address_space:  global
        .offset:         40
        .size:           8
        .value_kind:     global_buffer
      - .actual_access:  read_only
        .address_space:  global
        .offset:         48
        .size:           8
        .value_kind:     global_buffer
      - .offset:         56
        .size:           4
        .value_kind:     by_value
      - .offset:         60
        .size:           4
        .value_kind:     by_value
      - .offset:         64
        .size:           4
        .value_kind:     by_value
      - .offset:         68
        .size:           4
        .value_kind:     by_value
      - .offset:         72
        .size:           4
        .value_kind:     by_value
      - .offset:         76
        .size:           4
        .value_kind:     by_value
      - .offset:         80
        .size:           4
        .value_kind:     by_value
      - .offset:         84
        .size:           4
        .value_kind:     by_value
      - .offset:         88
        .size:           4
        .value_kind:     by_value
      - .offset:         92
        .size:           4
        .value_kind:     by_value
      - .offset:         96
        .size:           1
        .value_kind:     by_value
      - .offset:         97
        .size:           1
        .value_kind:     by_value
    .group_segment_fixed_size: 32
    .kernarg_segment_align: 8
    .kernarg_segment_size: 100
    .language:       OpenCL C
    .language_version:
      - 2
      - 0
    .max_flat_workgroup_size: 1024
    .name:           _ZN5aiter43moe_smooth_per_token_scaled_quant_kernel_v2ItDB8_Li256ELi16EEEvPT0_PfPT_S4_PiS7_S7_iiiiiiiiiibb
    .private_segment_fixed_size: 0
    .sgpr_count:     54
    .sgpr_spill_count: 0
    .symbol:         _ZN5aiter43moe_smooth_per_token_scaled_quant_kernel_v2ItDB8_Li256ELi16EEEvPT0_PfPT_S4_PiS7_S7_iiiiiiiiiibb.kd
    .uniform_work_group_size: 1
    .uses_dynamic_stack: false
    .vgpr_count:     47
    .vgpr_spill_count: 0
    .wavefront_size: 32
    .workgroup_processor_mode: 1
  - .args:
      - .actual_access:  write_only
        .address_space:  global
        .offset:         0
        .size:           8
        .value_kind:     global_buffer
      - .actual_access:  write_only
        .address_space:  global
        .offset:         8
        .size:           8
        .value_kind:     global_buffer
      - .actual_access:  read_only
        .address_space:  global
        .offset:         16
        .size:           8
        .value_kind:     global_buffer
      - .actual_access:  read_only
        .address_space:  global
        .offset:         24
        .size:           8
        .value_kind:     global_buffer
      - .actual_access:  read_only
        .address_space:  global
        .offset:         32
        .size:           8
        .value_kind:     global_buffer
      - .actual_access:  read_only
        .address_space:  global
        .offset:         40
        .size:           8
        .value_kind:     global_buffer
      - .actual_access:  read_only
        .address_space:  global
        .offset:         48
        .size:           8
        .value_kind:     global_buffer
      - .offset:         56
        .size:           4
        .value_kind:     by_value
      - .offset:         60
        .size:           4
        .value_kind:     by_value
      - .offset:         64
        .size:           4
        .value_kind:     by_value
      - .offset:         68
        .size:           4
        .value_kind:     by_value
      - .offset:         72
        .size:           4
        .value_kind:     by_value
      - .offset:         76
        .size:           4
        .value_kind:     by_value
      - .offset:         80
        .size:           4
        .value_kind:     by_value
      - .offset:         84
        .size:           4
        .value_kind:     by_value
      - .offset:         88
        .size:           4
        .value_kind:     by_value
      - .offset:         92
        .size:           4
        .value_kind:     by_value
      - .offset:         96
        .size:           1
        .value_kind:     by_value
      - .offset:         97
        .size:           1
        .value_kind:     by_value
    .group_segment_fixed_size: 64
    .kernarg_segment_align: 8
    .kernarg_segment_size: 100
    .language:       OpenCL C
    .language_version:
      - 2
      - 0
    .max_flat_workgroup_size: 1024
    .name:           _ZN5aiter43moe_smooth_per_token_scaled_quant_kernel_v2IDF16_DB8_Li512ELi16EEEvPT0_PfPT_S4_PiS7_S7_iiiiiiiiiibb
    .private_segment_fixed_size: 0
    .sgpr_count:     54
    .sgpr_spill_count: 0
    .symbol:         _ZN5aiter43moe_smooth_per_token_scaled_quant_kernel_v2IDF16_DB8_Li512ELi16EEEvPT0_PfPT_S4_PiS7_S7_iiiiiiiiiibb.kd
    .uniform_work_group_size: 1
    .uses_dynamic_stack: false
    .vgpr_count:     46
    .vgpr_spill_count: 0
    .wavefront_size: 32
    .workgroup_processor_mode: 1
  - .args:
      - .actual_access:  write_only
        .address_space:  global
        .offset:         0
        .size:           8
        .value_kind:     global_buffer
      - .actual_access:  write_only
        .address_space:  global
        .offset:         8
        .size:           8
        .value_kind:     global_buffer
      - .actual_access:  read_only
        .address_space:  global
        .offset:         16
        .size:           8
        .value_kind:     global_buffer
      - .actual_access:  read_only
        .address_space:  global
        .offset:         24
        .size:           8
        .value_kind:     global_buffer
      - .actual_access:  read_only
        .address_space:  global
        .offset:         32
        .size:           8
        .value_kind:     global_buffer
      - .actual_access:  read_only
        .address_space:  global
        .offset:         40
        .size:           8
        .value_kind:     global_buffer
      - .actual_access:  read_only
        .address_space:  global
        .offset:         48
        .size:           8
        .value_kind:     global_buffer
      - .offset:         56
        .size:           4
        .value_kind:     by_value
      - .offset:         60
        .size:           4
        .value_kind:     by_value
      - .offset:         64
        .size:           4
        .value_kind:     by_value
      - .offset:         68
        .size:           4
        .value_kind:     by_value
      - .offset:         72
        .size:           4
        .value_kind:     by_value
      - .offset:         76
        .size:           4
        .value_kind:     by_value
      - .offset:         80
        .size:           4
        .value_kind:     by_value
      - .offset:         84
        .size:           4
        .value_kind:     by_value
      - .offset:         88
        .size:           4
        .value_kind:     by_value
      - .offset:         92
        .size:           4
        .value_kind:     by_value
      - .offset:         96
        .size:           1
        .value_kind:     by_value
      - .offset:         97
        .size:           1
        .value_kind:     by_value
    .group_segment_fixed_size: 64
    .kernarg_segment_align: 8
    .kernarg_segment_size: 100
    .language:       OpenCL C
    .language_version:
      - 2
      - 0
    .max_flat_workgroup_size: 1024
    .name:           _ZN5aiter43moe_smooth_per_token_scaled_quant_kernel_v2ItDB8_Li512ELi16EEEvPT0_PfPT_S4_PiS7_S7_iiiiiiiiiibb
    .private_segment_fixed_size: 0
    .sgpr_count:     54
    .sgpr_spill_count: 0
    .symbol:         _ZN5aiter43moe_smooth_per_token_scaled_quant_kernel_v2ItDB8_Li512ELi16EEEvPT0_PfPT_S4_PiS7_S7_iiiiiiiiiibb.kd
    .uniform_work_group_size: 1
    .uses_dynamic_stack: false
    .vgpr_count:     47
    .vgpr_spill_count: 0
    .wavefront_size: 32
    .workgroup_processor_mode: 1
  - .args:
      - .actual_access:  write_only
        .address_space:  global
        .offset:         0
        .size:           8
        .value_kind:     global_buffer
      - .actual_access:  write_only
        .address_space:  global
        .offset:         8
        .size:           8
        .value_kind:     global_buffer
      - .actual_access:  read_only
        .address_space:  global
        .offset:         16
        .size:           8
        .value_kind:     global_buffer
      - .actual_access:  read_only
        .address_space:  global
        .offset:         24
        .size:           8
        .value_kind:     global_buffer
      - .actual_access:  read_only
        .address_space:  global
        .offset:         32
        .size:           8
        .value_kind:     global_buffer
      - .actual_access:  read_only
        .address_space:  global
        .offset:         40
        .size:           8
        .value_kind:     global_buffer
      - .actual_access:  read_only
        .address_space:  global
        .offset:         48
        .size:           8
        .value_kind:     global_buffer
      - .offset:         56
        .size:           4
        .value_kind:     by_value
      - .offset:         60
        .size:           4
        .value_kind:     by_value
      - .offset:         64
        .size:           4
        .value_kind:     by_value
      - .offset:         68
        .size:           4
        .value_kind:     by_value
      - .offset:         72
        .size:           4
        .value_kind:     by_value
      - .offset:         76
        .size:           4
        .value_kind:     by_value
      - .offset:         80
        .size:           4
        .value_kind:     by_value
      - .offset:         84
        .size:           4
        .value_kind:     by_value
      - .offset:         88
        .size:           4
        .value_kind:     by_value
      - .offset:         92
        .size:           4
        .value_kind:     by_value
      - .offset:         96
        .size:           1
        .value_kind:     by_value
      - .offset:         97
        .size:           1
        .value_kind:     by_value
    .group_segment_fixed_size: 16
    .kernarg_segment_align: 8
    .kernarg_segment_size: 100
    .language:       OpenCL C
    .language_version:
      - 2
      - 0
    .max_flat_workgroup_size: 1024
    .name:           _ZN5aiter43moe_smooth_per_token_scaled_quant_kernel_v2IDF16_aLi128ELi8EEEvPT0_PfPT_S3_PiS6_S6_iiiiiiiiiibb
    .private_segment_fixed_size: 0
    .sgpr_count:     54
    .sgpr_spill_count: 0
    .symbol:         _ZN5aiter43moe_smooth_per_token_scaled_quant_kernel_v2IDF16_aLi128ELi8EEEvPT0_PfPT_S3_PiS6_S6_iiiiiiiiiibb.kd
    .uniform_work_group_size: 1
    .uses_dynamic_stack: false
    .vgpr_count:     29
    .vgpr_spill_count: 0
    .wavefront_size: 32
    .workgroup_processor_mode: 1
  - .args:
      - .actual_access:  write_only
        .address_space:  global
        .offset:         0
        .size:           8
        .value_kind:     global_buffer
      - .actual_access:  write_only
        .address_space:  global
        .offset:         8
        .size:           8
        .value_kind:     global_buffer
      - .actual_access:  read_only
        .address_space:  global
        .offset:         16
        .size:           8
        .value_kind:     global_buffer
      - .actual_access:  read_only
        .address_space:  global
        .offset:         24
        .size:           8
        .value_kind:     global_buffer
      - .actual_access:  read_only
        .address_space:  global
        .offset:         32
        .size:           8
        .value_kind:     global_buffer
      - .actual_access:  read_only
        .address_space:  global
        .offset:         40
        .size:           8
        .value_kind:     global_buffer
      - .actual_access:  read_only
        .address_space:  global
        .offset:         48
        .size:           8
        .value_kind:     global_buffer
      - .offset:         56
        .size:           4
        .value_kind:     by_value
      - .offset:         60
        .size:           4
        .value_kind:     by_value
      - .offset:         64
        .size:           4
        .value_kind:     by_value
      - .offset:         68
        .size:           4
        .value_kind:     by_value
      - .offset:         72
        .size:           4
        .value_kind:     by_value
      - .offset:         76
        .size:           4
        .value_kind:     by_value
      - .offset:         80
        .size:           4
        .value_kind:     by_value
      - .offset:         84
        .size:           4
        .value_kind:     by_value
      - .offset:         88
        .size:           4
        .value_kind:     by_value
      - .offset:         92
        .size:           4
        .value_kind:     by_value
      - .offset:         96
        .size:           1
        .value_kind:     by_value
      - .offset:         97
        .size:           1
        .value_kind:     by_value
    .group_segment_fixed_size: 16
    .kernarg_segment_align: 8
    .kernarg_segment_size: 100
    .language:       OpenCL C
    .language_version:
      - 2
      - 0
    .max_flat_workgroup_size: 1024
    .name:           _ZN5aiter43moe_smooth_per_token_scaled_quant_kernel_v2ItaLi128ELi8EEEvPT0_PfPT_S3_PiS6_S6_iiiiiiiiiibb
    .private_segment_fixed_size: 0
    .sgpr_count:     54
    .sgpr_spill_count: 0
    .symbol:         _ZN5aiter43moe_smooth_per_token_scaled_quant_kernel_v2ItaLi128ELi8EEEvPT0_PfPT_S3_PiS6_S6_iiiiiiiiiibb.kd
    .uniform_work_group_size: 1
    .uses_dynamic_stack: false
    .vgpr_count:     27
    .vgpr_spill_count: 0
    .wavefront_size: 32
    .workgroup_processor_mode: 1
  - .args:
      - .actual_access:  write_only
        .address_space:  global
        .offset:         0
        .size:           8
        .value_kind:     global_buffer
      - .actual_access:  write_only
        .address_space:  global
        .offset:         8
        .size:           8
        .value_kind:     global_buffer
      - .actual_access:  read_only
        .address_space:  global
        .offset:         16
        .size:           8
        .value_kind:     global_buffer
      - .actual_access:  read_only
        .address_space:  global
        .offset:         24
        .size:           8
        .value_kind:     global_buffer
      - .actual_access:  read_only
        .address_space:  global
        .offset:         32
        .size:           8
        .value_kind:     global_buffer
      - .actual_access:  read_only
        .address_space:  global
        .offset:         40
        .size:           8
        .value_kind:     global_buffer
      - .actual_access:  read_only
        .address_space:  global
        .offset:         48
        .size:           8
        .value_kind:     global_buffer
      - .offset:         56
        .size:           4
        .value_kind:     by_value
      - .offset:         60
        .size:           4
        .value_kind:     by_value
      - .offset:         64
        .size:           4
        .value_kind:     by_value
      - .offset:         68
        .size:           4
        .value_kind:     by_value
      - .offset:         72
        .size:           4
        .value_kind:     by_value
      - .offset:         76
        .size:           4
        .value_kind:     by_value
      - .offset:         80
        .size:           4
        .value_kind:     by_value
      - .offset:         84
        .size:           4
        .value_kind:     by_value
      - .offset:         88
        .size:           4
        .value_kind:     by_value
      - .offset:         92
        .size:           4
        .value_kind:     by_value
      - .offset:         96
        .size:           1
        .value_kind:     by_value
      - .offset:         97
        .size:           1
        .value_kind:     by_value
    .group_segment_fixed_size: 32
    .kernarg_segment_align: 8
    .kernarg_segment_size: 100
    .language:       OpenCL C
    .language_version:
      - 2
      - 0
    .max_flat_workgroup_size: 1024
    .name:           _ZN5aiter43moe_smooth_per_token_scaled_quant_kernel_v2IDF16_aLi256ELi8EEEvPT0_PfPT_S3_PiS6_S6_iiiiiiiiiibb
    .private_segment_fixed_size: 0
    .sgpr_count:     54
    .sgpr_spill_count: 0
    .symbol:         _ZN5aiter43moe_smooth_per_token_scaled_quant_kernel_v2IDF16_aLi256ELi8EEEvPT0_PfPT_S3_PiS6_S6_iiiiiiiiiibb.kd
    .uniform_work_group_size: 1
    .uses_dynamic_stack: false
    .vgpr_count:     29
    .vgpr_spill_count: 0
    .wavefront_size: 32
    .workgroup_processor_mode: 1
  - .args:
      - .actual_access:  write_only
        .address_space:  global
        .offset:         0
        .size:           8
        .value_kind:     global_buffer
      - .actual_access:  write_only
        .address_space:  global
        .offset:         8
        .size:           8
        .value_kind:     global_buffer
      - .actual_access:  read_only
        .address_space:  global
        .offset:         16
        .size:           8
        .value_kind:     global_buffer
      - .actual_access:  read_only
        .address_space:  global
        .offset:         24
        .size:           8
        .value_kind:     global_buffer
      - .actual_access:  read_only
        .address_space:  global
        .offset:         32
        .size:           8
        .value_kind:     global_buffer
      - .actual_access:  read_only
        .address_space:  global
        .offset:         40
        .size:           8
        .value_kind:     global_buffer
      - .actual_access:  read_only
        .address_space:  global
        .offset:         48
        .size:           8
        .value_kind:     global_buffer
      - .offset:         56
        .size:           4
        .value_kind:     by_value
      - .offset:         60
        .size:           4
        .value_kind:     by_value
      - .offset:         64
        .size:           4
        .value_kind:     by_value
      - .offset:         68
        .size:           4
        .value_kind:     by_value
      - .offset:         72
        .size:           4
        .value_kind:     by_value
      - .offset:         76
        .size:           4
        .value_kind:     by_value
      - .offset:         80
        .size:           4
        .value_kind:     by_value
      - .offset:         84
        .size:           4
        .value_kind:     by_value
      - .offset:         88
        .size:           4
        .value_kind:     by_value
      - .offset:         92
        .size:           4
        .value_kind:     by_value
      - .offset:         96
        .size:           1
        .value_kind:     by_value
      - .offset:         97
        .size:           1
        .value_kind:     by_value
    .group_segment_fixed_size: 32
    .kernarg_segment_align: 8
    .kernarg_segment_size: 100
    .language:       OpenCL C
    .language_version:
      - 2
      - 0
    .max_flat_workgroup_size: 1024
    .name:           _ZN5aiter43moe_smooth_per_token_scaled_quant_kernel_v2ItaLi256ELi8EEEvPT0_PfPT_S3_PiS6_S6_iiiiiiiiiibb
    .private_segment_fixed_size: 0
    .sgpr_count:     54
    .sgpr_spill_count: 0
    .symbol:         _ZN5aiter43moe_smooth_per_token_scaled_quant_kernel_v2ItaLi256ELi8EEEvPT0_PfPT_S3_PiS6_S6_iiiiiiiiiibb.kd
    .uniform_work_group_size: 1
    .uses_dynamic_stack: false
    .vgpr_count:     27
    .vgpr_spill_count: 0
    .wavefront_size: 32
    .workgroup_processor_mode: 1
  - .args:
      - .actual_access:  write_only
        .address_space:  global
        .offset:         0
        .size:           8
        .value_kind:     global_buffer
      - .actual_access:  write_only
        .address_space:  global
        .offset:         8
        .size:           8
        .value_kind:     global_buffer
      - .actual_access:  read_only
        .address_space:  global
        .offset:         16
        .size:           8
        .value_kind:     global_buffer
      - .actual_access:  read_only
        .address_space:  global
        .offset:         24
        .size:           8
        .value_kind:     global_buffer
      - .actual_access:  read_only
        .address_space:  global
        .offset:         32
        .size:           8
        .value_kind:     global_buffer
      - .actual_access:  read_only
        .address_space:  global
        .offset:         40
        .size:           8
        .value_kind:     global_buffer
      - .actual_access:  read_only
        .address_space:  global
        .offset:         48
        .size:           8
        .value_kind:     global_buffer
      - .offset:         56
        .size:           4
        .value_kind:     by_value
      - .offset:         60
        .size:           4
        .value_kind:     by_value
      - .offset:         64
        .size:           4
        .value_kind:     by_value
      - .offset:         68
        .size:           4
        .value_kind:     by_value
      - .offset:         72
        .size:           4
        .value_kind:     by_value
      - .offset:         76
        .size:           4
        .value_kind:     by_value
      - .offset:         80
        .size:           4
        .value_kind:     by_value
      - .offset:         84
        .size:           4
        .value_kind:     by_value
      - .offset:         88
        .size:           4
        .value_kind:     by_value
      - .offset:         92
        .size:           4
        .value_kind:     by_value
      - .offset:         96
        .size:           1
        .value_kind:     by_value
      - .offset:         97
        .size:           1
        .value_kind:     by_value
    .group_segment_fixed_size: 32
    .kernarg_segment_align: 8
    .kernarg_segment_size: 100
    .language:       OpenCL C
    .language_version:
      - 2
      - 0
    .max_flat_workgroup_size: 1024
    .name:           _ZN5aiter43moe_smooth_per_token_scaled_quant_kernel_v2IDF16_aLi256ELi16EEEvPT0_PfPT_S3_PiS6_S6_iiiiiiiiiibb
    .private_segment_fixed_size: 0
    .sgpr_count:     54
    .sgpr_spill_count: 0
    .symbol:         _ZN5aiter43moe_smooth_per_token_scaled_quant_kernel_v2IDF16_aLi256ELi16EEEvPT0_PfPT_S3_PiS6_S6_iiiiiiiiiibb.kd
    .uniform_work_group_size: 1
    .uses_dynamic_stack: false
    .vgpr_count:     43
    .vgpr_spill_count: 0
    .wavefront_size: 32
    .workgroup_processor_mode: 1
  - .args:
      - .actual_access:  write_only
        .address_space:  global
        .offset:         0
        .size:           8
        .value_kind:     global_buffer
      - .actual_access:  write_only
        .address_space:  global
        .offset:         8
        .size:           8
        .value_kind:     global_buffer
      - .actual_access:  read_only
        .address_space:  global
        .offset:         16
        .size:           8
        .value_kind:     global_buffer
      - .actual_access:  read_only
        .address_space:  global
        .offset:         24
        .size:           8
        .value_kind:     global_buffer
      - .actual_access:  read_only
        .address_space:  global
        .offset:         32
        .size:           8
        .value_kind:     global_buffer
      - .actual_access:  read_only
        .address_space:  global
        .offset:         40
        .size:           8
        .value_kind:     global_buffer
      - .actual_access:  read_only
        .address_space:  global
        .offset:         48
        .size:           8
        .value_kind:     global_buffer
      - .offset:         56
        .size:           4
        .value_kind:     by_value
      - .offset:         60
        .size:           4
        .value_kind:     by_value
      - .offset:         64
        .size:           4
        .value_kind:     by_value
      - .offset:         68
        .size:           4
        .value_kind:     by_value
      - .offset:         72
        .size:           4
        .value_kind:     by_value
      - .offset:         76
        .size:           4
        .value_kind:     by_value
      - .offset:         80
        .size:           4
        .value_kind:     by_value
      - .offset:         84
        .size:           4
        .value_kind:     by_value
      - .offset:         88
        .size:           4
        .value_kind:     by_value
      - .offset:         92
        .size:           4
        .value_kind:     by_value
      - .offset:         96
        .size:           1
        .value_kind:     by_value
      - .offset:         97
        .size:           1
        .value_kind:     by_value
    .group_segment_fixed_size: 32
    .kernarg_segment_align: 8
    .kernarg_segment_size: 100
    .language:       OpenCL C
    .language_version:
      - 2
      - 0
    .max_flat_workgroup_size: 1024
    .name:           _ZN5aiter43moe_smooth_per_token_scaled_quant_kernel_v2ItaLi256ELi16EEEvPT0_PfPT_S3_PiS6_S6_iiiiiiiiiibb
    .private_segment_fixed_size: 0
    .sgpr_count:     54
    .sgpr_spill_count: 0
    .symbol:         _ZN5aiter43moe_smooth_per_token_scaled_quant_kernel_v2ItaLi256ELi16EEEvPT0_PfPT_S3_PiS6_S6_iiiiiiiiiibb.kd
    .uniform_work_group_size: 1
    .uses_dynamic_stack: false
    .vgpr_count:     46
    .vgpr_spill_count: 0
    .wavefront_size: 32
    .workgroup_processor_mode: 1
  - .args:
      - .actual_access:  write_only
        .address_space:  global
        .offset:         0
        .size:           8
        .value_kind:     global_buffer
      - .actual_access:  write_only
        .address_space:  global
        .offset:         8
        .size:           8
        .value_kind:     global_buffer
      - .actual_access:  read_only
        .address_space:  global
        .offset:         16
        .size:           8
        .value_kind:     global_buffer
      - .actual_access:  read_only
        .address_space:  global
        .offset:         24
        .size:           8
        .value_kind:     global_buffer
      - .actual_access:  read_only
        .address_space:  global
        .offset:         32
        .size:           8
        .value_kind:     global_buffer
      - .actual_access:  read_only
        .address_space:  global
        .offset:         40
        .size:           8
        .value_kind:     global_buffer
      - .actual_access:  read_only
        .address_space:  global
        .offset:         48
        .size:           8
        .value_kind:     global_buffer
      - .offset:         56
        .size:           4
        .value_kind:     by_value
      - .offset:         60
        .size:           4
        .value_kind:     by_value
      - .offset:         64
        .size:           4
        .value_kind:     by_value
      - .offset:         68
        .size:           4
        .value_kind:     by_value
      - .offset:         72
        .size:           4
        .value_kind:     by_value
      - .offset:         76
        .size:           4
        .value_kind:     by_value
      - .offset:         80
        .size:           4
        .value_kind:     by_value
      - .offset:         84
        .size:           4
        .value_kind:     by_value
      - .offset:         88
        .size:           4
        .value_kind:     by_value
      - .offset:         92
        .size:           4
        .value_kind:     by_value
      - .offset:         96
        .size:           1
        .value_kind:     by_value
      - .offset:         97
        .size:           1
        .value_kind:     by_value
    .group_segment_fixed_size: 64
    .kernarg_segment_align: 8
    .kernarg_segment_size: 100
    .language:       OpenCL C
    .language_version:
      - 2
      - 0
    .max_flat_workgroup_size: 1024
    .name:           _ZN5aiter43moe_smooth_per_token_scaled_quant_kernel_v2IDF16_aLi512ELi16EEEvPT0_PfPT_S3_PiS6_S6_iiiiiiiiiibb
    .private_segment_fixed_size: 0
    .sgpr_count:     54
    .sgpr_spill_count: 0
    .symbol:         _ZN5aiter43moe_smooth_per_token_scaled_quant_kernel_v2IDF16_aLi512ELi16EEEvPT0_PfPT_S3_PiS6_S6_iiiiiiiiiibb.kd
    .uniform_work_group_size: 1
    .uses_dynamic_stack: false
    .vgpr_count:     43
    .vgpr_spill_count: 0
    .wavefront_size: 32
    .workgroup_processor_mode: 1
  - .args:
      - .actual_access:  write_only
        .address_space:  global
        .offset:         0
        .size:           8
        .value_kind:     global_buffer
      - .actual_access:  write_only
        .address_space:  global
        .offset:         8
        .size:           8
        .value_kind:     global_buffer
      - .actual_access:  read_only
        .address_space:  global
        .offset:         16
        .size:           8
        .value_kind:     global_buffer
      - .actual_access:  read_only
        .address_space:  global
        .offset:         24
        .size:           8
        .value_kind:     global_buffer
      - .actual_access:  read_only
        .address_space:  global
        .offset:         32
        .size:           8
        .value_kind:     global_buffer
      - .actual_access:  read_only
        .address_space:  global
        .offset:         40
        .size:           8
        .value_kind:     global_buffer
      - .actual_access:  read_only
        .address_space:  global
        .offset:         48
        .size:           8
        .value_kind:     global_buffer
      - .offset:         56
        .size:           4
        .value_kind:     by_value
      - .offset:         60
        .size:           4
        .value_kind:     by_value
      - .offset:         64
        .size:           4
        .value_kind:     by_value
      - .offset:         68
        .size:           4
        .value_kind:     by_value
      - .offset:         72
        .size:           4
        .value_kind:     by_value
      - .offset:         76
        .size:           4
        .value_kind:     by_value
      - .offset:         80
        .size:           4
        .value_kind:     by_value
      - .offset:         84
        .size:           4
        .value_kind:     by_value
      - .offset:         88
        .size:           4
        .value_kind:     by_value
      - .offset:         92
        .size:           4
        .value_kind:     by_value
      - .offset:         96
        .size:           1
        .value_kind:     by_value
      - .offset:         97
        .size:           1
        .value_kind:     by_value
    .group_segment_fixed_size: 64
    .kernarg_segment_align: 8
    .kernarg_segment_size: 100
    .language:       OpenCL C
    .language_version:
      - 2
      - 0
    .max_flat_workgroup_size: 1024
    .name:           _ZN5aiter43moe_smooth_per_token_scaled_quant_kernel_v2ItaLi512ELi16EEEvPT0_PfPT_S3_PiS6_S6_iiiiiiiiiibb
    .private_segment_fixed_size: 0
    .sgpr_count:     54
    .sgpr_spill_count: 0
    .symbol:         _ZN5aiter43moe_smooth_per_token_scaled_quant_kernel_v2ItaLi512ELi16EEEvPT0_PfPT_S3_PiS6_S6_iiiiiiiiiibb.kd
    .uniform_work_group_size: 1
    .uses_dynamic_stack: false
    .vgpr_count:     46
    .vgpr_spill_count: 0
    .wavefront_size: 32
    .workgroup_processor_mode: 1
  - .args:
      - .actual_access:  write_only
        .address_space:  global
        .offset:         0
        .size:           8
        .value_kind:     global_buffer
      - .actual_access:  write_only
        .address_space:  global
        .offset:         8
        .size:           8
        .value_kind:     global_buffer
      - .actual_access:  read_only
        .address_space:  global
        .offset:         16
        .size:           8
        .value_kind:     global_buffer
      - .actual_access:  read_only
        .address_space:  global
        .offset:         24
        .size:           8
        .value_kind:     global_buffer
      - .actual_access:  read_only
        .address_space:  global
        .offset:         32
        .size:           8
        .value_kind:     global_buffer
      - .offset:         40
        .size:           4
        .value_kind:     by_value
      - .offset:         44
        .size:           4
        .value_kind:     by_value
      - .offset:         48
        .size:           4
        .value_kind:     by_value
      - .offset:         52
        .size:           4
        .value_kind:     by_value
      - .offset:         56
        .size:           4
        .value_kind:     by_value
      - .offset:         60
        .size:           4
        .value_kind:     by_value
      - .offset:         64
        .size:           4
        .value_kind:     by_value
      - .offset:         68
        .size:           4
        .value_kind:     by_value
      - .offset:         72
        .size:           4
        .value_kind:     by_value
    .group_segment_fixed_size: 0
    .kernarg_segment_align: 8
    .kernarg_segment_size: 76
    .language:       OpenCL C
    .language_version:
      - 2
      - 0
    .max_flat_workgroup_size: 1024
    .name:           _ZN5aiter30fused_mx_quant_moe_sort_kernelIDF16_DB8_Li64ELi8EEEvPT0_PhPKT_PKiS9_iiiiiiiii
    .private_segment_fixed_size: 0
    .sgpr_count:     45
    .sgpr_spill_count: 0
    .symbol:         _ZN5aiter30fused_mx_quant_moe_sort_kernelIDF16_DB8_Li64ELi8EEEvPT0_PhPKT_PKiS9_iiiiiiiii.kd
    .uniform_work_group_size: 1
    .uses_dynamic_stack: false
    .vgpr_count:     20
    .vgpr_spill_count: 0
    .wavefront_size: 32
    .workgroup_processor_mode: 1
  - .args:
      - .actual_access:  write_only
        .address_space:  global
        .offset:         0
        .size:           8
        .value_kind:     global_buffer
      - .actual_access:  write_only
        .address_space:  global
        .offset:         8
        .size:           8
        .value_kind:     global_buffer
      - .actual_access:  read_only
        .address_space:  global
        .offset:         16
        .size:           8
        .value_kind:     global_buffer
      - .actual_access:  read_only
        .address_space:  global
        .offset:         24
        .size:           8
        .value_kind:     global_buffer
      - .actual_access:  read_only
        .address_space:  global
        .offset:         32
        .size:           8
        .value_kind:     global_buffer
      - .offset:         40
        .size:           4
        .value_kind:     by_value
      - .offset:         44
        .size:           4
        .value_kind:     by_value
      - .offset:         48
        .size:           4
        .value_kind:     by_value
      - .offset:         52
        .size:           4
        .value_kind:     by_value
      - .offset:         56
        .size:           4
        .value_kind:     by_value
      - .offset:         60
        .size:           4
        .value_kind:     by_value
      - .offset:         64
        .size:           4
        .value_kind:     by_value
      - .offset:         68
        .size:           4
        .value_kind:     by_value
      - .offset:         72
        .size:           4
        .value_kind:     by_value
    .group_segment_fixed_size: 0
    .kernarg_segment_align: 8
    .kernarg_segment_size: 76
    .language:       OpenCL C
    .language_version:
      - 2
      - 0
    .max_flat_workgroup_size: 1024
    .name:           _ZN5aiter30fused_mx_quant_moe_sort_kernelItDB8_Li64ELi8EEEvPT0_PhPKT_PKiS9_iiiiiiiii
    .private_segment_fixed_size: 0
    .sgpr_count:     45
    .sgpr_spill_count: 0
    .symbol:         _ZN5aiter30fused_mx_quant_moe_sort_kernelItDB8_Li64ELi8EEEvPT0_PhPKT_PKiS9_iiiiiiiii.kd
    .uniform_work_group_size: 1
    .uses_dynamic_stack: false
    .vgpr_count:     20
    .vgpr_spill_count: 0
    .wavefront_size: 32
    .workgroup_processor_mode: 1
  - .args:
      - .actual_access:  write_only
        .address_space:  global
        .offset:         0
        .size:           8
        .value_kind:     global_buffer
      - .actual_access:  write_only
        .address_space:  global
        .offset:         8
        .size:           8
        .value_kind:     global_buffer
      - .actual_access:  read_only
        .address_space:  global
        .offset:         16
        .size:           8
        .value_kind:     global_buffer
      - .actual_access:  read_only
        .address_space:  global
        .offset:         24
        .size:           8
        .value_kind:     global_buffer
      - .actual_access:  read_only
        .address_space:  global
        .offset:         32
        .size:           8
        .value_kind:     global_buffer
      - .offset:         40
        .size:           4
        .value_kind:     by_value
      - .offset:         44
        .size:           4
        .value_kind:     by_value
      - .offset:         48
        .size:           4
        .value_kind:     by_value
      - .offset:         52
        .size:           4
        .value_kind:     by_value
      - .offset:         56
        .size:           4
        .value_kind:     by_value
      - .offset:         60
        .size:           4
        .value_kind:     by_value
      - .offset:         64
        .size:           4
        .value_kind:     by_value
      - .offset:         68
        .size:           4
        .value_kind:     by_value
      - .offset:         72
        .size:           4
        .value_kind:     by_value
    .group_segment_fixed_size: 0
    .kernarg_segment_align: 8
    .kernarg_segment_size: 76
    .language:       OpenCL C
    .language_version:
      - 2
      - 0
    .max_flat_workgroup_size: 1024
    .name:           _ZN5aiter30fused_mx_quant_moe_sort_kernelIDF16_DB8_Li128ELi8EEEvPT0_PhPKT_PKiS9_iiiiiiiii
    .private_segment_fixed_size: 0
    .sgpr_count:     45
    .sgpr_spill_count: 0
    .symbol:         _ZN5aiter30fused_mx_quant_moe_sort_kernelIDF16_DB8_Li128ELi8EEEvPT0_PhPKT_PKiS9_iiiiiiiii.kd
    .uniform_work_group_size: 1
    .uses_dynamic_stack: false
    .vgpr_count:     20
    .vgpr_spill_count: 0
    .wavefront_size: 32
    .workgroup_processor_mode: 1
  - .args:
      - .actual_access:  write_only
        .address_space:  global
        .offset:         0
        .size:           8
        .value_kind:     global_buffer
      - .actual_access:  write_only
        .address_space:  global
        .offset:         8
        .size:           8
        .value_kind:     global_buffer
      - .actual_access:  read_only
        .address_space:  global
        .offset:         16
        .size:           8
        .value_kind:     global_buffer
      - .actual_access:  read_only
        .address_space:  global
        .offset:         24
        .size:           8
        .value_kind:     global_buffer
      - .actual_access:  read_only
        .address_space:  global
        .offset:         32
        .size:           8
        .value_kind:     global_buffer
      - .offset:         40
        .size:           4
        .value_kind:     by_value
      - .offset:         44
        .size:           4
        .value_kind:     by_value
      - .offset:         48
        .size:           4
        .value_kind:     by_value
      - .offset:         52
        .size:           4
        .value_kind:     by_value
      - .offset:         56
        .size:           4
        .value_kind:     by_value
      - .offset:         60
        .size:           4
        .value_kind:     by_value
      - .offset:         64
        .size:           4
        .value_kind:     by_value
      - .offset:         68
        .size:           4
        .value_kind:     by_value
      - .offset:         72
        .size:           4
        .value_kind:     by_value
    .group_segment_fixed_size: 0
    .kernarg_segment_align: 8
    .kernarg_segment_size: 76
    .language:       OpenCL C
    .language_version:
      - 2
      - 0
    .max_flat_workgroup_size: 1024
    .name:           _ZN5aiter30fused_mx_quant_moe_sort_kernelItDB8_Li128ELi8EEEvPT0_PhPKT_PKiS9_iiiiiiiii
    .private_segment_fixed_size: 0
    .sgpr_count:     45
    .sgpr_spill_count: 0
    .symbol:         _ZN5aiter30fused_mx_quant_moe_sort_kernelItDB8_Li128ELi8EEEvPT0_PhPKT_PKiS9_iiiiiiiii.kd
    .uniform_work_group_size: 1
    .uses_dynamic_stack: false
    .vgpr_count:     20
    .vgpr_spill_count: 0
    .wavefront_size: 32
    .workgroup_processor_mode: 1
  - .args:
      - .actual_access:  write_only
        .address_space:  global
        .offset:         0
        .size:           8
        .value_kind:     global_buffer
      - .actual_access:  write_only
        .address_space:  global
        .offset:         8
        .size:           8
        .value_kind:     global_buffer
      - .actual_access:  read_only
        .address_space:  global
        .offset:         16
        .size:           8
        .value_kind:     global_buffer
      - .actual_access:  read_only
        .address_space:  global
        .offset:         24
        .size:           8
        .value_kind:     global_buffer
      - .actual_access:  read_only
        .address_space:  global
        .offset:         32
        .size:           8
        .value_kind:     global_buffer
      - .offset:         40
        .size:           4
        .value_kind:     by_value
      - .offset:         44
        .size:           4
        .value_kind:     by_value
      - .offset:         48
        .size:           4
        .value_kind:     by_value
      - .offset:         52
        .size:           4
        .value_kind:     by_value
      - .offset:         56
        .size:           4
        .value_kind:     by_value
      - .offset:         60
        .size:           4
        .value_kind:     by_value
      - .offset:         64
        .size:           4
        .value_kind:     by_value
      - .offset:         68
        .size:           4
        .value_kind:     by_value
      - .offset:         72
        .size:           4
        .value_kind:     by_value
    .group_segment_fixed_size: 0
    .kernarg_segment_align: 8
    .kernarg_segment_size: 76
    .language:       OpenCL C
    .language_version:
      - 2
      - 0
    .max_flat_workgroup_size: 1024
    .name:           _ZN5aiter30fused_mx_quant_moe_sort_kernelIDF16_DB8_Li256ELi8EEEvPT0_PhPKT_PKiS9_iiiiiiiii
    .private_segment_fixed_size: 0
    .sgpr_count:     45
    .sgpr_spill_count: 0
    .symbol:         _ZN5aiter30fused_mx_quant_moe_sort_kernelIDF16_DB8_Li256ELi8EEEvPT0_PhPKT_PKiS9_iiiiiiiii.kd
    .uniform_work_group_size: 1
    .uses_dynamic_stack: false
    .vgpr_count:     20
    .vgpr_spill_count: 0
    .wavefront_size: 32
    .workgroup_processor_mode: 1
  - .args:
      - .actual_access:  write_only
        .address_space:  global
        .offset:         0
        .size:           8
        .value_kind:     global_buffer
      - .actual_access:  write_only
        .address_space:  global
        .offset:         8
        .size:           8
        .value_kind:     global_buffer
      - .actual_access:  read_only
        .address_space:  global
        .offset:         16
        .size:           8
        .value_kind:     global_buffer
      - .actual_access:  read_only
        .address_space:  global
        .offset:         24
        .size:           8
        .value_kind:     global_buffer
      - .actual_access:  read_only
        .address_space:  global
        .offset:         32
        .size:           8
        .value_kind:     global_buffer
      - .offset:         40
        .size:           4
        .value_kind:     by_value
      - .offset:         44
        .size:           4
        .value_kind:     by_value
      - .offset:         48
        .size:           4
        .value_kind:     by_value
      - .offset:         52
        .size:           4
        .value_kind:     by_value
      - .offset:         56
        .size:           4
        .value_kind:     by_value
      - .offset:         60
        .size:           4
        .value_kind:     by_value
      - .offset:         64
        .size:           4
        .value_kind:     by_value
      - .offset:         68
        .size:           4
        .value_kind:     by_value
      - .offset:         72
        .size:           4
        .value_kind:     by_value
    .group_segment_fixed_size: 0
    .kernarg_segment_align: 8
    .kernarg_segment_size: 76
    .language:       OpenCL C
    .language_version:
      - 2
      - 0
    .max_flat_workgroup_size: 1024
    .name:           _ZN5aiter30fused_mx_quant_moe_sort_kernelItDB8_Li256ELi8EEEvPT0_PhPKT_PKiS9_iiiiiiiii
    .private_segment_fixed_size: 0
    .sgpr_count:     45
    .sgpr_spill_count: 0
    .symbol:         _ZN5aiter30fused_mx_quant_moe_sort_kernelItDB8_Li256ELi8EEEvPT0_PhPKT_PKiS9_iiiiiiiii.kd
    .uniform_work_group_size: 1
    .uses_dynamic_stack: false
    .vgpr_count:     20
    .vgpr_spill_count: 0
    .wavefront_size: 32
    .workgroup_processor_mode: 1
  - .args:
      - .actual_access:  write_only
        .address_space:  global
        .offset:         0
        .size:           8
        .value_kind:     global_buffer
      - .actual_access:  write_only
        .address_space:  global
        .offset:         8
        .size:           8
        .value_kind:     global_buffer
      - .actual_access:  read_only
        .address_space:  global
        .offset:         16
        .size:           8
        .value_kind:     global_buffer
      - .actual_access:  read_only
        .address_space:  global
        .offset:         24
        .size:           8
        .value_kind:     global_buffer
      - .actual_access:  read_only
        .address_space:  global
        .offset:         32
        .size:           8
        .value_kind:     global_buffer
      - .offset:         40
        .size:           4
        .value_kind:     by_value
      - .offset:         44
        .size:           4
        .value_kind:     by_value
      - .offset:         48
        .size:           4
        .value_kind:     by_value
      - .offset:         52
        .size:           4
        .value_kind:     by_value
      - .offset:         56
        .size:           4
        .value_kind:     by_value
      - .offset:         60
        .size:           4
        .value_kind:     by_value
      - .offset:         64
        .size:           4
        .value_kind:     by_value
      - .offset:         68
        .size:           4
        .value_kind:     by_value
      - .offset:         72
        .size:           4
        .value_kind:     by_value
    .group_segment_fixed_size: 0
    .kernarg_segment_align: 8
    .kernarg_segment_size: 76
    .language:       OpenCL C
    .language_version:
      - 2
      - 0
    .max_flat_workgroup_size: 1024
    .name:           _ZN5aiter30fused_mx_quant_moe_sort_kernelIDF16_DB8_Li256ELi16EEEvPT0_PhPKT_PKiS9_iiiiiiiii
    .private_segment_fixed_size: 0
    .sgpr_count:     45
    .sgpr_spill_count: 0
    .symbol:         _ZN5aiter30fused_mx_quant_moe_sort_kernelIDF16_DB8_Li256ELi16EEEvPT0_PhPKT_PKiS9_iiiiiiiii.kd
    .uniform_work_group_size: 1
    .uses_dynamic_stack: false
    .vgpr_count:     28
    .vgpr_spill_count: 0
    .wavefront_size: 32
    .workgroup_processor_mode: 1
  - .args:
      - .actual_access:  write_only
        .address_space:  global
        .offset:         0
        .size:           8
        .value_kind:     global_buffer
      - .actual_access:  write_only
        .address_space:  global
        .offset:         8
        .size:           8
        .value_kind:     global_buffer
      - .actual_access:  read_only
        .address_space:  global
        .offset:         16
        .size:           8
        .value_kind:     global_buffer
      - .actual_access:  read_only
        .address_space:  global
        .offset:         24
        .size:           8
        .value_kind:     global_buffer
      - .actual_access:  read_only
        .address_space:  global
        .offset:         32
        .size:           8
        .value_kind:     global_buffer
      - .offset:         40
        .size:           4
        .value_kind:     by_value
      - .offset:         44
        .size:           4
        .value_kind:     by_value
      - .offset:         48
        .size:           4
        .value_kind:     by_value
      - .offset:         52
        .size:           4
        .value_kind:     by_value
      - .offset:         56
        .size:           4
        .value_kind:     by_value
      - .offset:         60
        .size:           4
        .value_kind:     by_value
      - .offset:         64
        .size:           4
        .value_kind:     by_value
      - .offset:         68
        .size:           4
        .value_kind:     by_value
      - .offset:         72
        .size:           4
        .value_kind:     by_value
    .group_segment_fixed_size: 0
    .kernarg_segment_align: 8
    .kernarg_segment_size: 76
    .language:       OpenCL C
    .language_version:
      - 2
      - 0
    .max_flat_workgroup_size: 1024
    .name:           _ZN5aiter30fused_mx_quant_moe_sort_kernelItDB8_Li256ELi16EEEvPT0_PhPKT_PKiS9_iiiiiiiii
    .private_segment_fixed_size: 0
    .sgpr_count:     45
    .sgpr_spill_count: 0
    .symbol:         _ZN5aiter30fused_mx_quant_moe_sort_kernelItDB8_Li256ELi16EEEvPT0_PhPKT_PKiS9_iiiiiiiii.kd
    .uniform_work_group_size: 1
    .uses_dynamic_stack: false
    .vgpr_count:     28
    .vgpr_spill_count: 0
    .wavefront_size: 32
    .workgroup_processor_mode: 1
  - .args:
      - .actual_access:  write_only
        .address_space:  global
        .offset:         0
        .size:           8
        .value_kind:     global_buffer
      - .actual_access:  write_only
        .address_space:  global
        .offset:         8
        .size:           8
        .value_kind:     global_buffer
      - .actual_access:  read_only
        .address_space:  global
        .offset:         16
        .size:           8
        .value_kind:     global_buffer
      - .actual_access:  read_only
        .address_space:  global
        .offset:         24
        .size:           8
        .value_kind:     global_buffer
      - .actual_access:  read_only
        .address_space:  global
        .offset:         32
        .size:           8
        .value_kind:     global_buffer
      - .offset:         40
        .size:           4
        .value_kind:     by_value
      - .offset:         44
        .size:           4
        .value_kind:     by_value
      - .offset:         48
        .size:           4
        .value_kind:     by_value
      - .offset:         52
        .size:           4
        .value_kind:     by_value
      - .offset:         56
        .size:           4
        .value_kind:     by_value
      - .offset:         60
        .size:           4
        .value_kind:     by_value
      - .offset:         64
        .size:           4
        .value_kind:     by_value
      - .offset:         68
        .size:           4
        .value_kind:     by_value
      - .offset:         72
        .size:           4
        .value_kind:     by_value
    .group_segment_fixed_size: 0
    .kernarg_segment_align: 8
    .kernarg_segment_size: 76
    .language:       OpenCL C
    .language_version:
      - 2
      - 0
    .max_flat_workgroup_size: 1024
    .name:           _ZN5aiter30fused_mx_quant_moe_sort_kernelIDF16_DB8_Li256ELi32EEEvPT0_PhPKT_PKiS9_iiiiiiiii
    .private_segment_fixed_size: 0
    .sgpr_count:     45
    .sgpr_spill_count: 0
    .symbol:         _ZN5aiter30fused_mx_quant_moe_sort_kernelIDF16_DB8_Li256ELi32EEEvPT0_PhPKT_PKiS9_iiiiiiiii.kd
    .uniform_work_group_size: 1
    .uses_dynamic_stack: false
    .vgpr_count:     45
    .vgpr_spill_count: 0
    .wavefront_size: 32
    .workgroup_processor_mode: 1
  - .args:
      - .actual_access:  write_only
        .address_space:  global
        .offset:         0
        .size:           8
        .value_kind:     global_buffer
      - .actual_access:  write_only
        .address_space:  global
        .offset:         8
        .size:           8
        .value_kind:     global_buffer
      - .actual_access:  read_only
        .address_space:  global
        .offset:         16
        .size:           8
        .value_kind:     global_buffer
      - .actual_access:  read_only
        .address_space:  global
        .offset:         24
        .size:           8
        .value_kind:     global_buffer
      - .actual_access:  read_only
        .address_space:  global
        .offset:         32
        .size:           8
        .value_kind:     global_buffer
      - .offset:         40
        .size:           4
        .value_kind:     by_value
      - .offset:         44
        .size:           4
        .value_kind:     by_value
      - .offset:         48
        .size:           4
        .value_kind:     by_value
      - .offset:         52
        .size:           4
        .value_kind:     by_value
      - .offset:         56
        .size:           4
        .value_kind:     by_value
      - .offset:         60
        .size:           4
        .value_kind:     by_value
      - .offset:         64
        .size:           4
        .value_kind:     by_value
      - .offset:         68
        .size:           4
        .value_kind:     by_value
      - .offset:         72
        .size:           4
        .value_kind:     by_value
    .group_segment_fixed_size: 0
    .kernarg_segment_align: 8
    .kernarg_segment_size: 76
    .language:       OpenCL C
    .language_version:
      - 2
      - 0
    .max_flat_workgroup_size: 1024
    .name:           _ZN5aiter30fused_mx_quant_moe_sort_kernelItDB8_Li256ELi32EEEvPT0_PhPKT_PKiS9_iiiiiiiii
    .private_segment_fixed_size: 0
    .sgpr_count:     45
    .sgpr_spill_count: 0
    .symbol:         _ZN5aiter30fused_mx_quant_moe_sort_kernelItDB8_Li256ELi32EEEvPT0_PhPKT_PKiS9_iiiiiiiii.kd
    .uniform_work_group_size: 1
    .uses_dynamic_stack: false
    .vgpr_count:     45
    .vgpr_spill_count: 0
    .wavefront_size: 32
    .workgroup_processor_mode: 1
  - .args:
      - .actual_access:  write_only
        .address_space:  global
        .offset:         0
        .size:           8
        .value_kind:     global_buffer
      - .actual_access:  read_only
        .address_space:  global
        .offset:         8
        .size:           8
        .value_kind:     global_buffer
      - .actual_access:  read_only
        .address_space:  global
        .offset:         16
        .size:           8
        .value_kind:     global_buffer
      - .actual_access:  read_only
        .address_space:  global
        .offset:         24
        .size:           8
        .value_kind:     global_buffer
      - .offset:         32
        .size:           4
        .value_kind:     by_value
      - .offset:         36
        .size:           4
        .value_kind:     by_value
      - .offset:         40
        .size:           4
        .value_kind:     by_value
      - .offset:         44
        .size:           4
        .value_kind:     by_value
      - .offset:         48
        .size:           4
        .value_kind:     by_value
    .group_segment_fixed_size: 0
    .kernarg_segment_align: 8
    .kernarg_segment_size: 52
    .language:       OpenCL C
    .language_version:
      - 2
      - 0
    .max_flat_workgroup_size: 1024
    .name:           _ZN5aiter21mxfp4_moe_sort_kernelILi256ELi128ELi4ELi32EEEvPhS1_PKiS3_iiiii
    .private_segment_fixed_size: 0
    .sgpr_count:     32
    .sgpr_spill_count: 0
    .symbol:         _ZN5aiter21mxfp4_moe_sort_kernelILi256ELi128ELi4ELi32EEEvPhS1_PKiS3_iiiii.kd
    .uniform_work_group_size: 1
    .uses_dynamic_stack: false
    .vgpr_count:     9
    .vgpr_spill_count: 0
    .wavefront_size: 32
    .workgroup_processor_mode: 1
  - .args:
      - .actual_access:  write_only
        .address_space:  global
        .offset:         0
        .size:           8
        .value_kind:     global_buffer
      - .actual_access:  read_only
        .address_space:  global
        .offset:         8
        .size:           8
        .value_kind:     global_buffer
      - .actual_access:  read_only
        .address_space:  global
        .offset:         16
        .size:           8
        .value_kind:     global_buffer
      - .actual_access:  read_only
        .address_space:  global
        .offset:         24
        .size:           8
        .value_kind:     global_buffer
      - .offset:         32
        .size:           4
        .value_kind:     by_value
      - .offset:         36
        .size:           4
        .value_kind:     by_value
      - .offset:         40
        .size:           4
        .value_kind:     by_value
      - .offset:         44
        .size:           4
        .value_kind:     by_value
      - .offset:         48
        .size:           4
        .value_kind:     by_value
    .group_segment_fixed_size: 0
    .kernarg_segment_align: 8
    .kernarg_segment_size: 52
    .language:       OpenCL C
    .language_version:
      - 2
      - 0
    .max_flat_workgroup_size: 1024
    .name:           _ZN5aiter21mxfp4_moe_sort_kernelILi256ELi64ELi4ELi32EEEvPhS1_PKiS3_iiiii
    .private_segment_fixed_size: 0
    .sgpr_count:     32
    .sgpr_spill_count: 0
    .symbol:         _ZN5aiter21mxfp4_moe_sort_kernelILi256ELi64ELi4ELi32EEEvPhS1_PKiS3_iiiii.kd
    .uniform_work_group_size: 1
    .uses_dynamic_stack: false
    .vgpr_count:     9
    .vgpr_spill_count: 0
    .wavefront_size: 32
    .workgroup_processor_mode: 1
  - .args:
      - .actual_access:  write_only
        .address_space:  global
        .offset:         0
        .size:           8
        .value_kind:     global_buffer
      - .actual_access:  read_only
        .address_space:  global
        .offset:         8
        .size:           8
        .value_kind:     global_buffer
      - .actual_access:  read_only
        .address_space:  global
        .offset:         16
        .size:           8
        .value_kind:     global_buffer
      - .actual_access:  read_only
        .address_space:  global
        .offset:         24
        .size:           8
        .value_kind:     global_buffer
      - .offset:         32
        .size:           4
        .value_kind:     by_value
      - .offset:         36
        .size:           4
        .value_kind:     by_value
      - .offset:         40
        .size:           4
        .value_kind:     by_value
      - .offset:         44
        .size:           4
        .value_kind:     by_value
      - .offset:         48
        .size:           4
        .value_kind:     by_value
    .group_segment_fixed_size: 0
    .kernarg_segment_align: 8
    .kernarg_segment_size: 52
    .language:       OpenCL C
    .language_version:
      - 2
      - 0
    .max_flat_workgroup_size: 1024
    .name:           _ZN5aiter21mxfp4_moe_sort_kernelILi256ELi32ELi4ELi32EEEvPhS1_PKiS3_iiiii
    .private_segment_fixed_size: 0
    .sgpr_count:     32
    .sgpr_spill_count: 0
    .symbol:         _ZN5aiter21mxfp4_moe_sort_kernelILi256ELi32ELi4ELi32EEEvPhS1_PKiS3_iiiii.kd
    .uniform_work_group_size: 1
    .uses_dynamic_stack: false
    .vgpr_count:     9
    .vgpr_spill_count: 0
    .wavefront_size: 32
    .workgroup_processor_mode: 1
  - .args:
      - .actual_access:  write_only
        .address_space:  global
        .offset:         0
        .size:           8
        .value_kind:     global_buffer
      - .actual_access:  read_only
        .address_space:  global
        .offset:         8
        .size:           8
        .value_kind:     global_buffer
      - .actual_access:  read_only
        .address_space:  global
        .offset:         16
        .size:           8
        .value_kind:     global_buffer
      - .actual_access:  read_only
        .address_space:  global
        .offset:         24
        .size:           8
        .value_kind:     global_buffer
      - .offset:         32
        .size:           4
        .value_kind:     by_value
      - .offset:         36
        .size:           4
        .value_kind:     by_value
      - .offset:         40
        .size:           4
        .value_kind:     by_value
      - .offset:         44
        .size:           4
        .value_kind:     by_value
      - .offset:         48
        .size:           4
        .value_kind:     by_value
    .group_segment_fixed_size: 0
    .kernarg_segment_align: 8
    .kernarg_segment_size: 52
    .language:       OpenCL C
    .language_version:
      - 2
      - 0
    .max_flat_workgroup_size: 1024
    .name:           _ZN5aiter21mxfp4_moe_sort_kernelILi256ELi32ELi8ELi32EEEvPhS1_PKiS3_iiiii
    .private_segment_fixed_size: 0
    .sgpr_count:     45
    .sgpr_spill_count: 0
    .symbol:         _ZN5aiter21mxfp4_moe_sort_kernelILi256ELi32ELi8ELi32EEEvPhS1_PKiS3_iiiii.kd
    .uniform_work_group_size: 1
    .uses_dynamic_stack: false
    .vgpr_count:     10
    .vgpr_spill_count: 0
    .wavefront_size: 32
    .workgroup_processor_mode: 1
  - .args:
      - .actual_access:  write_only
        .address_space:  global
        .offset:         0
        .size:           8
        .value_kind:     global_buffer
      - .actual_access:  read_only
        .address_space:  global
        .offset:         8
        .size:           8
        .value_kind:     global_buffer
      - .actual_access:  read_only
        .address_space:  global
        .offset:         16
        .size:           8
        .value_kind:     global_buffer
      - .actual_access:  read_only
        .address_space:  global
        .offset:         24
        .size:           8
        .value_kind:     global_buffer
      - .offset:         32
        .size:           4
        .value_kind:     by_value
      - .offset:         36
        .size:           4
        .value_kind:     by_value
      - .offset:         40
        .size:           4
        .value_kind:     by_value
      - .offset:         44
        .size:           4
        .value_kind:     by_value
      - .offset:         48
        .size:           4
        .value_kind:     by_value
    .group_segment_fixed_size: 0
    .kernarg_segment_align: 8
    .kernarg_segment_size: 52
    .language:       OpenCL C
    .language_version:
      - 2
      - 0
    .max_flat_workgroup_size: 1024
    .name:           _ZN5aiter21mxfp4_moe_sort_kernelILi256ELi32ELi16ELi32EEEvPhS1_PKiS3_iiiii
    .private_segment_fixed_size: 0
    .sgpr_count:     42
    .sgpr_spill_count: 0
    .symbol:         _ZN5aiter21mxfp4_moe_sort_kernelILi256ELi32ELi16ELi32EEEvPhS1_PKiS3_iiiii.kd
    .uniform_work_group_size: 1
    .uses_dynamic_stack: false
    .vgpr_count:     19
    .vgpr_spill_count: 0
    .wavefront_size: 32
    .workgroup_processor_mode: 1
  - .args:
      - .actual_access:  write_only
        .address_space:  global
        .offset:         0
        .size:           8
        .value_kind:     global_buffer
      - .actual_access:  read_only
        .address_space:  global
        .offset:         8
        .size:           8
        .value_kind:     global_buffer
      - .actual_access:  read_only
        .address_space:  global
        .offset:         16
        .size:           8
        .value_kind:     global_buffer
      - .actual_access:  read_only
        .address_space:  global
        .offset:         24
        .size:           8
        .value_kind:     global_buffer
      - .offset:         32
        .size:           4
        .value_kind:     by_value
      - .offset:         36
        .size:           4
        .value_kind:     by_value
      - .offset:         40
        .size:           4
        .value_kind:     by_value
      - .offset:         44
        .size:           4
        .value_kind:     by_value
      - .offset:         48
        .size:           4
        .value_kind:     by_value
    .group_segment_fixed_size: 0
    .kernarg_segment_align: 8
    .kernarg_segment_size: 52
    .language:       OpenCL C
    .language_version:
      - 2
      - 0
    .max_flat_workgroup_size: 1024
    .name:           _ZN5aiter21mxfp4_moe_sort_kernelILi256ELi32ELi24ELi32EEEvPhS1_PKiS3_iiiii
    .private_segment_fixed_size: 0
    .sgpr_count:     50
    .sgpr_spill_count: 0
    .symbol:         _ZN5aiter21mxfp4_moe_sort_kernelILi256ELi32ELi24ELi32EEEvPhS1_PKiS3_iiiii.kd
    .uniform_work_group_size: 1
    .uses_dynamic_stack: false
    .vgpr_count:     29
    .vgpr_spill_count: 0
    .wavefront_size: 32
    .workgroup_processor_mode: 1
  - .args:
      - .actual_access:  write_only
        .address_space:  global
        .offset:         0
        .size:           8
        .value_kind:     global_buffer
      - .actual_access:  read_only
        .address_space:  global
        .offset:         8
        .size:           8
        .value_kind:     global_buffer
      - .actual_access:  read_only
        .address_space:  global
        .offset:         16
        .size:           8
        .value_kind:     global_buffer
      - .actual_access:  read_only
        .address_space:  global
        .offset:         24
        .size:           8
        .value_kind:     global_buffer
      - .offset:         32
        .size:           4
        .value_kind:     by_value
      - .offset:         36
        .size:           4
        .value_kind:     by_value
      - .offset:         40
        .size:           4
        .value_kind:     by_value
      - .offset:         44
        .size:           4
        .value_kind:     by_value
      - .offset:         48
        .size:           4
        .value_kind:     by_value
    .group_segment_fixed_size: 0
    .kernarg_segment_align: 8
    .kernarg_segment_size: 52
    .language:       OpenCL C
    .language_version:
      - 2
      - 0
    .max_flat_workgroup_size: 1024
    .name:           _ZN5aiter21mxfp4_moe_sort_kernelILi256ELi32ELi32ELi32EEEvPhS1_PKiS3_iiiii
    .private_segment_fixed_size: 0
    .sgpr_count:     56
    .sgpr_spill_count: 0
    .symbol:         _ZN5aiter21mxfp4_moe_sort_kernelILi256ELi32ELi32ELi32EEEvPhS1_PKiS3_iiiii.kd
    .uniform_work_group_size: 1
    .uses_dynamic_stack: false
    .vgpr_count:     39
    .vgpr_spill_count: 0
    .wavefront_size: 32
    .workgroup_processor_mode: 1
  - .args:
      - .actual_access:  write_only
        .address_space:  global
        .offset:         0
        .size:           8
        .value_kind:     global_buffer
      - .actual_access:  read_only
        .address_space:  global
        .offset:         8
        .size:           8
        .value_kind:     global_buffer
      - .actual_access:  read_only
        .address_space:  global
        .offset:         16
        .size:           8
        .value_kind:     global_buffer
      - .actual_access:  read_only
        .address_space:  global
        .offset:         24
        .size:           8
        .value_kind:     global_buffer
      - .offset:         32
        .size:           4
        .value_kind:     by_value
      - .offset:         36
        .size:           4
        .value_kind:     by_value
      - .offset:         40
        .size:           4
        .value_kind:     by_value
      - .offset:         44
        .size:           4
        .value_kind:     by_value
      - .offset:         48
        .size:           4
        .value_kind:     by_value
    .group_segment_fixed_size: 0
    .kernarg_segment_align: 8
    .kernarg_segment_size: 52
    .language:       OpenCL C
    .language_version:
      - 2
      - 0
    .max_flat_workgroup_size: 1024
    .name:           _ZN5aiter21mxfp4_moe_sort_kernelILi256ELi16ELi32ELi32EEEvPhS1_PKiS3_iiiii
    .private_segment_fixed_size: 0
    .sgpr_count:     56
    .sgpr_spill_count: 0
    .symbol:         _ZN5aiter21mxfp4_moe_sort_kernelILi256ELi16ELi32ELi32EEEvPhS1_PKiS3_iiiii.kd
    .uniform_work_group_size: 1
    .uses_dynamic_stack: false
    .vgpr_count:     39
    .vgpr_spill_count: 0
    .wavefront_size: 32
    .workgroup_processor_mode: 1
amdhsa.target:   amdgcn-amd-amdhsa--gfx1100
amdhsa.version:
  - 1
  - 2
...

	.end_amdgpu_metadata
